;; amdgpu-corpus repo=ROCm/hipCUB kind=compiled arch=gfx906 opt=O3
	.amdgcn_target "amdgcn-amd-amdhsa--gfx906"
	.amdhsa_code_object_version 6
	.section	.text._Z6kernelI14inclusive_scanILN6hipcub18BlockScanAlgorithmE1EEiLj64ELj1ELj100EEvPKT0_PS4_S4_,"axG",@progbits,_Z6kernelI14inclusive_scanILN6hipcub18BlockScanAlgorithmE1EEiLj64ELj1ELj100EEvPKT0_PS4_S4_,comdat
	.protected	_Z6kernelI14inclusive_scanILN6hipcub18BlockScanAlgorithmE1EEiLj64ELj1ELj100EEvPKT0_PS4_S4_ ; -- Begin function _Z6kernelI14inclusive_scanILN6hipcub18BlockScanAlgorithmE1EEiLj64ELj1ELj100EEvPKT0_PS4_S4_
	.globl	_Z6kernelI14inclusive_scanILN6hipcub18BlockScanAlgorithmE1EEiLj64ELj1ELj100EEvPKT0_PS4_S4_
	.p2align	8
	.type	_Z6kernelI14inclusive_scanILN6hipcub18BlockScanAlgorithmE1EEiLj64ELj1ELj100EEvPKT0_PS4_S4_,@function
_Z6kernelI14inclusive_scanILN6hipcub18BlockScanAlgorithmE1EEiLj64ELj1ELj100EEvPKT0_PS4_S4_: ; @_Z6kernelI14inclusive_scanILN6hipcub18BlockScanAlgorithmE1EEiLj64ELj1ELj100EEvPKT0_PS4_S4_
; %bb.0:
	s_load_dword s0, s[4:5], 0x24
	s_load_dwordx4 s[12:15], s[4:5], 0x0
	v_mov_b32_e32 v2, 0
	v_cmp_eq_u32_e64 s[10:11], 63, v0
	s_movk_i32 s16, 0x64
	s_waitcnt lgkmcnt(0)
	s_and_b32 s0, s0, 0xffff
	s_mul_i32 s6, s6, s0
	v_add_u32_e32 v1, s6, v0
	v_lshlrev_b64 v[3:4], 2, v[1:2]
	v_mov_b32_e32 v1, s13
	v_add_co_u32_e32 v5, vcc, s12, v3
	v_addc_co_u32_e32 v6, vcc, v1, v4, vcc
	global_load_dword v1, v[5:6], off
	v_mbcnt_lo_u32_b32 v5, -1, 0
	v_mbcnt_hi_u32_b32 v5, -1, v5
	v_and_b32_e32 v6, 15, v5
	v_cmp_eq_u32_e32 vcc, 0, v6
	v_cmp_lt_u32_e64 s[0:1], 1, v6
	v_cmp_lt_u32_e64 s[2:3], 3, v6
	;; [unrolled: 1-line block ×3, first 2 shown]
	v_and_b32_e32 v6, 16, v5
	v_cmp_eq_u32_e64 s[6:7], 0, v6
	v_cmp_lt_u32_e64 s[8:9], 31, v5
	s_branch .LBB0_2
.LBB0_1:                                ;   in Loop: Header=BB0_2 Depth=1
	s_or_b64 exec, exec, s[12:13]
	s_add_i32 s16, s16, -1
	s_cmp_lg_u32 s16, 0
	s_waitcnt lgkmcnt(0)
	; wave barrier
	s_cbranch_scc0 .LBB0_4
.LBB0_2:                                ; =>This Inner Loop Header: Depth=1
	s_waitcnt vmcnt(0)
	v_mov_b32_dpp v0, v1 row_shr:1 row_mask:0xf bank_mask:0xf
	v_cndmask_b32_e64 v0, v0, 0, vcc
	v_add_u32_e32 v0, v0, v1
	s_nop 1
	v_mov_b32_dpp v1, v0 row_shr:2 row_mask:0xf bank_mask:0xf
	v_cndmask_b32_e64 v1, 0, v1, s[0:1]
	v_add_u32_e32 v0, v0, v1
	s_nop 1
	v_mov_b32_dpp v1, v0 row_shr:4 row_mask:0xf bank_mask:0xf
	v_cndmask_b32_e64 v1, 0, v1, s[2:3]
	;; [unrolled: 4-line block ×3, first 2 shown]
	v_add_u32_e32 v0, v0, v1
	s_nop 1
	v_mov_b32_dpp v1, v0 row_bcast:15 row_mask:0xf bank_mask:0xf
	v_cndmask_b32_e64 v1, v1, 0, s[6:7]
	v_add_u32_e32 v0, v0, v1
	s_nop 1
	v_mov_b32_dpp v1, v0 row_bcast:31 row_mask:0xf bank_mask:0xf
	v_cndmask_b32_e64 v1, 0, v1, s[8:9]
	v_add_u32_e32 v1, v0, v1
	s_and_saveexec_b64 s[12:13], s[10:11]
	s_cbranch_execz .LBB0_1
; %bb.3:                                ;   in Loop: Header=BB0_2 Depth=1
	ds_write_b32 v2, v1
	s_branch .LBB0_1
.LBB0_4:
	v_mov_b32_e32 v0, s15
	v_add_co_u32_e32 v2, vcc, s14, v3
	v_addc_co_u32_e32 v3, vcc, v0, v4, vcc
	global_store_dword v[2:3], v1, off
	s_endpgm
	.section	.rodata,"a",@progbits
	.p2align	6, 0x0
	.amdhsa_kernel _Z6kernelI14inclusive_scanILN6hipcub18BlockScanAlgorithmE1EEiLj64ELj1ELj100EEvPKT0_PS4_S4_
		.amdhsa_group_segment_fixed_size 4
		.amdhsa_private_segment_fixed_size 0
		.amdhsa_kernarg_size 280
		.amdhsa_user_sgpr_count 6
		.amdhsa_user_sgpr_private_segment_buffer 1
		.amdhsa_user_sgpr_dispatch_ptr 0
		.amdhsa_user_sgpr_queue_ptr 0
		.amdhsa_user_sgpr_kernarg_segment_ptr 1
		.amdhsa_user_sgpr_dispatch_id 0
		.amdhsa_user_sgpr_flat_scratch_init 0
		.amdhsa_user_sgpr_private_segment_size 0
		.amdhsa_uses_dynamic_stack 0
		.amdhsa_system_sgpr_private_segment_wavefront_offset 0
		.amdhsa_system_sgpr_workgroup_id_x 1
		.amdhsa_system_sgpr_workgroup_id_y 0
		.amdhsa_system_sgpr_workgroup_id_z 0
		.amdhsa_system_sgpr_workgroup_info 0
		.amdhsa_system_vgpr_workitem_id 0
		.amdhsa_next_free_vgpr 7
		.amdhsa_next_free_sgpr 17
		.amdhsa_reserve_vcc 1
		.amdhsa_reserve_flat_scratch 0
		.amdhsa_float_round_mode_32 0
		.amdhsa_float_round_mode_16_64 0
		.amdhsa_float_denorm_mode_32 3
		.amdhsa_float_denorm_mode_16_64 3
		.amdhsa_dx10_clamp 1
		.amdhsa_ieee_mode 1
		.amdhsa_fp16_overflow 0
		.amdhsa_exception_fp_ieee_invalid_op 0
		.amdhsa_exception_fp_denorm_src 0
		.amdhsa_exception_fp_ieee_div_zero 0
		.amdhsa_exception_fp_ieee_overflow 0
		.amdhsa_exception_fp_ieee_underflow 0
		.amdhsa_exception_fp_ieee_inexact 0
		.amdhsa_exception_int_div_zero 0
	.end_amdhsa_kernel
	.section	.text._Z6kernelI14inclusive_scanILN6hipcub18BlockScanAlgorithmE1EEiLj64ELj1ELj100EEvPKT0_PS4_S4_,"axG",@progbits,_Z6kernelI14inclusive_scanILN6hipcub18BlockScanAlgorithmE1EEiLj64ELj1ELj100EEvPKT0_PS4_S4_,comdat
.Lfunc_end0:
	.size	_Z6kernelI14inclusive_scanILN6hipcub18BlockScanAlgorithmE1EEiLj64ELj1ELj100EEvPKT0_PS4_S4_, .Lfunc_end0-_Z6kernelI14inclusive_scanILN6hipcub18BlockScanAlgorithmE1EEiLj64ELj1ELj100EEvPKT0_PS4_S4_
                                        ; -- End function
	.set _Z6kernelI14inclusive_scanILN6hipcub18BlockScanAlgorithmE1EEiLj64ELj1ELj100EEvPKT0_PS4_S4_.num_vgpr, 7
	.set _Z6kernelI14inclusive_scanILN6hipcub18BlockScanAlgorithmE1EEiLj64ELj1ELj100EEvPKT0_PS4_S4_.num_agpr, 0
	.set _Z6kernelI14inclusive_scanILN6hipcub18BlockScanAlgorithmE1EEiLj64ELj1ELj100EEvPKT0_PS4_S4_.numbered_sgpr, 17
	.set _Z6kernelI14inclusive_scanILN6hipcub18BlockScanAlgorithmE1EEiLj64ELj1ELj100EEvPKT0_PS4_S4_.num_named_barrier, 0
	.set _Z6kernelI14inclusive_scanILN6hipcub18BlockScanAlgorithmE1EEiLj64ELj1ELj100EEvPKT0_PS4_S4_.private_seg_size, 0
	.set _Z6kernelI14inclusive_scanILN6hipcub18BlockScanAlgorithmE1EEiLj64ELj1ELj100EEvPKT0_PS4_S4_.uses_vcc, 1
	.set _Z6kernelI14inclusive_scanILN6hipcub18BlockScanAlgorithmE1EEiLj64ELj1ELj100EEvPKT0_PS4_S4_.uses_flat_scratch, 0
	.set _Z6kernelI14inclusive_scanILN6hipcub18BlockScanAlgorithmE1EEiLj64ELj1ELj100EEvPKT0_PS4_S4_.has_dyn_sized_stack, 0
	.set _Z6kernelI14inclusive_scanILN6hipcub18BlockScanAlgorithmE1EEiLj64ELj1ELj100EEvPKT0_PS4_S4_.has_recursion, 0
	.set _Z6kernelI14inclusive_scanILN6hipcub18BlockScanAlgorithmE1EEiLj64ELj1ELj100EEvPKT0_PS4_S4_.has_indirect_call, 0
	.section	.AMDGPU.csdata,"",@progbits
; Kernel info:
; codeLenInByte = 360
; TotalNumSgprs: 21
; NumVgprs: 7
; ScratchSize: 0
; MemoryBound: 0
; FloatMode: 240
; IeeeMode: 1
; LDSByteSize: 4 bytes/workgroup (compile time only)
; SGPRBlocks: 2
; VGPRBlocks: 1
; NumSGPRsForWavesPerEU: 21
; NumVGPRsForWavesPerEU: 7
; Occupancy: 10
; WaveLimiterHint : 0
; COMPUTE_PGM_RSRC2:SCRATCH_EN: 0
; COMPUTE_PGM_RSRC2:USER_SGPR: 6
; COMPUTE_PGM_RSRC2:TRAP_HANDLER: 0
; COMPUTE_PGM_RSRC2:TGID_X_EN: 1
; COMPUTE_PGM_RSRC2:TGID_Y_EN: 0
; COMPUTE_PGM_RSRC2:TGID_Z_EN: 0
; COMPUTE_PGM_RSRC2:TIDIG_COMP_CNT: 0
	.section	.text._Z6kernelI14inclusive_scanILN6hipcub18BlockScanAlgorithmE1EEiLj64ELj3ELj100EEvPKT0_PS4_S4_,"axG",@progbits,_Z6kernelI14inclusive_scanILN6hipcub18BlockScanAlgorithmE1EEiLj64ELj3ELj100EEvPKT0_PS4_S4_,comdat
	.protected	_Z6kernelI14inclusive_scanILN6hipcub18BlockScanAlgorithmE1EEiLj64ELj3ELj100EEvPKT0_PS4_S4_ ; -- Begin function _Z6kernelI14inclusive_scanILN6hipcub18BlockScanAlgorithmE1EEiLj64ELj3ELj100EEvPKT0_PS4_S4_
	.globl	_Z6kernelI14inclusive_scanILN6hipcub18BlockScanAlgorithmE1EEiLj64ELj3ELj100EEvPKT0_PS4_S4_
	.p2align	8
	.type	_Z6kernelI14inclusive_scanILN6hipcub18BlockScanAlgorithmE1EEiLj64ELj3ELj100EEvPKT0_PS4_S4_,@function
_Z6kernelI14inclusive_scanILN6hipcub18BlockScanAlgorithmE1EEiLj64ELj3ELj100EEvPKT0_PS4_S4_: ; @_Z6kernelI14inclusive_scanILN6hipcub18BlockScanAlgorithmE1EEiLj64ELj3ELj100EEvPKT0_PS4_S4_
; %bb.0:
	s_load_dword s0, s[4:5], 0x24
	s_load_dwordx4 s[12:15], s[4:5], 0x0
	v_mov_b32_e32 v2, 0
	v_mov_b32_e32 v6, v2
	v_cmp_eq_u32_e64 s[10:11], 63, v0
	s_waitcnt lgkmcnt(0)
	s_and_b32 s0, s0, 0xffff
	s_mul_i32 s6, s6, s0
	v_add_u32_e32 v1, s6, v0
	v_lshl_add_u32 v1, v1, 1, v1
	v_lshlrev_b64 v[3:4], 2, v[1:2]
	v_mov_b32_e32 v5, s13
	v_add_co_u32_e32 v11, vcc, s12, v3
	v_addc_co_u32_e32 v12, vcc, v5, v4, vcc
	v_add_u32_e32 v5, 1, v1
	v_lshlrev_b64 v[5:6], 2, v[5:6]
	v_mov_b32_e32 v7, s13
	v_add_co_u32_e32 v13, vcc, s12, v5
	v_add_u32_e32 v1, 2, v1
	v_addc_co_u32_e32 v14, vcc, v7, v6, vcc
	v_lshlrev_b64 v[7:8], 2, v[1:2]
	v_mov_b32_e32 v1, s13
	v_add_co_u32_e32 v15, vcc, s12, v7
	v_addc_co_u32_e32 v16, vcc, v1, v8, vcc
	global_load_dword v10, v[11:12], off
	global_load_dword v9, v[13:14], off
	;; [unrolled: 1-line block ×3, first 2 shown]
	v_mbcnt_lo_u32_b32 v11, -1, 0
	v_mbcnt_hi_u32_b32 v11, -1, v11
	v_and_b32_e32 v12, 15, v11
	v_cmp_eq_u32_e32 vcc, 0, v12
	v_cmp_lt_u32_e64 s[0:1], 1, v12
	v_cmp_lt_u32_e64 s[2:3], 3, v12
	;; [unrolled: 1-line block ×3, first 2 shown]
	v_and_b32_e32 v12, 16, v11
	v_cmp_eq_u32_e64 s[6:7], 0, v12
	v_add_u32_e32 v12, -1, v11
	v_and_b32_e32 v13, 64, v11
	v_cmp_lt_i32_e64 s[12:13], v12, v13
	v_cmp_lt_u32_e64 s[8:9], 31, v11
	v_cndmask_b32_e64 v11, v12, v11, s[12:13]
	v_lshlrev_b32_e32 v11, 2, v11
	v_cmp_eq_u32_e64 s[12:13], 0, v0
	s_movk_i32 s18, 0x64
	s_branch .LBB1_2
.LBB1_1:                                ;   in Loop: Header=BB1_2 Depth=1
	s_or_b64 exec, exec, s[16:17]
	ds_bpermute_b32 v0, v11, v0
	s_add_i32 s18, s18, -1
	s_cmp_lg_u32 s18, 0
	s_waitcnt lgkmcnt(0)
	; wave barrier
	v_cndmask_b32_e64 v0, v0, 0, s[12:13]
	v_add_u32_e32 v10, v0, v10
	v_add_u32_e32 v9, v10, v9
	;; [unrolled: 1-line block ×3, first 2 shown]
	s_cbranch_scc0 .LBB1_4
.LBB1_2:                                ; =>This Inner Loop Header: Depth=1
	s_waitcnt vmcnt(0)
	v_add3_u32 v0, v9, v10, v1
	s_nop 1
	v_mov_b32_dpp v12, v0 row_shr:1 row_mask:0xf bank_mask:0xf
	v_cndmask_b32_e64 v12, v12, 0, vcc
	v_add_u32_e32 v0, v0, v12
	s_nop 1
	v_mov_b32_dpp v12, v0 row_shr:2 row_mask:0xf bank_mask:0xf
	v_cndmask_b32_e64 v12, 0, v12, s[0:1]
	v_add_u32_e32 v0, v0, v12
	s_nop 1
	v_mov_b32_dpp v12, v0 row_shr:4 row_mask:0xf bank_mask:0xf
	v_cndmask_b32_e64 v12, 0, v12, s[2:3]
	;; [unrolled: 4-line block ×3, first 2 shown]
	v_add_u32_e32 v0, v0, v12
	s_nop 1
	v_mov_b32_dpp v12, v0 row_bcast:15 row_mask:0xf bank_mask:0xf
	v_cndmask_b32_e64 v12, v12, 0, s[6:7]
	v_add_u32_e32 v0, v0, v12
	s_nop 1
	v_mov_b32_dpp v12, v0 row_bcast:31 row_mask:0xf bank_mask:0xf
	v_cndmask_b32_e64 v12, 0, v12, s[8:9]
	v_add_u32_e32 v0, v0, v12
	s_and_saveexec_b64 s[16:17], s[10:11]
	s_cbranch_execz .LBB1_1
; %bb.3:                                ;   in Loop: Header=BB1_2 Depth=1
	ds_write_b32 v2, v0
	s_branch .LBB1_1
.LBB1_4:
	v_mov_b32_e32 v0, s15
	v_add_co_u32_e32 v2, vcc, s14, v3
	v_addc_co_u32_e32 v3, vcc, v0, v4, vcc
	global_store_dword v[2:3], v10, off
	v_add_co_u32_e32 v2, vcc, s14, v5
	v_addc_co_u32_e32 v3, vcc, v0, v6, vcc
	global_store_dword v[2:3], v9, off
	;; [unrolled: 3-line block ×3, first 2 shown]
	s_endpgm
	.section	.rodata,"a",@progbits
	.p2align	6, 0x0
	.amdhsa_kernel _Z6kernelI14inclusive_scanILN6hipcub18BlockScanAlgorithmE1EEiLj64ELj3ELj100EEvPKT0_PS4_S4_
		.amdhsa_group_segment_fixed_size 4
		.amdhsa_private_segment_fixed_size 0
		.amdhsa_kernarg_size 280
		.amdhsa_user_sgpr_count 6
		.amdhsa_user_sgpr_private_segment_buffer 1
		.amdhsa_user_sgpr_dispatch_ptr 0
		.amdhsa_user_sgpr_queue_ptr 0
		.amdhsa_user_sgpr_kernarg_segment_ptr 1
		.amdhsa_user_sgpr_dispatch_id 0
		.amdhsa_user_sgpr_flat_scratch_init 0
		.amdhsa_user_sgpr_private_segment_size 0
		.amdhsa_uses_dynamic_stack 0
		.amdhsa_system_sgpr_private_segment_wavefront_offset 0
		.amdhsa_system_sgpr_workgroup_id_x 1
		.amdhsa_system_sgpr_workgroup_id_y 0
		.amdhsa_system_sgpr_workgroup_id_z 0
		.amdhsa_system_sgpr_workgroup_info 0
		.amdhsa_system_vgpr_workitem_id 0
		.amdhsa_next_free_vgpr 17
		.amdhsa_next_free_sgpr 19
		.amdhsa_reserve_vcc 1
		.amdhsa_reserve_flat_scratch 0
		.amdhsa_float_round_mode_32 0
		.amdhsa_float_round_mode_16_64 0
		.amdhsa_float_denorm_mode_32 3
		.amdhsa_float_denorm_mode_16_64 3
		.amdhsa_dx10_clamp 1
		.amdhsa_ieee_mode 1
		.amdhsa_fp16_overflow 0
		.amdhsa_exception_fp_ieee_invalid_op 0
		.amdhsa_exception_fp_denorm_src 0
		.amdhsa_exception_fp_ieee_div_zero 0
		.amdhsa_exception_fp_ieee_overflow 0
		.amdhsa_exception_fp_ieee_underflow 0
		.amdhsa_exception_fp_ieee_inexact 0
		.amdhsa_exception_int_div_zero 0
	.end_amdhsa_kernel
	.section	.text._Z6kernelI14inclusive_scanILN6hipcub18BlockScanAlgorithmE1EEiLj64ELj3ELj100EEvPKT0_PS4_S4_,"axG",@progbits,_Z6kernelI14inclusive_scanILN6hipcub18BlockScanAlgorithmE1EEiLj64ELj3ELj100EEvPKT0_PS4_S4_,comdat
.Lfunc_end1:
	.size	_Z6kernelI14inclusive_scanILN6hipcub18BlockScanAlgorithmE1EEiLj64ELj3ELj100EEvPKT0_PS4_S4_, .Lfunc_end1-_Z6kernelI14inclusive_scanILN6hipcub18BlockScanAlgorithmE1EEiLj64ELj3ELj100EEvPKT0_PS4_S4_
                                        ; -- End function
	.set _Z6kernelI14inclusive_scanILN6hipcub18BlockScanAlgorithmE1EEiLj64ELj3ELj100EEvPKT0_PS4_S4_.num_vgpr, 17
	.set _Z6kernelI14inclusive_scanILN6hipcub18BlockScanAlgorithmE1EEiLj64ELj3ELj100EEvPKT0_PS4_S4_.num_agpr, 0
	.set _Z6kernelI14inclusive_scanILN6hipcub18BlockScanAlgorithmE1EEiLj64ELj3ELj100EEvPKT0_PS4_S4_.numbered_sgpr, 19
	.set _Z6kernelI14inclusive_scanILN6hipcub18BlockScanAlgorithmE1EEiLj64ELj3ELj100EEvPKT0_PS4_S4_.num_named_barrier, 0
	.set _Z6kernelI14inclusive_scanILN6hipcub18BlockScanAlgorithmE1EEiLj64ELj3ELj100EEvPKT0_PS4_S4_.private_seg_size, 0
	.set _Z6kernelI14inclusive_scanILN6hipcub18BlockScanAlgorithmE1EEiLj64ELj3ELj100EEvPKT0_PS4_S4_.uses_vcc, 1
	.set _Z6kernelI14inclusive_scanILN6hipcub18BlockScanAlgorithmE1EEiLj64ELj3ELj100EEvPKT0_PS4_S4_.uses_flat_scratch, 0
	.set _Z6kernelI14inclusive_scanILN6hipcub18BlockScanAlgorithmE1EEiLj64ELj3ELj100EEvPKT0_PS4_S4_.has_dyn_sized_stack, 0
	.set _Z6kernelI14inclusive_scanILN6hipcub18BlockScanAlgorithmE1EEiLj64ELj3ELj100EEvPKT0_PS4_S4_.has_recursion, 0
	.set _Z6kernelI14inclusive_scanILN6hipcub18BlockScanAlgorithmE1EEiLj64ELj3ELj100EEvPKT0_PS4_S4_.has_indirect_call, 0
	.section	.AMDGPU.csdata,"",@progbits
; Kernel info:
; codeLenInByte = 544
; TotalNumSgprs: 23
; NumVgprs: 17
; ScratchSize: 0
; MemoryBound: 0
; FloatMode: 240
; IeeeMode: 1
; LDSByteSize: 4 bytes/workgroup (compile time only)
; SGPRBlocks: 2
; VGPRBlocks: 4
; NumSGPRsForWavesPerEU: 23
; NumVGPRsForWavesPerEU: 17
; Occupancy: 10
; WaveLimiterHint : 0
; COMPUTE_PGM_RSRC2:SCRATCH_EN: 0
; COMPUTE_PGM_RSRC2:USER_SGPR: 6
; COMPUTE_PGM_RSRC2:TRAP_HANDLER: 0
; COMPUTE_PGM_RSRC2:TGID_X_EN: 1
; COMPUTE_PGM_RSRC2:TGID_Y_EN: 0
; COMPUTE_PGM_RSRC2:TGID_Z_EN: 0
; COMPUTE_PGM_RSRC2:TIDIG_COMP_CNT: 0
	.section	.text._Z6kernelI14inclusive_scanILN6hipcub18BlockScanAlgorithmE1EEiLj64ELj4ELj100EEvPKT0_PS4_S4_,"axG",@progbits,_Z6kernelI14inclusive_scanILN6hipcub18BlockScanAlgorithmE1EEiLj64ELj4ELj100EEvPKT0_PS4_S4_,comdat
	.protected	_Z6kernelI14inclusive_scanILN6hipcub18BlockScanAlgorithmE1EEiLj64ELj4ELj100EEvPKT0_PS4_S4_ ; -- Begin function _Z6kernelI14inclusive_scanILN6hipcub18BlockScanAlgorithmE1EEiLj64ELj4ELj100EEvPKT0_PS4_S4_
	.globl	_Z6kernelI14inclusive_scanILN6hipcub18BlockScanAlgorithmE1EEiLj64ELj4ELj100EEvPKT0_PS4_S4_
	.p2align	8
	.type	_Z6kernelI14inclusive_scanILN6hipcub18BlockScanAlgorithmE1EEiLj64ELj4ELj100EEvPKT0_PS4_S4_,@function
_Z6kernelI14inclusive_scanILN6hipcub18BlockScanAlgorithmE1EEiLj64ELj4ELj100EEvPKT0_PS4_S4_: ; @_Z6kernelI14inclusive_scanILN6hipcub18BlockScanAlgorithmE1EEiLj64ELj4ELj100EEvPKT0_PS4_S4_
; %bb.0:
	s_load_dword s0, s[4:5], 0x24
	s_load_dwordx4 s[12:15], s[4:5], 0x0
	v_mov_b32_e32 v5, 0
	v_mbcnt_lo_u32_b32 v8, -1, 0
	v_mbcnt_hi_u32_b32 v8, -1, v8
	s_waitcnt lgkmcnt(0)
	s_and_b32 s0, s0, 0xffff
	s_mul_i32 s6, s6, s0
	v_add_lshl_u32 v4, s6, v0, 2
	v_lshlrev_b64 v[6:7], 2, v[4:5]
	v_mov_b32_e32 v2, s13
	v_add_co_u32_e32 v1, vcc, s12, v6
	v_addc_co_u32_e32 v2, vcc, v2, v7, vcc
	global_load_dwordx4 v[1:4], v[1:2], off
	v_and_b32_e32 v9, 15, v8
	v_cmp_eq_u32_e32 vcc, 0, v9
	v_cmp_lt_u32_e64 s[0:1], 1, v9
	v_cmp_lt_u32_e64 s[2:3], 3, v9
	v_cmp_lt_u32_e64 s[4:5], 7, v9
	v_and_b32_e32 v9, 16, v8
	v_cmp_eq_u32_e64 s[6:7], 0, v9
	v_add_u32_e32 v9, -1, v8
	v_and_b32_e32 v10, 64, v8
	v_cmp_lt_i32_e64 s[12:13], v9, v10
	v_cmp_lt_u32_e64 s[8:9], 31, v8
	v_cndmask_b32_e64 v8, v9, v8, s[12:13]
	v_cmp_eq_u32_e64 s[10:11], 63, v0
	v_lshlrev_b32_e32 v8, 2, v8
	v_cmp_eq_u32_e64 s[12:13], 0, v0
	s_movk_i32 s18, 0x64
	s_branch .LBB2_2
.LBB2_1:                                ;   in Loop: Header=BB2_2 Depth=1
	s_or_b64 exec, exec, s[16:17]
	ds_bpermute_b32 v0, v8, v0
	s_add_i32 s18, s18, -1
	s_cmp_lg_u32 s18, 0
	s_waitcnt lgkmcnt(0)
	; wave barrier
	v_cndmask_b32_e64 v0, v0, 0, s[12:13]
	v_add_u32_e32 v1, v0, v1
	v_add_u32_e32 v2, v1, v2
	;; [unrolled: 1-line block ×4, first 2 shown]
	s_cbranch_scc0 .LBB2_4
.LBB2_2:                                ; =>This Inner Loop Header: Depth=1
	s_waitcnt vmcnt(0)
	v_add_u32_e32 v0, v2, v1
	v_add3_u32 v0, v0, v3, v4
	s_nop 1
	v_mov_b32_dpp v9, v0 row_shr:1 row_mask:0xf bank_mask:0xf
	v_cndmask_b32_e64 v9, v9, 0, vcc
	v_add_u32_e32 v0, v0, v9
	s_nop 1
	v_mov_b32_dpp v9, v0 row_shr:2 row_mask:0xf bank_mask:0xf
	v_cndmask_b32_e64 v9, 0, v9, s[0:1]
	v_add_u32_e32 v0, v0, v9
	s_nop 1
	v_mov_b32_dpp v9, v0 row_shr:4 row_mask:0xf bank_mask:0xf
	v_cndmask_b32_e64 v9, 0, v9, s[2:3]
	;; [unrolled: 4-line block ×3, first 2 shown]
	v_add_u32_e32 v0, v0, v9
	s_nop 1
	v_mov_b32_dpp v9, v0 row_bcast:15 row_mask:0xf bank_mask:0xf
	v_cndmask_b32_e64 v9, v9, 0, s[6:7]
	v_add_u32_e32 v0, v0, v9
	s_nop 1
	v_mov_b32_dpp v9, v0 row_bcast:31 row_mask:0xf bank_mask:0xf
	v_cndmask_b32_e64 v9, 0, v9, s[8:9]
	v_add_u32_e32 v0, v0, v9
	s_and_saveexec_b64 s[16:17], s[10:11]
	s_cbranch_execz .LBB2_1
; %bb.3:                                ;   in Loop: Header=BB2_2 Depth=1
	ds_write_b32 v5, v0
	s_branch .LBB2_1
.LBB2_4:
	v_mov_b32_e32 v0, s15
	v_add_co_u32_e32 v5, vcc, s14, v6
	v_addc_co_u32_e32 v6, vcc, v0, v7, vcc
	global_store_dwordx4 v[5:6], v[1:4], off
	s_endpgm
	.section	.rodata,"a",@progbits
	.p2align	6, 0x0
	.amdhsa_kernel _Z6kernelI14inclusive_scanILN6hipcub18BlockScanAlgorithmE1EEiLj64ELj4ELj100EEvPKT0_PS4_S4_
		.amdhsa_group_segment_fixed_size 4
		.amdhsa_private_segment_fixed_size 0
		.amdhsa_kernarg_size 280
		.amdhsa_user_sgpr_count 6
		.amdhsa_user_sgpr_private_segment_buffer 1
		.amdhsa_user_sgpr_dispatch_ptr 0
		.amdhsa_user_sgpr_queue_ptr 0
		.amdhsa_user_sgpr_kernarg_segment_ptr 1
		.amdhsa_user_sgpr_dispatch_id 0
		.amdhsa_user_sgpr_flat_scratch_init 0
		.amdhsa_user_sgpr_private_segment_size 0
		.amdhsa_uses_dynamic_stack 0
		.amdhsa_system_sgpr_private_segment_wavefront_offset 0
		.amdhsa_system_sgpr_workgroup_id_x 1
		.amdhsa_system_sgpr_workgroup_id_y 0
		.amdhsa_system_sgpr_workgroup_id_z 0
		.amdhsa_system_sgpr_workgroup_info 0
		.amdhsa_system_vgpr_workitem_id 0
		.amdhsa_next_free_vgpr 11
		.amdhsa_next_free_sgpr 19
		.amdhsa_reserve_vcc 1
		.amdhsa_reserve_flat_scratch 0
		.amdhsa_float_round_mode_32 0
		.amdhsa_float_round_mode_16_64 0
		.amdhsa_float_denorm_mode_32 3
		.amdhsa_float_denorm_mode_16_64 3
		.amdhsa_dx10_clamp 1
		.amdhsa_ieee_mode 1
		.amdhsa_fp16_overflow 0
		.amdhsa_exception_fp_ieee_invalid_op 0
		.amdhsa_exception_fp_denorm_src 0
		.amdhsa_exception_fp_ieee_div_zero 0
		.amdhsa_exception_fp_ieee_overflow 0
		.amdhsa_exception_fp_ieee_underflow 0
		.amdhsa_exception_fp_ieee_inexact 0
		.amdhsa_exception_int_div_zero 0
	.end_amdhsa_kernel
	.section	.text._Z6kernelI14inclusive_scanILN6hipcub18BlockScanAlgorithmE1EEiLj64ELj4ELj100EEvPKT0_PS4_S4_,"axG",@progbits,_Z6kernelI14inclusive_scanILN6hipcub18BlockScanAlgorithmE1EEiLj64ELj4ELj100EEvPKT0_PS4_S4_,comdat
.Lfunc_end2:
	.size	_Z6kernelI14inclusive_scanILN6hipcub18BlockScanAlgorithmE1EEiLj64ELj4ELj100EEvPKT0_PS4_S4_, .Lfunc_end2-_Z6kernelI14inclusive_scanILN6hipcub18BlockScanAlgorithmE1EEiLj64ELj4ELj100EEvPKT0_PS4_S4_
                                        ; -- End function
	.set _Z6kernelI14inclusive_scanILN6hipcub18BlockScanAlgorithmE1EEiLj64ELj4ELj100EEvPKT0_PS4_S4_.num_vgpr, 11
	.set _Z6kernelI14inclusive_scanILN6hipcub18BlockScanAlgorithmE1EEiLj64ELj4ELj100EEvPKT0_PS4_S4_.num_agpr, 0
	.set _Z6kernelI14inclusive_scanILN6hipcub18BlockScanAlgorithmE1EEiLj64ELj4ELj100EEvPKT0_PS4_S4_.numbered_sgpr, 19
	.set _Z6kernelI14inclusive_scanILN6hipcub18BlockScanAlgorithmE1EEiLj64ELj4ELj100EEvPKT0_PS4_S4_.num_named_barrier, 0
	.set _Z6kernelI14inclusive_scanILN6hipcub18BlockScanAlgorithmE1EEiLj64ELj4ELj100EEvPKT0_PS4_S4_.private_seg_size, 0
	.set _Z6kernelI14inclusive_scanILN6hipcub18BlockScanAlgorithmE1EEiLj64ELj4ELj100EEvPKT0_PS4_S4_.uses_vcc, 1
	.set _Z6kernelI14inclusive_scanILN6hipcub18BlockScanAlgorithmE1EEiLj64ELj4ELj100EEvPKT0_PS4_S4_.uses_flat_scratch, 0
	.set _Z6kernelI14inclusive_scanILN6hipcub18BlockScanAlgorithmE1EEiLj64ELj4ELj100EEvPKT0_PS4_S4_.has_dyn_sized_stack, 0
	.set _Z6kernelI14inclusive_scanILN6hipcub18BlockScanAlgorithmE1EEiLj64ELj4ELj100EEvPKT0_PS4_S4_.has_recursion, 0
	.set _Z6kernelI14inclusive_scanILN6hipcub18BlockScanAlgorithmE1EEiLj64ELj4ELj100EEvPKT0_PS4_S4_.has_indirect_call, 0
	.section	.AMDGPU.csdata,"",@progbits
; Kernel info:
; codeLenInByte = 448
; TotalNumSgprs: 23
; NumVgprs: 11
; ScratchSize: 0
; MemoryBound: 0
; FloatMode: 240
; IeeeMode: 1
; LDSByteSize: 4 bytes/workgroup (compile time only)
; SGPRBlocks: 2
; VGPRBlocks: 2
; NumSGPRsForWavesPerEU: 23
; NumVGPRsForWavesPerEU: 11
; Occupancy: 10
; WaveLimiterHint : 0
; COMPUTE_PGM_RSRC2:SCRATCH_EN: 0
; COMPUTE_PGM_RSRC2:USER_SGPR: 6
; COMPUTE_PGM_RSRC2:TRAP_HANDLER: 0
; COMPUTE_PGM_RSRC2:TGID_X_EN: 1
; COMPUTE_PGM_RSRC2:TGID_Y_EN: 0
; COMPUTE_PGM_RSRC2:TGID_Z_EN: 0
; COMPUTE_PGM_RSRC2:TIDIG_COMP_CNT: 0
	.section	.text._Z6kernelI14inclusive_scanILN6hipcub18BlockScanAlgorithmE1EEiLj64ELj8ELj100EEvPKT0_PS4_S4_,"axG",@progbits,_Z6kernelI14inclusive_scanILN6hipcub18BlockScanAlgorithmE1EEiLj64ELj8ELj100EEvPKT0_PS4_S4_,comdat
	.protected	_Z6kernelI14inclusive_scanILN6hipcub18BlockScanAlgorithmE1EEiLj64ELj8ELj100EEvPKT0_PS4_S4_ ; -- Begin function _Z6kernelI14inclusive_scanILN6hipcub18BlockScanAlgorithmE1EEiLj64ELj8ELj100EEvPKT0_PS4_S4_
	.globl	_Z6kernelI14inclusive_scanILN6hipcub18BlockScanAlgorithmE1EEiLj64ELj8ELj100EEvPKT0_PS4_S4_
	.p2align	8
	.type	_Z6kernelI14inclusive_scanILN6hipcub18BlockScanAlgorithmE1EEiLj64ELj8ELj100EEvPKT0_PS4_S4_,@function
_Z6kernelI14inclusive_scanILN6hipcub18BlockScanAlgorithmE1EEiLj64ELj8ELj100EEvPKT0_PS4_S4_: ; @_Z6kernelI14inclusive_scanILN6hipcub18BlockScanAlgorithmE1EEiLj64ELj8ELj100EEvPKT0_PS4_S4_
; %bb.0:
	s_load_dword s0, s[4:5], 0x24
	s_load_dwordx4 s[12:15], s[4:5], 0x0
	v_mov_b32_e32 v9, 0
	v_cmp_eq_u32_e64 s[10:11], 63, v0
	s_movk_i32 s18, 0x64
	s_waitcnt lgkmcnt(0)
	s_and_b32 s0, s0, 0xffff
	s_mul_i32 s6, s6, s0
	v_add_lshl_u32 v8, s6, v0, 3
	v_lshlrev_b64 v[10:11], 2, v[8:9]
	v_mov_b32_e32 v1, s13
	v_add_co_u32_e32 v12, vcc, s12, v10
	v_addc_co_u32_e32 v13, vcc, v1, v11, vcc
	global_load_dwordx4 v[5:8], v[12:13], off
	global_load_dwordx4 v[1:4], v[12:13], off offset:16
	v_mbcnt_lo_u32_b32 v12, -1, 0
	v_mbcnt_hi_u32_b32 v12, -1, v12
	v_and_b32_e32 v13, 15, v12
	v_cmp_eq_u32_e32 vcc, 0, v13
	v_cmp_lt_u32_e64 s[0:1], 1, v13
	v_cmp_lt_u32_e64 s[2:3], 3, v13
	;; [unrolled: 1-line block ×3, first 2 shown]
	v_and_b32_e32 v13, 16, v12
	v_cmp_eq_u32_e64 s[6:7], 0, v13
	v_add_u32_e32 v13, -1, v12
	v_and_b32_e32 v14, 64, v12
	v_cmp_lt_i32_e64 s[12:13], v13, v14
	v_cmp_lt_u32_e64 s[8:9], 31, v12
	v_cndmask_b32_e64 v12, v13, v12, s[12:13]
	v_lshlrev_b32_e32 v12, 2, v12
	v_cmp_eq_u32_e64 s[12:13], 0, v0
	s_branch .LBB3_2
.LBB3_1:                                ;   in Loop: Header=BB3_2 Depth=1
	s_or_b64 exec, exec, s[16:17]
	ds_bpermute_b32 v0, v12, v0
	s_add_i32 s18, s18, -1
	s_cmp_lg_u32 s18, 0
	s_waitcnt lgkmcnt(0)
	; wave barrier
	v_cndmask_b32_e64 v0, v0, 0, s[12:13]
	v_add_u32_e32 v5, v0, v5
	v_add_u32_e32 v6, v5, v6
	v_add_u32_e32 v7, v6, v7
	v_add_u32_e32 v8, v7, v8
	v_add_u32_e32 v1, v8, v1
	v_add_u32_e32 v2, v1, v2
	v_add_u32_e32 v3, v2, v3
	v_add_u32_e32 v4, v3, v4
	s_cbranch_scc0 .LBB3_4
.LBB3_2:                                ; =>This Inner Loop Header: Depth=1
	s_waitcnt vmcnt(1)
	v_add_u32_e32 v0, v6, v5
	v_add3_u32 v0, v0, v7, v8
	s_waitcnt vmcnt(0)
	v_add3_u32 v0, v0, v1, v2
	v_add3_u32 v0, v0, v3, v4
	s_nop 1
	v_mov_b32_dpp v13, v0 row_shr:1 row_mask:0xf bank_mask:0xf
	v_cndmask_b32_e64 v13, v13, 0, vcc
	v_add_u32_e32 v0, v0, v13
	s_nop 1
	v_mov_b32_dpp v13, v0 row_shr:2 row_mask:0xf bank_mask:0xf
	v_cndmask_b32_e64 v13, 0, v13, s[0:1]
	v_add_u32_e32 v0, v0, v13
	s_nop 1
	v_mov_b32_dpp v13, v0 row_shr:4 row_mask:0xf bank_mask:0xf
	v_cndmask_b32_e64 v13, 0, v13, s[2:3]
	v_add_u32_e32 v0, v0, v13
	s_nop 1
	v_mov_b32_dpp v13, v0 row_shr:8 row_mask:0xf bank_mask:0xf
	v_cndmask_b32_e64 v13, 0, v13, s[4:5]
	v_add_u32_e32 v0, v0, v13
	s_nop 1
	v_mov_b32_dpp v13, v0 row_bcast:15 row_mask:0xf bank_mask:0xf
	v_cndmask_b32_e64 v13, v13, 0, s[6:7]
	v_add_u32_e32 v0, v0, v13
	s_nop 1
	v_mov_b32_dpp v13, v0 row_bcast:31 row_mask:0xf bank_mask:0xf
	v_cndmask_b32_e64 v13, 0, v13, s[8:9]
	v_add_u32_e32 v0, v0, v13
	s_and_saveexec_b64 s[16:17], s[10:11]
	s_cbranch_execz .LBB3_1
; %bb.3:                                ;   in Loop: Header=BB3_2 Depth=1
	ds_write_b32 v9, v0
	s_branch .LBB3_1
.LBB3_4:
	v_mov_b32_e32 v0, s15
	v_add_co_u32_e32 v9, vcc, s14, v10
	v_addc_co_u32_e32 v10, vcc, v0, v11, vcc
	global_store_dwordx4 v[9:10], v[5:8], off
	global_store_dwordx4 v[9:10], v[1:4], off offset:16
	s_endpgm
	.section	.rodata,"a",@progbits
	.p2align	6, 0x0
	.amdhsa_kernel _Z6kernelI14inclusive_scanILN6hipcub18BlockScanAlgorithmE1EEiLj64ELj8ELj100EEvPKT0_PS4_S4_
		.amdhsa_group_segment_fixed_size 4
		.amdhsa_private_segment_fixed_size 0
		.amdhsa_kernarg_size 280
		.amdhsa_user_sgpr_count 6
		.amdhsa_user_sgpr_private_segment_buffer 1
		.amdhsa_user_sgpr_dispatch_ptr 0
		.amdhsa_user_sgpr_queue_ptr 0
		.amdhsa_user_sgpr_kernarg_segment_ptr 1
		.amdhsa_user_sgpr_dispatch_id 0
		.amdhsa_user_sgpr_flat_scratch_init 0
		.amdhsa_user_sgpr_private_segment_size 0
		.amdhsa_uses_dynamic_stack 0
		.amdhsa_system_sgpr_private_segment_wavefront_offset 0
		.amdhsa_system_sgpr_workgroup_id_x 1
		.amdhsa_system_sgpr_workgroup_id_y 0
		.amdhsa_system_sgpr_workgroup_id_z 0
		.amdhsa_system_sgpr_workgroup_info 0
		.amdhsa_system_vgpr_workitem_id 0
		.amdhsa_next_free_vgpr 15
		.amdhsa_next_free_sgpr 19
		.amdhsa_reserve_vcc 1
		.amdhsa_reserve_flat_scratch 0
		.amdhsa_float_round_mode_32 0
		.amdhsa_float_round_mode_16_64 0
		.amdhsa_float_denorm_mode_32 3
		.amdhsa_float_denorm_mode_16_64 3
		.amdhsa_dx10_clamp 1
		.amdhsa_ieee_mode 1
		.amdhsa_fp16_overflow 0
		.amdhsa_exception_fp_ieee_invalid_op 0
		.amdhsa_exception_fp_denorm_src 0
		.amdhsa_exception_fp_ieee_div_zero 0
		.amdhsa_exception_fp_ieee_overflow 0
		.amdhsa_exception_fp_ieee_underflow 0
		.amdhsa_exception_fp_ieee_inexact 0
		.amdhsa_exception_int_div_zero 0
	.end_amdhsa_kernel
	.section	.text._Z6kernelI14inclusive_scanILN6hipcub18BlockScanAlgorithmE1EEiLj64ELj8ELj100EEvPKT0_PS4_S4_,"axG",@progbits,_Z6kernelI14inclusive_scanILN6hipcub18BlockScanAlgorithmE1EEiLj64ELj8ELj100EEvPKT0_PS4_S4_,comdat
.Lfunc_end3:
	.size	_Z6kernelI14inclusive_scanILN6hipcub18BlockScanAlgorithmE1EEiLj64ELj8ELj100EEvPKT0_PS4_S4_, .Lfunc_end3-_Z6kernelI14inclusive_scanILN6hipcub18BlockScanAlgorithmE1EEiLj64ELj8ELj100EEvPKT0_PS4_S4_
                                        ; -- End function
	.set _Z6kernelI14inclusive_scanILN6hipcub18BlockScanAlgorithmE1EEiLj64ELj8ELj100EEvPKT0_PS4_S4_.num_vgpr, 15
	.set _Z6kernelI14inclusive_scanILN6hipcub18BlockScanAlgorithmE1EEiLj64ELj8ELj100EEvPKT0_PS4_S4_.num_agpr, 0
	.set _Z6kernelI14inclusive_scanILN6hipcub18BlockScanAlgorithmE1EEiLj64ELj8ELj100EEvPKT0_PS4_S4_.numbered_sgpr, 19
	.set _Z6kernelI14inclusive_scanILN6hipcub18BlockScanAlgorithmE1EEiLj64ELj8ELj100EEvPKT0_PS4_S4_.num_named_barrier, 0
	.set _Z6kernelI14inclusive_scanILN6hipcub18BlockScanAlgorithmE1EEiLj64ELj8ELj100EEvPKT0_PS4_S4_.private_seg_size, 0
	.set _Z6kernelI14inclusive_scanILN6hipcub18BlockScanAlgorithmE1EEiLj64ELj8ELj100EEvPKT0_PS4_S4_.uses_vcc, 1
	.set _Z6kernelI14inclusive_scanILN6hipcub18BlockScanAlgorithmE1EEiLj64ELj8ELj100EEvPKT0_PS4_S4_.uses_flat_scratch, 0
	.set _Z6kernelI14inclusive_scanILN6hipcub18BlockScanAlgorithmE1EEiLj64ELj8ELj100EEvPKT0_PS4_S4_.has_dyn_sized_stack, 0
	.set _Z6kernelI14inclusive_scanILN6hipcub18BlockScanAlgorithmE1EEiLj64ELj8ELj100EEvPKT0_PS4_S4_.has_recursion, 0
	.set _Z6kernelI14inclusive_scanILN6hipcub18BlockScanAlgorithmE1EEiLj64ELj8ELj100EEvPKT0_PS4_S4_.has_indirect_call, 0
	.section	.AMDGPU.csdata,"",@progbits
; Kernel info:
; codeLenInByte = 500
; TotalNumSgprs: 23
; NumVgprs: 15
; ScratchSize: 0
; MemoryBound: 0
; FloatMode: 240
; IeeeMode: 1
; LDSByteSize: 4 bytes/workgroup (compile time only)
; SGPRBlocks: 2
; VGPRBlocks: 3
; NumSGPRsForWavesPerEU: 23
; NumVGPRsForWavesPerEU: 15
; Occupancy: 10
; WaveLimiterHint : 0
; COMPUTE_PGM_RSRC2:SCRATCH_EN: 0
; COMPUTE_PGM_RSRC2:USER_SGPR: 6
; COMPUTE_PGM_RSRC2:TRAP_HANDLER: 0
; COMPUTE_PGM_RSRC2:TGID_X_EN: 1
; COMPUTE_PGM_RSRC2:TGID_Y_EN: 0
; COMPUTE_PGM_RSRC2:TGID_Z_EN: 0
; COMPUTE_PGM_RSRC2:TIDIG_COMP_CNT: 0
	.section	.text._Z6kernelI14inclusive_scanILN6hipcub18BlockScanAlgorithmE1EEiLj64ELj11ELj100EEvPKT0_PS4_S4_,"axG",@progbits,_Z6kernelI14inclusive_scanILN6hipcub18BlockScanAlgorithmE1EEiLj64ELj11ELj100EEvPKT0_PS4_S4_,comdat
	.protected	_Z6kernelI14inclusive_scanILN6hipcub18BlockScanAlgorithmE1EEiLj64ELj11ELj100EEvPKT0_PS4_S4_ ; -- Begin function _Z6kernelI14inclusive_scanILN6hipcub18BlockScanAlgorithmE1EEiLj64ELj11ELj100EEvPKT0_PS4_S4_
	.globl	_Z6kernelI14inclusive_scanILN6hipcub18BlockScanAlgorithmE1EEiLj64ELj11ELj100EEvPKT0_PS4_S4_
	.p2align	8
	.type	_Z6kernelI14inclusive_scanILN6hipcub18BlockScanAlgorithmE1EEiLj64ELj11ELj100EEvPKT0_PS4_S4_,@function
_Z6kernelI14inclusive_scanILN6hipcub18BlockScanAlgorithmE1EEiLj64ELj11ELj100EEvPKT0_PS4_S4_: ; @_Z6kernelI14inclusive_scanILN6hipcub18BlockScanAlgorithmE1EEiLj64ELj11ELj100EEvPKT0_PS4_S4_
; %bb.0:
	s_load_dword s0, s[4:5], 0x24
	s_load_dwordx4 s[12:15], s[4:5], 0x0
	v_mov_b32_e32 v2, 0
	v_mov_b32_e32 v8, v2
	;; [unrolled: 1-line block ×3, first 2 shown]
	s_waitcnt lgkmcnt(0)
	s_and_b32 s0, s0, 0xffff
	s_mul_i32 s6, s6, s0
	v_add_u32_e32 v1, s6, v0
	v_mul_lo_u32 v1, v1, 11
	v_mov_b32_e32 v6, s13
	v_mov_b32_e32 v7, s13
	;; [unrolled: 1-line block ×3, first 2 shown]
	v_lshlrev_b64 v[3:4], 2, v[1:2]
	v_add_u32_e32 v5, 1, v1
	v_add_co_u32_e32 v19, vcc, s12, v3
	v_addc_co_u32_e32 v20, vcc, v6, v4, vcc
	v_mov_b32_e32 v6, v2
	v_lshlrev_b64 v[5:6], 2, v[5:6]
	v_mov_b32_e32 v11, s13
	v_add_co_u32_e32 v21, vcc, s12, v5
	v_addc_co_u32_e32 v22, vcc, v7, v6, vcc
	v_add_u32_e32 v7, 2, v1
	v_lshlrev_b64 v[7:8], 2, v[7:8]
	v_mov_b32_e32 v12, v2
	v_add_co_u32_e32 v23, vcc, s12, v7
	v_addc_co_u32_e32 v24, vcc, v9, v8, vcc
	v_add_u32_e32 v9, 3, v1
	;; [unrolled: 5-line block ×5, first 2 shown]
	v_mov_b32_e32 v16, v2
	v_lshlrev_b64 v[15:16], 2, v[15:16]
	v_mov_b32_e32 v17, s13
	v_add_co_u32_e32 v39, vcc, s12, v15
	v_addc_co_u32_e32 v40, vcc, v17, v16, vcc
	v_add_u32_e32 v17, 7, v1
	v_mov_b32_e32 v18, v2
	v_lshlrev_b64 v[17:18], 2, v[17:18]
	v_mov_b32_e32 v27, s13
	v_add_co_u32_e32 v41, vcc, s12, v17
	v_addc_co_u32_e32 v42, vcc, v27, v18, vcc
	global_load_dword v34, v[19:20], off
	global_load_dword v33, v[21:22], off
	;; [unrolled: 1-line block ×5, first 2 shown]
                                        ; kill: killed $vgpr25 killed $vgpr26
                                        ; kill: killed $vgpr21 killed $vgpr22
                                        ; kill: killed $vgpr23 killed $vgpr24
                                        ; kill: killed $vgpr35 killed $vgpr36
                                        ; kill: killed $vgpr19 killed $vgpr20
	global_load_dword v27, v[37:38], off
	s_nop 0
	global_load_dword v26, v[39:40], off
	global_load_dword v25, v[41:42], off
	v_add_u32_e32 v19, 8, v1
	v_mov_b32_e32 v20, v2
	v_lshlrev_b64 v[19:20], 2, v[19:20]
	v_mov_b32_e32 v21, s13
	v_add_co_u32_e32 v35, vcc, s12, v19
	v_addc_co_u32_e32 v36, vcc, v21, v20, vcc
	v_add_u32_e32 v21, 9, v1
	v_mov_b32_e32 v22, v2
	v_lshlrev_b64 v[21:22], 2, v[21:22]
	v_mov_b32_e32 v23, s13
	v_add_co_u32_e32 v37, vcc, s12, v21
	v_add_u32_e32 v1, 10, v1
	v_addc_co_u32_e32 v38, vcc, v23, v22, vcc
	v_lshlrev_b64 v[23:24], 2, v[1:2]
	v_mov_b32_e32 v30, s13
	v_add_co_u32_e32 v39, vcc, s12, v23
	v_addc_co_u32_e32 v40, vcc, v30, v24, vcc
	global_load_dword v32, v[35:36], off
	global_load_dword v30, v[37:38], off
                                        ; kill: killed $vgpr37 killed $vgpr38
                                        ; kill: killed $vgpr35 killed $vgpr36
	global_load_dword v1, v[39:40], off
	v_mbcnt_lo_u32_b32 v35, -1, 0
	v_mbcnt_hi_u32_b32 v35, -1, v35
	v_and_b32_e32 v36, 15, v35
	v_cmp_eq_u32_e32 vcc, 0, v36
	v_cmp_lt_u32_e64 s[0:1], 1, v36
	v_cmp_lt_u32_e64 s[2:3], 3, v36
	;; [unrolled: 1-line block ×3, first 2 shown]
	v_and_b32_e32 v36, 16, v35
	v_cmp_eq_u32_e64 s[6:7], 0, v36
	v_add_u32_e32 v36, -1, v35
	v_and_b32_e32 v37, 64, v35
	v_cmp_lt_i32_e64 s[10:11], v36, v37
	v_cmp_lt_u32_e64 s[8:9], 31, v35
	v_cndmask_b32_e64 v35, v36, v35, s[10:11]
	v_cmp_eq_u32_e64 s[10:11], 63, v0
	v_cmp_eq_u32_e64 s[12:13], 0, v0
	v_lshlrev_b32_e32 v0, 2, v35
	s_movk_i32 s18, 0x64
	s_branch .LBB4_2
.LBB4_1:                                ;   in Loop: Header=BB4_2 Depth=1
	s_or_b64 exec, exec, s[16:17]
	ds_bpermute_b32 v35, v0, v35
	s_add_i32 s18, s18, -1
	s_cmp_lg_u32 s18, 0
	s_waitcnt lgkmcnt(0)
	; wave barrier
	v_cndmask_b32_e64 v35, v35, 0, s[12:13]
	v_add_u32_e32 v34, v35, v34
	v_add_u32_e32 v33, v34, v33
	;; [unrolled: 1-line block ×11, first 2 shown]
	s_cbranch_scc0 .LBB4_4
.LBB4_2:                                ; =>This Inner Loop Header: Depth=1
	s_waitcnt vmcnt(0)
	v_add3_u32 v35, v30, v1, v32
	v_add3_u32 v35, v35, v25, v26
	;; [unrolled: 1-line block ×5, first 2 shown]
	s_nop 1
	v_mov_b32_dpp v36, v35 row_shr:1 row_mask:0xf bank_mask:0xf
	v_cndmask_b32_e64 v36, v36, 0, vcc
	v_add_u32_e32 v35, v35, v36
	s_nop 1
	v_mov_b32_dpp v36, v35 row_shr:2 row_mask:0xf bank_mask:0xf
	v_cndmask_b32_e64 v36, 0, v36, s[0:1]
	v_add_u32_e32 v35, v35, v36
	s_nop 1
	v_mov_b32_dpp v36, v35 row_shr:4 row_mask:0xf bank_mask:0xf
	v_cndmask_b32_e64 v36, 0, v36, s[2:3]
	;; [unrolled: 4-line block ×3, first 2 shown]
	v_add_u32_e32 v35, v35, v36
	s_nop 1
	v_mov_b32_dpp v36, v35 row_bcast:15 row_mask:0xf bank_mask:0xf
	v_cndmask_b32_e64 v36, v36, 0, s[6:7]
	v_add_u32_e32 v35, v35, v36
	s_nop 1
	v_mov_b32_dpp v36, v35 row_bcast:31 row_mask:0xf bank_mask:0xf
	v_cndmask_b32_e64 v36, 0, v36, s[8:9]
	v_add_u32_e32 v35, v35, v36
	s_and_saveexec_b64 s[16:17], s[10:11]
	s_cbranch_execz .LBB4_1
; %bb.3:                                ;   in Loop: Header=BB4_2 Depth=1
	ds_write_b32 v2, v35
	s_branch .LBB4_1
.LBB4_4:
	v_mov_b32_e32 v0, s15
	v_add_co_u32_e32 v2, vcc, s14, v3
	v_addc_co_u32_e32 v3, vcc, v0, v4, vcc
	global_store_dword v[2:3], v34, off
	v_add_co_u32_e32 v2, vcc, s14, v5
	v_addc_co_u32_e32 v3, vcc, v0, v6, vcc
	global_store_dword v[2:3], v33, off
	;; [unrolled: 3-line block ×11, first 2 shown]
	s_endpgm
	.section	.rodata,"a",@progbits
	.p2align	6, 0x0
	.amdhsa_kernel _Z6kernelI14inclusive_scanILN6hipcub18BlockScanAlgorithmE1EEiLj64ELj11ELj100EEvPKT0_PS4_S4_
		.amdhsa_group_segment_fixed_size 4
		.amdhsa_private_segment_fixed_size 0
		.amdhsa_kernarg_size 280
		.amdhsa_user_sgpr_count 6
		.amdhsa_user_sgpr_private_segment_buffer 1
		.amdhsa_user_sgpr_dispatch_ptr 0
		.amdhsa_user_sgpr_queue_ptr 0
		.amdhsa_user_sgpr_kernarg_segment_ptr 1
		.amdhsa_user_sgpr_dispatch_id 0
		.amdhsa_user_sgpr_flat_scratch_init 0
		.amdhsa_user_sgpr_private_segment_size 0
		.amdhsa_uses_dynamic_stack 0
		.amdhsa_system_sgpr_private_segment_wavefront_offset 0
		.amdhsa_system_sgpr_workgroup_id_x 1
		.amdhsa_system_sgpr_workgroup_id_y 0
		.amdhsa_system_sgpr_workgroup_id_z 0
		.amdhsa_system_sgpr_workgroup_info 0
		.amdhsa_system_vgpr_workitem_id 0
		.amdhsa_next_free_vgpr 43
		.amdhsa_next_free_sgpr 19
		.amdhsa_reserve_vcc 1
		.amdhsa_reserve_flat_scratch 0
		.amdhsa_float_round_mode_32 0
		.amdhsa_float_round_mode_16_64 0
		.amdhsa_float_denorm_mode_32 3
		.amdhsa_float_denorm_mode_16_64 3
		.amdhsa_dx10_clamp 1
		.amdhsa_ieee_mode 1
		.amdhsa_fp16_overflow 0
		.amdhsa_exception_fp_ieee_invalid_op 0
		.amdhsa_exception_fp_denorm_src 0
		.amdhsa_exception_fp_ieee_div_zero 0
		.amdhsa_exception_fp_ieee_overflow 0
		.amdhsa_exception_fp_ieee_underflow 0
		.amdhsa_exception_fp_ieee_inexact 0
		.amdhsa_exception_int_div_zero 0
	.end_amdhsa_kernel
	.section	.text._Z6kernelI14inclusive_scanILN6hipcub18BlockScanAlgorithmE1EEiLj64ELj11ELj100EEvPKT0_PS4_S4_,"axG",@progbits,_Z6kernelI14inclusive_scanILN6hipcub18BlockScanAlgorithmE1EEiLj64ELj11ELj100EEvPKT0_PS4_S4_,comdat
.Lfunc_end4:
	.size	_Z6kernelI14inclusive_scanILN6hipcub18BlockScanAlgorithmE1EEiLj64ELj11ELj100EEvPKT0_PS4_S4_, .Lfunc_end4-_Z6kernelI14inclusive_scanILN6hipcub18BlockScanAlgorithmE1EEiLj64ELj11ELj100EEvPKT0_PS4_S4_
                                        ; -- End function
	.set _Z6kernelI14inclusive_scanILN6hipcub18BlockScanAlgorithmE1EEiLj64ELj11ELj100EEvPKT0_PS4_S4_.num_vgpr, 43
	.set _Z6kernelI14inclusive_scanILN6hipcub18BlockScanAlgorithmE1EEiLj64ELj11ELj100EEvPKT0_PS4_S4_.num_agpr, 0
	.set _Z6kernelI14inclusive_scanILN6hipcub18BlockScanAlgorithmE1EEiLj64ELj11ELj100EEvPKT0_PS4_S4_.numbered_sgpr, 19
	.set _Z6kernelI14inclusive_scanILN6hipcub18BlockScanAlgorithmE1EEiLj64ELj11ELj100EEvPKT0_PS4_S4_.num_named_barrier, 0
	.set _Z6kernelI14inclusive_scanILN6hipcub18BlockScanAlgorithmE1EEiLj64ELj11ELj100EEvPKT0_PS4_S4_.private_seg_size, 0
	.set _Z6kernelI14inclusive_scanILN6hipcub18BlockScanAlgorithmE1EEiLj64ELj11ELj100EEvPKT0_PS4_S4_.uses_vcc, 1
	.set _Z6kernelI14inclusive_scanILN6hipcub18BlockScanAlgorithmE1EEiLj64ELj11ELj100EEvPKT0_PS4_S4_.uses_flat_scratch, 0
	.set _Z6kernelI14inclusive_scanILN6hipcub18BlockScanAlgorithmE1EEiLj64ELj11ELj100EEvPKT0_PS4_S4_.has_dyn_sized_stack, 0
	.set _Z6kernelI14inclusive_scanILN6hipcub18BlockScanAlgorithmE1EEiLj64ELj11ELj100EEvPKT0_PS4_S4_.has_recursion, 0
	.set _Z6kernelI14inclusive_scanILN6hipcub18BlockScanAlgorithmE1EEiLj64ELj11ELj100EEvPKT0_PS4_S4_.has_indirect_call, 0
	.section	.AMDGPU.csdata,"",@progbits
; Kernel info:
; codeLenInByte = 1028
; TotalNumSgprs: 23
; NumVgprs: 43
; ScratchSize: 0
; MemoryBound: 0
; FloatMode: 240
; IeeeMode: 1
; LDSByteSize: 4 bytes/workgroup (compile time only)
; SGPRBlocks: 2
; VGPRBlocks: 10
; NumSGPRsForWavesPerEU: 23
; NumVGPRsForWavesPerEU: 43
; Occupancy: 5
; WaveLimiterHint : 0
; COMPUTE_PGM_RSRC2:SCRATCH_EN: 0
; COMPUTE_PGM_RSRC2:USER_SGPR: 6
; COMPUTE_PGM_RSRC2:TRAP_HANDLER: 0
; COMPUTE_PGM_RSRC2:TGID_X_EN: 1
; COMPUTE_PGM_RSRC2:TGID_Y_EN: 0
; COMPUTE_PGM_RSRC2:TGID_Z_EN: 0
; COMPUTE_PGM_RSRC2:TIDIG_COMP_CNT: 0
	.section	.text._Z6kernelI14inclusive_scanILN6hipcub18BlockScanAlgorithmE1EEiLj64ELj16ELj100EEvPKT0_PS4_S4_,"axG",@progbits,_Z6kernelI14inclusive_scanILN6hipcub18BlockScanAlgorithmE1EEiLj64ELj16ELj100EEvPKT0_PS4_S4_,comdat
	.protected	_Z6kernelI14inclusive_scanILN6hipcub18BlockScanAlgorithmE1EEiLj64ELj16ELj100EEvPKT0_PS4_S4_ ; -- Begin function _Z6kernelI14inclusive_scanILN6hipcub18BlockScanAlgorithmE1EEiLj64ELj16ELj100EEvPKT0_PS4_S4_
	.globl	_Z6kernelI14inclusive_scanILN6hipcub18BlockScanAlgorithmE1EEiLj64ELj16ELj100EEvPKT0_PS4_S4_
	.p2align	8
	.type	_Z6kernelI14inclusive_scanILN6hipcub18BlockScanAlgorithmE1EEiLj64ELj16ELj100EEvPKT0_PS4_S4_,@function
_Z6kernelI14inclusive_scanILN6hipcub18BlockScanAlgorithmE1EEiLj64ELj16ELj100EEvPKT0_PS4_S4_: ; @_Z6kernelI14inclusive_scanILN6hipcub18BlockScanAlgorithmE1EEiLj64ELj16ELj100EEvPKT0_PS4_S4_
; %bb.0:
	s_load_dword s0, s[4:5], 0x24
	s_load_dwordx4 s[12:15], s[4:5], 0x0
	v_mov_b32_e32 v17, 0
	v_mbcnt_lo_u32_b32 v9, -1, 0
	v_mbcnt_hi_u32_b32 v9, -1, v9
	s_waitcnt lgkmcnt(0)
	s_and_b32 s0, s0, 0xffff
	s_mul_i32 s6, s6, s0
	v_add_lshl_u32 v16, s6, v0, 4
	v_lshlrev_b64 v[18:19], 2, v[16:17]
	v_mov_b32_e32 v1, s13
	v_add_co_u32_e32 v21, vcc, s12, v18
	v_addc_co_u32_e32 v22, vcc, v1, v19, vcc
	v_and_b32_e32 v10, 15, v9
	v_cmp_eq_u32_e32 vcc, 0, v10
	v_cmp_lt_u32_e64 s[0:1], 1, v10
	v_cmp_lt_u32_e64 s[2:3], 3, v10
	;; [unrolled: 1-line block ×3, first 2 shown]
	v_and_b32_e32 v10, 16, v9
	v_cmp_eq_u32_e64 s[6:7], 0, v10
	v_add_u32_e32 v10, -1, v9
	v_and_b32_e32 v11, 64, v9
	v_cmp_lt_i32_e64 s[12:13], v10, v11
	v_cmp_lt_u32_e64 s[8:9], 31, v9
	v_cndmask_b32_e64 v9, v10, v9, s[12:13]
	global_load_dwordx4 v[5:8], v[21:22], off
	global_load_dwordx4 v[1:4], v[21:22], off offset:16
	v_lshlrev_b32_e32 v20, 2, v9
	global_load_dwordx4 v[13:16], v[21:22], off offset:32
	global_load_dwordx4 v[9:12], v[21:22], off offset:48
	v_cmp_eq_u32_e64 s[10:11], 63, v0
	v_cmp_eq_u32_e64 s[12:13], 0, v0
	s_movk_i32 s18, 0x64
	s_branch .LBB5_2
.LBB5_1:                                ;   in Loop: Header=BB5_2 Depth=1
	s_or_b64 exec, exec, s[16:17]
	ds_bpermute_b32 v0, v20, v0
	s_add_i32 s18, s18, -1
	s_cmp_lg_u32 s18, 0
	s_waitcnt lgkmcnt(0)
	; wave barrier
	v_cndmask_b32_e64 v0, v0, 0, s[12:13]
	v_add_u32_e32 v5, v0, v5
	v_add_u32_e32 v6, v5, v6
	;; [unrolled: 1-line block ×16, first 2 shown]
	s_cbranch_scc0 .LBB5_4
.LBB5_2:                                ; =>This Inner Loop Header: Depth=1
	s_waitcnt vmcnt(0)
	v_add_u32_e32 v0, v11, v12
	v_add3_u32 v0, v0, v10, v9
	v_add3_u32 v0, v0, v16, v15
	;; [unrolled: 1-line block ×7, first 2 shown]
	s_nop 1
	v_mov_b32_dpp v21, v0 row_shr:1 row_mask:0xf bank_mask:0xf
	v_cndmask_b32_e64 v21, v21, 0, vcc
	v_add_u32_e32 v0, v0, v21
	s_nop 1
	v_mov_b32_dpp v21, v0 row_shr:2 row_mask:0xf bank_mask:0xf
	v_cndmask_b32_e64 v21, 0, v21, s[0:1]
	v_add_u32_e32 v0, v0, v21
	s_nop 1
	v_mov_b32_dpp v21, v0 row_shr:4 row_mask:0xf bank_mask:0xf
	v_cndmask_b32_e64 v21, 0, v21, s[2:3]
	;; [unrolled: 4-line block ×3, first 2 shown]
	v_add_u32_e32 v0, v0, v21
	s_nop 1
	v_mov_b32_dpp v21, v0 row_bcast:15 row_mask:0xf bank_mask:0xf
	v_cndmask_b32_e64 v21, v21, 0, s[6:7]
	v_add_u32_e32 v0, v0, v21
	s_nop 1
	v_mov_b32_dpp v21, v0 row_bcast:31 row_mask:0xf bank_mask:0xf
	v_cndmask_b32_e64 v21, 0, v21, s[8:9]
	v_add_u32_e32 v0, v0, v21
	s_and_saveexec_b64 s[16:17], s[10:11]
	s_cbranch_execz .LBB5_1
; %bb.3:                                ;   in Loop: Header=BB5_2 Depth=1
	ds_write_b32 v17, v0
	s_branch .LBB5_1
.LBB5_4:
	v_mov_b32_e32 v0, s15
	v_add_co_u32_e32 v17, vcc, s14, v18
	v_addc_co_u32_e32 v18, vcc, v0, v19, vcc
	global_store_dwordx4 v[17:18], v[5:8], off
	global_store_dwordx4 v[17:18], v[1:4], off offset:16
	global_store_dwordx4 v[17:18], v[13:16], off offset:32
	;; [unrolled: 1-line block ×3, first 2 shown]
	s_endpgm
	.section	.rodata,"a",@progbits
	.p2align	6, 0x0
	.amdhsa_kernel _Z6kernelI14inclusive_scanILN6hipcub18BlockScanAlgorithmE1EEiLj64ELj16ELj100EEvPKT0_PS4_S4_
		.amdhsa_group_segment_fixed_size 4
		.amdhsa_private_segment_fixed_size 0
		.amdhsa_kernarg_size 280
		.amdhsa_user_sgpr_count 6
		.amdhsa_user_sgpr_private_segment_buffer 1
		.amdhsa_user_sgpr_dispatch_ptr 0
		.amdhsa_user_sgpr_queue_ptr 0
		.amdhsa_user_sgpr_kernarg_segment_ptr 1
		.amdhsa_user_sgpr_dispatch_id 0
		.amdhsa_user_sgpr_flat_scratch_init 0
		.amdhsa_user_sgpr_private_segment_size 0
		.amdhsa_uses_dynamic_stack 0
		.amdhsa_system_sgpr_private_segment_wavefront_offset 0
		.amdhsa_system_sgpr_workgroup_id_x 1
		.amdhsa_system_sgpr_workgroup_id_y 0
		.amdhsa_system_sgpr_workgroup_id_z 0
		.amdhsa_system_sgpr_workgroup_info 0
		.amdhsa_system_vgpr_workitem_id 0
		.amdhsa_next_free_vgpr 23
		.amdhsa_next_free_sgpr 19
		.amdhsa_reserve_vcc 1
		.amdhsa_reserve_flat_scratch 0
		.amdhsa_float_round_mode_32 0
		.amdhsa_float_round_mode_16_64 0
		.amdhsa_float_denorm_mode_32 3
		.amdhsa_float_denorm_mode_16_64 3
		.amdhsa_dx10_clamp 1
		.amdhsa_ieee_mode 1
		.amdhsa_fp16_overflow 0
		.amdhsa_exception_fp_ieee_invalid_op 0
		.amdhsa_exception_fp_denorm_src 0
		.amdhsa_exception_fp_ieee_div_zero 0
		.amdhsa_exception_fp_ieee_overflow 0
		.amdhsa_exception_fp_ieee_underflow 0
		.amdhsa_exception_fp_ieee_inexact 0
		.amdhsa_exception_int_div_zero 0
	.end_amdhsa_kernel
	.section	.text._Z6kernelI14inclusive_scanILN6hipcub18BlockScanAlgorithmE1EEiLj64ELj16ELj100EEvPKT0_PS4_S4_,"axG",@progbits,_Z6kernelI14inclusive_scanILN6hipcub18BlockScanAlgorithmE1EEiLj64ELj16ELj100EEvPKT0_PS4_S4_,comdat
.Lfunc_end5:
	.size	_Z6kernelI14inclusive_scanILN6hipcub18BlockScanAlgorithmE1EEiLj64ELj16ELj100EEvPKT0_PS4_S4_, .Lfunc_end5-_Z6kernelI14inclusive_scanILN6hipcub18BlockScanAlgorithmE1EEiLj64ELj16ELj100EEvPKT0_PS4_S4_
                                        ; -- End function
	.set _Z6kernelI14inclusive_scanILN6hipcub18BlockScanAlgorithmE1EEiLj64ELj16ELj100EEvPKT0_PS4_S4_.num_vgpr, 23
	.set _Z6kernelI14inclusive_scanILN6hipcub18BlockScanAlgorithmE1EEiLj64ELj16ELj100EEvPKT0_PS4_S4_.num_agpr, 0
	.set _Z6kernelI14inclusive_scanILN6hipcub18BlockScanAlgorithmE1EEiLj64ELj16ELj100EEvPKT0_PS4_S4_.numbered_sgpr, 19
	.set _Z6kernelI14inclusive_scanILN6hipcub18BlockScanAlgorithmE1EEiLj64ELj16ELj100EEvPKT0_PS4_S4_.num_named_barrier, 0
	.set _Z6kernelI14inclusive_scanILN6hipcub18BlockScanAlgorithmE1EEiLj64ELj16ELj100EEvPKT0_PS4_S4_.private_seg_size, 0
	.set _Z6kernelI14inclusive_scanILN6hipcub18BlockScanAlgorithmE1EEiLj64ELj16ELj100EEvPKT0_PS4_S4_.uses_vcc, 1
	.set _Z6kernelI14inclusive_scanILN6hipcub18BlockScanAlgorithmE1EEiLj64ELj16ELj100EEvPKT0_PS4_S4_.uses_flat_scratch, 0
	.set _Z6kernelI14inclusive_scanILN6hipcub18BlockScanAlgorithmE1EEiLj64ELj16ELj100EEvPKT0_PS4_S4_.has_dyn_sized_stack, 0
	.set _Z6kernelI14inclusive_scanILN6hipcub18BlockScanAlgorithmE1EEiLj64ELj16ELj100EEvPKT0_PS4_S4_.has_recursion, 0
	.set _Z6kernelI14inclusive_scanILN6hipcub18BlockScanAlgorithmE1EEiLj64ELj16ELj100EEvPKT0_PS4_S4_.has_indirect_call, 0
	.section	.AMDGPU.csdata,"",@progbits
; Kernel info:
; codeLenInByte = 592
; TotalNumSgprs: 23
; NumVgprs: 23
; ScratchSize: 0
; MemoryBound: 0
; FloatMode: 240
; IeeeMode: 1
; LDSByteSize: 4 bytes/workgroup (compile time only)
; SGPRBlocks: 2
; VGPRBlocks: 5
; NumSGPRsForWavesPerEU: 23
; NumVGPRsForWavesPerEU: 23
; Occupancy: 10
; WaveLimiterHint : 0
; COMPUTE_PGM_RSRC2:SCRATCH_EN: 0
; COMPUTE_PGM_RSRC2:USER_SGPR: 6
; COMPUTE_PGM_RSRC2:TRAP_HANDLER: 0
; COMPUTE_PGM_RSRC2:TGID_X_EN: 1
; COMPUTE_PGM_RSRC2:TGID_Y_EN: 0
; COMPUTE_PGM_RSRC2:TGID_Z_EN: 0
; COMPUTE_PGM_RSRC2:TIDIG_COMP_CNT: 0
	.section	.text._Z6kernelI14inclusive_scanILN6hipcub18BlockScanAlgorithmE1EEfLj64ELj1ELj100EEvPKT0_PS4_S4_,"axG",@progbits,_Z6kernelI14inclusive_scanILN6hipcub18BlockScanAlgorithmE1EEfLj64ELj1ELj100EEvPKT0_PS4_S4_,comdat
	.protected	_Z6kernelI14inclusive_scanILN6hipcub18BlockScanAlgorithmE1EEfLj64ELj1ELj100EEvPKT0_PS4_S4_ ; -- Begin function _Z6kernelI14inclusive_scanILN6hipcub18BlockScanAlgorithmE1EEfLj64ELj1ELj100EEvPKT0_PS4_S4_
	.globl	_Z6kernelI14inclusive_scanILN6hipcub18BlockScanAlgorithmE1EEfLj64ELj1ELj100EEvPKT0_PS4_S4_
	.p2align	8
	.type	_Z6kernelI14inclusive_scanILN6hipcub18BlockScanAlgorithmE1EEfLj64ELj1ELj100EEvPKT0_PS4_S4_,@function
_Z6kernelI14inclusive_scanILN6hipcub18BlockScanAlgorithmE1EEfLj64ELj1ELj100EEvPKT0_PS4_S4_: ; @_Z6kernelI14inclusive_scanILN6hipcub18BlockScanAlgorithmE1EEfLj64ELj1ELj100EEvPKT0_PS4_S4_
; %bb.0:
	s_load_dword s0, s[4:5], 0x24
	s_load_dwordx4 s[12:15], s[4:5], 0x0
	v_mov_b32_e32 v2, 0
	v_cmp_eq_u32_e64 s[10:11], 63, v0
	s_movk_i32 s16, 0x64
	s_waitcnt lgkmcnt(0)
	s_and_b32 s0, s0, 0xffff
	s_mul_i32 s6, s6, s0
	v_add_u32_e32 v1, s6, v0
	v_lshlrev_b64 v[3:4], 2, v[1:2]
	v_mov_b32_e32 v1, s13
	v_add_co_u32_e32 v5, vcc, s12, v3
	v_addc_co_u32_e32 v6, vcc, v1, v4, vcc
	global_load_dword v1, v[5:6], off
	v_mbcnt_lo_u32_b32 v5, -1, 0
	v_mbcnt_hi_u32_b32 v5, -1, v5
	v_and_b32_e32 v6, 15, v5
	v_cmp_eq_u32_e32 vcc, 0, v6
	v_cmp_lt_u32_e64 s[0:1], 1, v6
	v_cmp_lt_u32_e64 s[2:3], 3, v6
	;; [unrolled: 1-line block ×3, first 2 shown]
	v_and_b32_e32 v6, 16, v5
	v_cmp_eq_u32_e64 s[6:7], 0, v6
	v_cmp_lt_u32_e64 s[8:9], 31, v5
	s_branch .LBB6_2
.LBB6_1:                                ;   in Loop: Header=BB6_2 Depth=1
	s_or_b64 exec, exec, s[12:13]
	s_add_i32 s16, s16, -1
	s_cmp_lg_u32 s16, 0
	s_waitcnt lgkmcnt(0)
	; wave barrier
	s_cbranch_scc0 .LBB6_4
.LBB6_2:                                ; =>This Inner Loop Header: Depth=1
	s_waitcnt vmcnt(0)
	v_mov_b32_dpp v0, v1 row_shr:1 row_mask:0xf bank_mask:0xf
	v_add_f32_e32 v0, v1, v0
	v_cndmask_b32_e32 v0, v0, v1, vcc
	s_nop 1
	v_mov_b32_dpp v1, v0 row_shr:2 row_mask:0xf bank_mask:0xf
	v_add_f32_e32 v1, v0, v1
	v_cndmask_b32_e64 v0, v0, v1, s[0:1]
	s_nop 1
	v_mov_b32_dpp v1, v0 row_shr:4 row_mask:0xf bank_mask:0xf
	v_add_f32_e32 v1, v0, v1
	v_cndmask_b32_e64 v0, v0, v1, s[2:3]
	;; [unrolled: 4-line block ×3, first 2 shown]
	s_nop 1
	v_mov_b32_dpp v1, v0 row_bcast:15 row_mask:0xf bank_mask:0xf
	v_add_f32_e32 v1, v0, v1
	v_cndmask_b32_e64 v0, v1, v0, s[6:7]
	s_nop 1
	v_mov_b32_dpp v1, v0 row_bcast:31 row_mask:0xf bank_mask:0xf
	v_add_f32_e32 v1, v0, v1
	v_cndmask_b32_e64 v1, v0, v1, s[8:9]
	s_and_saveexec_b64 s[12:13], s[10:11]
	s_cbranch_execz .LBB6_1
; %bb.3:                                ;   in Loop: Header=BB6_2 Depth=1
	ds_write_b32 v2, v1
	s_branch .LBB6_1
.LBB6_4:
	v_mov_b32_e32 v0, s15
	v_add_co_u32_e32 v2, vcc, s14, v3
	v_addc_co_u32_e32 v3, vcc, v0, v4, vcc
	global_store_dword v[2:3], v1, off
	s_endpgm
	.section	.rodata,"a",@progbits
	.p2align	6, 0x0
	.amdhsa_kernel _Z6kernelI14inclusive_scanILN6hipcub18BlockScanAlgorithmE1EEfLj64ELj1ELj100EEvPKT0_PS4_S4_
		.amdhsa_group_segment_fixed_size 4
		.amdhsa_private_segment_fixed_size 0
		.amdhsa_kernarg_size 280
		.amdhsa_user_sgpr_count 6
		.amdhsa_user_sgpr_private_segment_buffer 1
		.amdhsa_user_sgpr_dispatch_ptr 0
		.amdhsa_user_sgpr_queue_ptr 0
		.amdhsa_user_sgpr_kernarg_segment_ptr 1
		.amdhsa_user_sgpr_dispatch_id 0
		.amdhsa_user_sgpr_flat_scratch_init 0
		.amdhsa_user_sgpr_private_segment_size 0
		.amdhsa_uses_dynamic_stack 0
		.amdhsa_system_sgpr_private_segment_wavefront_offset 0
		.amdhsa_system_sgpr_workgroup_id_x 1
		.amdhsa_system_sgpr_workgroup_id_y 0
		.amdhsa_system_sgpr_workgroup_id_z 0
		.amdhsa_system_sgpr_workgroup_info 0
		.amdhsa_system_vgpr_workitem_id 0
		.amdhsa_next_free_vgpr 7
		.amdhsa_next_free_sgpr 17
		.amdhsa_reserve_vcc 1
		.amdhsa_reserve_flat_scratch 0
		.amdhsa_float_round_mode_32 0
		.amdhsa_float_round_mode_16_64 0
		.amdhsa_float_denorm_mode_32 3
		.amdhsa_float_denorm_mode_16_64 3
		.amdhsa_dx10_clamp 1
		.amdhsa_ieee_mode 1
		.amdhsa_fp16_overflow 0
		.amdhsa_exception_fp_ieee_invalid_op 0
		.amdhsa_exception_fp_denorm_src 0
		.amdhsa_exception_fp_ieee_div_zero 0
		.amdhsa_exception_fp_ieee_overflow 0
		.amdhsa_exception_fp_ieee_underflow 0
		.amdhsa_exception_fp_ieee_inexact 0
		.amdhsa_exception_int_div_zero 0
	.end_amdhsa_kernel
	.section	.text._Z6kernelI14inclusive_scanILN6hipcub18BlockScanAlgorithmE1EEfLj64ELj1ELj100EEvPKT0_PS4_S4_,"axG",@progbits,_Z6kernelI14inclusive_scanILN6hipcub18BlockScanAlgorithmE1EEfLj64ELj1ELj100EEvPKT0_PS4_S4_,comdat
.Lfunc_end6:
	.size	_Z6kernelI14inclusive_scanILN6hipcub18BlockScanAlgorithmE1EEfLj64ELj1ELj100EEvPKT0_PS4_S4_, .Lfunc_end6-_Z6kernelI14inclusive_scanILN6hipcub18BlockScanAlgorithmE1EEfLj64ELj1ELj100EEvPKT0_PS4_S4_
                                        ; -- End function
	.set _Z6kernelI14inclusive_scanILN6hipcub18BlockScanAlgorithmE1EEfLj64ELj1ELj100EEvPKT0_PS4_S4_.num_vgpr, 7
	.set _Z6kernelI14inclusive_scanILN6hipcub18BlockScanAlgorithmE1EEfLj64ELj1ELj100EEvPKT0_PS4_S4_.num_agpr, 0
	.set _Z6kernelI14inclusive_scanILN6hipcub18BlockScanAlgorithmE1EEfLj64ELj1ELj100EEvPKT0_PS4_S4_.numbered_sgpr, 17
	.set _Z6kernelI14inclusive_scanILN6hipcub18BlockScanAlgorithmE1EEfLj64ELj1ELj100EEvPKT0_PS4_S4_.num_named_barrier, 0
	.set _Z6kernelI14inclusive_scanILN6hipcub18BlockScanAlgorithmE1EEfLj64ELj1ELj100EEvPKT0_PS4_S4_.private_seg_size, 0
	.set _Z6kernelI14inclusive_scanILN6hipcub18BlockScanAlgorithmE1EEfLj64ELj1ELj100EEvPKT0_PS4_S4_.uses_vcc, 1
	.set _Z6kernelI14inclusive_scanILN6hipcub18BlockScanAlgorithmE1EEfLj64ELj1ELj100EEvPKT0_PS4_S4_.uses_flat_scratch, 0
	.set _Z6kernelI14inclusive_scanILN6hipcub18BlockScanAlgorithmE1EEfLj64ELj1ELj100EEvPKT0_PS4_S4_.has_dyn_sized_stack, 0
	.set _Z6kernelI14inclusive_scanILN6hipcub18BlockScanAlgorithmE1EEfLj64ELj1ELj100EEvPKT0_PS4_S4_.has_recursion, 0
	.set _Z6kernelI14inclusive_scanILN6hipcub18BlockScanAlgorithmE1EEfLj64ELj1ELj100EEvPKT0_PS4_S4_.has_indirect_call, 0
	.section	.AMDGPU.csdata,"",@progbits
; Kernel info:
; codeLenInByte = 356
; TotalNumSgprs: 21
; NumVgprs: 7
; ScratchSize: 0
; MemoryBound: 0
; FloatMode: 240
; IeeeMode: 1
; LDSByteSize: 4 bytes/workgroup (compile time only)
; SGPRBlocks: 2
; VGPRBlocks: 1
; NumSGPRsForWavesPerEU: 21
; NumVGPRsForWavesPerEU: 7
; Occupancy: 10
; WaveLimiterHint : 0
; COMPUTE_PGM_RSRC2:SCRATCH_EN: 0
; COMPUTE_PGM_RSRC2:USER_SGPR: 6
; COMPUTE_PGM_RSRC2:TRAP_HANDLER: 0
; COMPUTE_PGM_RSRC2:TGID_X_EN: 1
; COMPUTE_PGM_RSRC2:TGID_Y_EN: 0
; COMPUTE_PGM_RSRC2:TGID_Z_EN: 0
; COMPUTE_PGM_RSRC2:TIDIG_COMP_CNT: 0
	.section	.text._Z6kernelI14inclusive_scanILN6hipcub18BlockScanAlgorithmE1EEfLj64ELj3ELj100EEvPKT0_PS4_S4_,"axG",@progbits,_Z6kernelI14inclusive_scanILN6hipcub18BlockScanAlgorithmE1EEfLj64ELj3ELj100EEvPKT0_PS4_S4_,comdat
	.protected	_Z6kernelI14inclusive_scanILN6hipcub18BlockScanAlgorithmE1EEfLj64ELj3ELj100EEvPKT0_PS4_S4_ ; -- Begin function _Z6kernelI14inclusive_scanILN6hipcub18BlockScanAlgorithmE1EEfLj64ELj3ELj100EEvPKT0_PS4_S4_
	.globl	_Z6kernelI14inclusive_scanILN6hipcub18BlockScanAlgorithmE1EEfLj64ELj3ELj100EEvPKT0_PS4_S4_
	.p2align	8
	.type	_Z6kernelI14inclusive_scanILN6hipcub18BlockScanAlgorithmE1EEfLj64ELj3ELj100EEvPKT0_PS4_S4_,@function
_Z6kernelI14inclusive_scanILN6hipcub18BlockScanAlgorithmE1EEfLj64ELj3ELj100EEvPKT0_PS4_S4_: ; @_Z6kernelI14inclusive_scanILN6hipcub18BlockScanAlgorithmE1EEfLj64ELj3ELj100EEvPKT0_PS4_S4_
; %bb.0:
	s_load_dword s0, s[4:5], 0x24
	s_load_dwordx4 s[12:15], s[4:5], 0x0
	v_mov_b32_e32 v2, 0
	v_mov_b32_e32 v6, v2
	v_cmp_eq_u32_e64 s[10:11], 63, v0
	s_waitcnt lgkmcnt(0)
	s_and_b32 s0, s0, 0xffff
	s_mul_i32 s6, s6, s0
	v_add_u32_e32 v1, s6, v0
	v_lshl_add_u32 v1, v1, 1, v1
	v_lshlrev_b64 v[3:4], 2, v[1:2]
	v_mov_b32_e32 v5, s13
	v_add_co_u32_e32 v11, vcc, s12, v3
	v_addc_co_u32_e32 v12, vcc, v5, v4, vcc
	v_add_u32_e32 v5, 1, v1
	v_lshlrev_b64 v[5:6], 2, v[5:6]
	v_mov_b32_e32 v7, s13
	v_add_co_u32_e32 v13, vcc, s12, v5
	v_add_u32_e32 v1, 2, v1
	v_addc_co_u32_e32 v14, vcc, v7, v6, vcc
	v_lshlrev_b64 v[7:8], 2, v[1:2]
	v_mov_b32_e32 v1, s13
	v_add_co_u32_e32 v15, vcc, s12, v7
	v_addc_co_u32_e32 v16, vcc, v1, v8, vcc
	global_load_dword v10, v[11:12], off
	global_load_dword v9, v[13:14], off
	;; [unrolled: 1-line block ×3, first 2 shown]
	v_mbcnt_lo_u32_b32 v11, -1, 0
	v_mbcnt_hi_u32_b32 v11, -1, v11
	v_and_b32_e32 v12, 15, v11
	v_cmp_eq_u32_e32 vcc, 0, v12
	v_cmp_lt_u32_e64 s[0:1], 1, v12
	v_cmp_lt_u32_e64 s[2:3], 3, v12
	;; [unrolled: 1-line block ×3, first 2 shown]
	v_and_b32_e32 v12, 16, v11
	v_cmp_eq_u32_e64 s[6:7], 0, v12
	v_add_u32_e32 v12, -1, v11
	v_and_b32_e32 v13, 64, v11
	v_cmp_lt_i32_e64 s[12:13], v12, v13
	v_cmp_lt_u32_e64 s[8:9], 31, v11
	v_cndmask_b32_e64 v11, v12, v11, s[12:13]
	v_lshlrev_b32_e32 v11, 2, v11
	v_cmp_eq_u32_e64 s[12:13], 0, v0
	s_movk_i32 s18, 0x64
	s_branch .LBB7_2
.LBB7_1:                                ;   in Loop: Header=BB7_2 Depth=1
	s_or_b64 exec, exec, s[16:17]
	ds_bpermute_b32 v0, v11, v0
	s_add_i32 s18, s18, -1
	s_cmp_lg_u32 s18, 0
	s_waitcnt lgkmcnt(0)
	; wave barrier
	v_add_f32_e32 v0, v10, v0
	v_cndmask_b32_e64 v10, v0, v10, s[12:13]
	v_add_f32_e32 v9, v9, v10
	v_add_f32_e32 v1, v1, v9
	s_cbranch_scc0 .LBB7_4
.LBB7_2:                                ; =>This Inner Loop Header: Depth=1
	s_waitcnt vmcnt(1)
	v_add_f32_e32 v0, v10, v9
	s_waitcnt vmcnt(0)
	v_add_f32_e32 v0, v1, v0
	s_nop 1
	v_mov_b32_dpp v12, v0 row_shr:1 row_mask:0xf bank_mask:0xf
	v_add_f32_e32 v12, v0, v12
	v_cndmask_b32_e32 v0, v12, v0, vcc
	s_nop 1
	v_mov_b32_dpp v12, v0 row_shr:2 row_mask:0xf bank_mask:0xf
	v_add_f32_e32 v12, v0, v12
	v_cndmask_b32_e64 v0, v0, v12, s[0:1]
	s_nop 1
	v_mov_b32_dpp v12, v0 row_shr:4 row_mask:0xf bank_mask:0xf
	v_add_f32_e32 v12, v0, v12
	v_cndmask_b32_e64 v0, v0, v12, s[2:3]
	;; [unrolled: 4-line block ×3, first 2 shown]
	s_nop 1
	v_mov_b32_dpp v12, v0 row_bcast:15 row_mask:0xf bank_mask:0xf
	v_add_f32_e32 v12, v0, v12
	v_cndmask_b32_e64 v0, v12, v0, s[6:7]
	s_nop 1
	v_mov_b32_dpp v12, v0 row_bcast:31 row_mask:0xf bank_mask:0xf
	v_add_f32_e32 v12, v0, v12
	v_cndmask_b32_e64 v0, v0, v12, s[8:9]
	s_and_saveexec_b64 s[16:17], s[10:11]
	s_cbranch_execz .LBB7_1
; %bb.3:                                ;   in Loop: Header=BB7_2 Depth=1
	ds_write_b32 v2, v0
	s_branch .LBB7_1
.LBB7_4:
	v_mov_b32_e32 v0, s15
	v_add_co_u32_e32 v2, vcc, s14, v3
	v_addc_co_u32_e32 v3, vcc, v0, v4, vcc
	global_store_dword v[2:3], v10, off
	v_add_co_u32_e32 v2, vcc, s14, v5
	v_addc_co_u32_e32 v3, vcc, v0, v6, vcc
	global_store_dword v[2:3], v9, off
	;; [unrolled: 3-line block ×3, first 2 shown]
	s_endpgm
	.section	.rodata,"a",@progbits
	.p2align	6, 0x0
	.amdhsa_kernel _Z6kernelI14inclusive_scanILN6hipcub18BlockScanAlgorithmE1EEfLj64ELj3ELj100EEvPKT0_PS4_S4_
		.amdhsa_group_segment_fixed_size 4
		.amdhsa_private_segment_fixed_size 0
		.amdhsa_kernarg_size 280
		.amdhsa_user_sgpr_count 6
		.amdhsa_user_sgpr_private_segment_buffer 1
		.amdhsa_user_sgpr_dispatch_ptr 0
		.amdhsa_user_sgpr_queue_ptr 0
		.amdhsa_user_sgpr_kernarg_segment_ptr 1
		.amdhsa_user_sgpr_dispatch_id 0
		.amdhsa_user_sgpr_flat_scratch_init 0
		.amdhsa_user_sgpr_private_segment_size 0
		.amdhsa_uses_dynamic_stack 0
		.amdhsa_system_sgpr_private_segment_wavefront_offset 0
		.amdhsa_system_sgpr_workgroup_id_x 1
		.amdhsa_system_sgpr_workgroup_id_y 0
		.amdhsa_system_sgpr_workgroup_id_z 0
		.amdhsa_system_sgpr_workgroup_info 0
		.amdhsa_system_vgpr_workitem_id 0
		.amdhsa_next_free_vgpr 17
		.amdhsa_next_free_sgpr 19
		.amdhsa_reserve_vcc 1
		.amdhsa_reserve_flat_scratch 0
		.amdhsa_float_round_mode_32 0
		.amdhsa_float_round_mode_16_64 0
		.amdhsa_float_denorm_mode_32 3
		.amdhsa_float_denorm_mode_16_64 3
		.amdhsa_dx10_clamp 1
		.amdhsa_ieee_mode 1
		.amdhsa_fp16_overflow 0
		.amdhsa_exception_fp_ieee_invalid_op 0
		.amdhsa_exception_fp_denorm_src 0
		.amdhsa_exception_fp_ieee_div_zero 0
		.amdhsa_exception_fp_ieee_overflow 0
		.amdhsa_exception_fp_ieee_underflow 0
		.amdhsa_exception_fp_ieee_inexact 0
		.amdhsa_exception_int_div_zero 0
	.end_amdhsa_kernel
	.section	.text._Z6kernelI14inclusive_scanILN6hipcub18BlockScanAlgorithmE1EEfLj64ELj3ELj100EEvPKT0_PS4_S4_,"axG",@progbits,_Z6kernelI14inclusive_scanILN6hipcub18BlockScanAlgorithmE1EEfLj64ELj3ELj100EEvPKT0_PS4_S4_,comdat
.Lfunc_end7:
	.size	_Z6kernelI14inclusive_scanILN6hipcub18BlockScanAlgorithmE1EEfLj64ELj3ELj100EEvPKT0_PS4_S4_, .Lfunc_end7-_Z6kernelI14inclusive_scanILN6hipcub18BlockScanAlgorithmE1EEfLj64ELj3ELj100EEvPKT0_PS4_S4_
                                        ; -- End function
	.set _Z6kernelI14inclusive_scanILN6hipcub18BlockScanAlgorithmE1EEfLj64ELj3ELj100EEvPKT0_PS4_S4_.num_vgpr, 17
	.set _Z6kernelI14inclusive_scanILN6hipcub18BlockScanAlgorithmE1EEfLj64ELj3ELj100EEvPKT0_PS4_S4_.num_agpr, 0
	.set _Z6kernelI14inclusive_scanILN6hipcub18BlockScanAlgorithmE1EEfLj64ELj3ELj100EEvPKT0_PS4_S4_.numbered_sgpr, 19
	.set _Z6kernelI14inclusive_scanILN6hipcub18BlockScanAlgorithmE1EEfLj64ELj3ELj100EEvPKT0_PS4_S4_.num_named_barrier, 0
	.set _Z6kernelI14inclusive_scanILN6hipcub18BlockScanAlgorithmE1EEfLj64ELj3ELj100EEvPKT0_PS4_S4_.private_seg_size, 0
	.set _Z6kernelI14inclusive_scanILN6hipcub18BlockScanAlgorithmE1EEfLj64ELj3ELj100EEvPKT0_PS4_S4_.uses_vcc, 1
	.set _Z6kernelI14inclusive_scanILN6hipcub18BlockScanAlgorithmE1EEfLj64ELj3ELj100EEvPKT0_PS4_S4_.uses_flat_scratch, 0
	.set _Z6kernelI14inclusive_scanILN6hipcub18BlockScanAlgorithmE1EEfLj64ELj3ELj100EEvPKT0_PS4_S4_.has_dyn_sized_stack, 0
	.set _Z6kernelI14inclusive_scanILN6hipcub18BlockScanAlgorithmE1EEfLj64ELj3ELj100EEvPKT0_PS4_S4_.has_recursion, 0
	.set _Z6kernelI14inclusive_scanILN6hipcub18BlockScanAlgorithmE1EEfLj64ELj3ELj100EEvPKT0_PS4_S4_.has_indirect_call, 0
	.section	.AMDGPU.csdata,"",@progbits
; Kernel info:
; codeLenInByte = 544
; TotalNumSgprs: 23
; NumVgprs: 17
; ScratchSize: 0
; MemoryBound: 0
; FloatMode: 240
; IeeeMode: 1
; LDSByteSize: 4 bytes/workgroup (compile time only)
; SGPRBlocks: 2
; VGPRBlocks: 4
; NumSGPRsForWavesPerEU: 23
; NumVGPRsForWavesPerEU: 17
; Occupancy: 10
; WaveLimiterHint : 0
; COMPUTE_PGM_RSRC2:SCRATCH_EN: 0
; COMPUTE_PGM_RSRC2:USER_SGPR: 6
; COMPUTE_PGM_RSRC2:TRAP_HANDLER: 0
; COMPUTE_PGM_RSRC2:TGID_X_EN: 1
; COMPUTE_PGM_RSRC2:TGID_Y_EN: 0
; COMPUTE_PGM_RSRC2:TGID_Z_EN: 0
; COMPUTE_PGM_RSRC2:TIDIG_COMP_CNT: 0
	.section	.text._Z6kernelI14inclusive_scanILN6hipcub18BlockScanAlgorithmE1EEfLj64ELj4ELj100EEvPKT0_PS4_S4_,"axG",@progbits,_Z6kernelI14inclusive_scanILN6hipcub18BlockScanAlgorithmE1EEfLj64ELj4ELj100EEvPKT0_PS4_S4_,comdat
	.protected	_Z6kernelI14inclusive_scanILN6hipcub18BlockScanAlgorithmE1EEfLj64ELj4ELj100EEvPKT0_PS4_S4_ ; -- Begin function _Z6kernelI14inclusive_scanILN6hipcub18BlockScanAlgorithmE1EEfLj64ELj4ELj100EEvPKT0_PS4_S4_
	.globl	_Z6kernelI14inclusive_scanILN6hipcub18BlockScanAlgorithmE1EEfLj64ELj4ELj100EEvPKT0_PS4_S4_
	.p2align	8
	.type	_Z6kernelI14inclusive_scanILN6hipcub18BlockScanAlgorithmE1EEfLj64ELj4ELj100EEvPKT0_PS4_S4_,@function
_Z6kernelI14inclusive_scanILN6hipcub18BlockScanAlgorithmE1EEfLj64ELj4ELj100EEvPKT0_PS4_S4_: ; @_Z6kernelI14inclusive_scanILN6hipcub18BlockScanAlgorithmE1EEfLj64ELj4ELj100EEvPKT0_PS4_S4_
; %bb.0:
	s_load_dword s0, s[4:5], 0x24
	s_load_dwordx4 s[12:15], s[4:5], 0x0
	v_mov_b32_e32 v5, 0
	v_mbcnt_lo_u32_b32 v8, -1, 0
	v_mbcnt_hi_u32_b32 v8, -1, v8
	s_waitcnt lgkmcnt(0)
	s_and_b32 s0, s0, 0xffff
	s_mul_i32 s6, s6, s0
	v_add_lshl_u32 v4, s6, v0, 2
	v_lshlrev_b64 v[6:7], 2, v[4:5]
	v_mov_b32_e32 v2, s13
	v_add_co_u32_e32 v1, vcc, s12, v6
	v_addc_co_u32_e32 v2, vcc, v2, v7, vcc
	global_load_dwordx4 v[1:4], v[1:2], off
	v_and_b32_e32 v9, 15, v8
	v_cmp_eq_u32_e32 vcc, 0, v9
	v_cmp_lt_u32_e64 s[0:1], 1, v9
	v_cmp_lt_u32_e64 s[2:3], 3, v9
	;; [unrolled: 1-line block ×3, first 2 shown]
	v_and_b32_e32 v9, 16, v8
	v_cmp_eq_u32_e64 s[6:7], 0, v9
	v_add_u32_e32 v9, -1, v8
	v_and_b32_e32 v10, 64, v8
	v_cmp_lt_i32_e64 s[12:13], v9, v10
	v_cmp_lt_u32_e64 s[8:9], 31, v8
	v_cndmask_b32_e64 v8, v9, v8, s[12:13]
	v_cmp_eq_u32_e64 s[10:11], 63, v0
	v_lshlrev_b32_e32 v8, 2, v8
	v_cmp_eq_u32_e64 s[12:13], 0, v0
	s_movk_i32 s18, 0x64
	s_branch .LBB8_2
.LBB8_1:                                ;   in Loop: Header=BB8_2 Depth=1
	s_or_b64 exec, exec, s[16:17]
	ds_bpermute_b32 v0, v8, v0
	s_add_i32 s18, s18, -1
	s_cmp_lg_u32 s18, 0
	s_waitcnt lgkmcnt(0)
	; wave barrier
	v_add_f32_e32 v0, v1, v0
	v_cndmask_b32_e64 v1, v0, v1, s[12:13]
	v_add_f32_e32 v2, v2, v1
	v_add_f32_e32 v3, v3, v2
	;; [unrolled: 1-line block ×3, first 2 shown]
	s_cbranch_scc0 .LBB8_4
.LBB8_2:                                ; =>This Inner Loop Header: Depth=1
	s_waitcnt vmcnt(0)
	v_add_f32_e32 v0, v1, v2
	v_add_f32_e32 v0, v3, v0
	;; [unrolled: 1-line block ×3, first 2 shown]
	s_nop 1
	v_mov_b32_dpp v9, v0 row_shr:1 row_mask:0xf bank_mask:0xf
	v_add_f32_e32 v9, v0, v9
	v_cndmask_b32_e32 v0, v9, v0, vcc
	s_nop 1
	v_mov_b32_dpp v9, v0 row_shr:2 row_mask:0xf bank_mask:0xf
	v_add_f32_e32 v9, v0, v9
	v_cndmask_b32_e64 v0, v0, v9, s[0:1]
	s_nop 1
	v_mov_b32_dpp v9, v0 row_shr:4 row_mask:0xf bank_mask:0xf
	v_add_f32_e32 v9, v0, v9
	v_cndmask_b32_e64 v0, v0, v9, s[2:3]
	;; [unrolled: 4-line block ×3, first 2 shown]
	s_nop 1
	v_mov_b32_dpp v9, v0 row_bcast:15 row_mask:0xf bank_mask:0xf
	v_add_f32_e32 v9, v0, v9
	v_cndmask_b32_e64 v0, v9, v0, s[6:7]
	s_nop 1
	v_mov_b32_dpp v9, v0 row_bcast:31 row_mask:0xf bank_mask:0xf
	v_add_f32_e32 v9, v0, v9
	v_cndmask_b32_e64 v0, v0, v9, s[8:9]
	s_and_saveexec_b64 s[16:17], s[10:11]
	s_cbranch_execz .LBB8_1
; %bb.3:                                ;   in Loop: Header=BB8_2 Depth=1
	ds_write_b32 v5, v0
	s_branch .LBB8_1
.LBB8_4:
	v_mov_b32_e32 v0, s15
	v_add_co_u32_e32 v5, vcc, s14, v6
	v_addc_co_u32_e32 v6, vcc, v0, v7, vcc
	global_store_dwordx4 v[5:6], v[1:4], off
	s_endpgm
	.section	.rodata,"a",@progbits
	.p2align	6, 0x0
	.amdhsa_kernel _Z6kernelI14inclusive_scanILN6hipcub18BlockScanAlgorithmE1EEfLj64ELj4ELj100EEvPKT0_PS4_S4_
		.amdhsa_group_segment_fixed_size 4
		.amdhsa_private_segment_fixed_size 0
		.amdhsa_kernarg_size 280
		.amdhsa_user_sgpr_count 6
		.amdhsa_user_sgpr_private_segment_buffer 1
		.amdhsa_user_sgpr_dispatch_ptr 0
		.amdhsa_user_sgpr_queue_ptr 0
		.amdhsa_user_sgpr_kernarg_segment_ptr 1
		.amdhsa_user_sgpr_dispatch_id 0
		.amdhsa_user_sgpr_flat_scratch_init 0
		.amdhsa_user_sgpr_private_segment_size 0
		.amdhsa_uses_dynamic_stack 0
		.amdhsa_system_sgpr_private_segment_wavefront_offset 0
		.amdhsa_system_sgpr_workgroup_id_x 1
		.amdhsa_system_sgpr_workgroup_id_y 0
		.amdhsa_system_sgpr_workgroup_id_z 0
		.amdhsa_system_sgpr_workgroup_info 0
		.amdhsa_system_vgpr_workitem_id 0
		.amdhsa_next_free_vgpr 11
		.amdhsa_next_free_sgpr 19
		.amdhsa_reserve_vcc 1
		.amdhsa_reserve_flat_scratch 0
		.amdhsa_float_round_mode_32 0
		.amdhsa_float_round_mode_16_64 0
		.amdhsa_float_denorm_mode_32 3
		.amdhsa_float_denorm_mode_16_64 3
		.amdhsa_dx10_clamp 1
		.amdhsa_ieee_mode 1
		.amdhsa_fp16_overflow 0
		.amdhsa_exception_fp_ieee_invalid_op 0
		.amdhsa_exception_fp_denorm_src 0
		.amdhsa_exception_fp_ieee_div_zero 0
		.amdhsa_exception_fp_ieee_overflow 0
		.amdhsa_exception_fp_ieee_underflow 0
		.amdhsa_exception_fp_ieee_inexact 0
		.amdhsa_exception_int_div_zero 0
	.end_amdhsa_kernel
	.section	.text._Z6kernelI14inclusive_scanILN6hipcub18BlockScanAlgorithmE1EEfLj64ELj4ELj100EEvPKT0_PS4_S4_,"axG",@progbits,_Z6kernelI14inclusive_scanILN6hipcub18BlockScanAlgorithmE1EEfLj64ELj4ELj100EEvPKT0_PS4_S4_,comdat
.Lfunc_end8:
	.size	_Z6kernelI14inclusive_scanILN6hipcub18BlockScanAlgorithmE1EEfLj64ELj4ELj100EEvPKT0_PS4_S4_, .Lfunc_end8-_Z6kernelI14inclusive_scanILN6hipcub18BlockScanAlgorithmE1EEfLj64ELj4ELj100EEvPKT0_PS4_S4_
                                        ; -- End function
	.set _Z6kernelI14inclusive_scanILN6hipcub18BlockScanAlgorithmE1EEfLj64ELj4ELj100EEvPKT0_PS4_S4_.num_vgpr, 11
	.set _Z6kernelI14inclusive_scanILN6hipcub18BlockScanAlgorithmE1EEfLj64ELj4ELj100EEvPKT0_PS4_S4_.num_agpr, 0
	.set _Z6kernelI14inclusive_scanILN6hipcub18BlockScanAlgorithmE1EEfLj64ELj4ELj100EEvPKT0_PS4_S4_.numbered_sgpr, 19
	.set _Z6kernelI14inclusive_scanILN6hipcub18BlockScanAlgorithmE1EEfLj64ELj4ELj100EEvPKT0_PS4_S4_.num_named_barrier, 0
	.set _Z6kernelI14inclusive_scanILN6hipcub18BlockScanAlgorithmE1EEfLj64ELj4ELj100EEvPKT0_PS4_S4_.private_seg_size, 0
	.set _Z6kernelI14inclusive_scanILN6hipcub18BlockScanAlgorithmE1EEfLj64ELj4ELj100EEvPKT0_PS4_S4_.uses_vcc, 1
	.set _Z6kernelI14inclusive_scanILN6hipcub18BlockScanAlgorithmE1EEfLj64ELj4ELj100EEvPKT0_PS4_S4_.uses_flat_scratch, 0
	.set _Z6kernelI14inclusive_scanILN6hipcub18BlockScanAlgorithmE1EEfLj64ELj4ELj100EEvPKT0_PS4_S4_.has_dyn_sized_stack, 0
	.set _Z6kernelI14inclusive_scanILN6hipcub18BlockScanAlgorithmE1EEfLj64ELj4ELj100EEvPKT0_PS4_S4_.has_recursion, 0
	.set _Z6kernelI14inclusive_scanILN6hipcub18BlockScanAlgorithmE1EEfLj64ELj4ELj100EEvPKT0_PS4_S4_.has_indirect_call, 0
	.section	.AMDGPU.csdata,"",@progbits
; Kernel info:
; codeLenInByte = 444
; TotalNumSgprs: 23
; NumVgprs: 11
; ScratchSize: 0
; MemoryBound: 0
; FloatMode: 240
; IeeeMode: 1
; LDSByteSize: 4 bytes/workgroup (compile time only)
; SGPRBlocks: 2
; VGPRBlocks: 2
; NumSGPRsForWavesPerEU: 23
; NumVGPRsForWavesPerEU: 11
; Occupancy: 10
; WaveLimiterHint : 0
; COMPUTE_PGM_RSRC2:SCRATCH_EN: 0
; COMPUTE_PGM_RSRC2:USER_SGPR: 6
; COMPUTE_PGM_RSRC2:TRAP_HANDLER: 0
; COMPUTE_PGM_RSRC2:TGID_X_EN: 1
; COMPUTE_PGM_RSRC2:TGID_Y_EN: 0
; COMPUTE_PGM_RSRC2:TGID_Z_EN: 0
; COMPUTE_PGM_RSRC2:TIDIG_COMP_CNT: 0
	.section	.text._Z6kernelI14inclusive_scanILN6hipcub18BlockScanAlgorithmE1EEfLj64ELj8ELj100EEvPKT0_PS4_S4_,"axG",@progbits,_Z6kernelI14inclusive_scanILN6hipcub18BlockScanAlgorithmE1EEfLj64ELj8ELj100EEvPKT0_PS4_S4_,comdat
	.protected	_Z6kernelI14inclusive_scanILN6hipcub18BlockScanAlgorithmE1EEfLj64ELj8ELj100EEvPKT0_PS4_S4_ ; -- Begin function _Z6kernelI14inclusive_scanILN6hipcub18BlockScanAlgorithmE1EEfLj64ELj8ELj100EEvPKT0_PS4_S4_
	.globl	_Z6kernelI14inclusive_scanILN6hipcub18BlockScanAlgorithmE1EEfLj64ELj8ELj100EEvPKT0_PS4_S4_
	.p2align	8
	.type	_Z6kernelI14inclusive_scanILN6hipcub18BlockScanAlgorithmE1EEfLj64ELj8ELj100EEvPKT0_PS4_S4_,@function
_Z6kernelI14inclusive_scanILN6hipcub18BlockScanAlgorithmE1EEfLj64ELj8ELj100EEvPKT0_PS4_S4_: ; @_Z6kernelI14inclusive_scanILN6hipcub18BlockScanAlgorithmE1EEfLj64ELj8ELj100EEvPKT0_PS4_S4_
; %bb.0:
	s_load_dword s0, s[4:5], 0x24
	s_load_dwordx4 s[12:15], s[4:5], 0x0
	v_mov_b32_e32 v9, 0
	v_cmp_eq_u32_e64 s[10:11], 63, v0
	s_movk_i32 s18, 0x64
	s_waitcnt lgkmcnt(0)
	s_and_b32 s0, s0, 0xffff
	s_mul_i32 s6, s6, s0
	v_add_lshl_u32 v8, s6, v0, 3
	v_lshlrev_b64 v[10:11], 2, v[8:9]
	v_mov_b32_e32 v1, s13
	v_add_co_u32_e32 v12, vcc, s12, v10
	v_addc_co_u32_e32 v13, vcc, v1, v11, vcc
	global_load_dwordx4 v[5:8], v[12:13], off
	global_load_dwordx4 v[1:4], v[12:13], off offset:16
	v_mbcnt_lo_u32_b32 v12, -1, 0
	v_mbcnt_hi_u32_b32 v12, -1, v12
	v_and_b32_e32 v13, 15, v12
	v_cmp_eq_u32_e32 vcc, 0, v13
	v_cmp_lt_u32_e64 s[0:1], 1, v13
	v_cmp_lt_u32_e64 s[2:3], 3, v13
	;; [unrolled: 1-line block ×3, first 2 shown]
	v_and_b32_e32 v13, 16, v12
	v_cmp_eq_u32_e64 s[6:7], 0, v13
	v_add_u32_e32 v13, -1, v12
	v_and_b32_e32 v14, 64, v12
	v_cmp_lt_i32_e64 s[12:13], v13, v14
	v_cmp_lt_u32_e64 s[8:9], 31, v12
	v_cndmask_b32_e64 v12, v13, v12, s[12:13]
	v_lshlrev_b32_e32 v12, 2, v12
	v_cmp_eq_u32_e64 s[12:13], 0, v0
	s_branch .LBB9_2
.LBB9_1:                                ;   in Loop: Header=BB9_2 Depth=1
	s_or_b64 exec, exec, s[16:17]
	ds_bpermute_b32 v0, v12, v0
	s_add_i32 s18, s18, -1
	s_cmp_lg_u32 s18, 0
	s_waitcnt lgkmcnt(0)
	; wave barrier
	v_add_f32_e32 v0, v5, v0
	v_cndmask_b32_e64 v5, v0, v5, s[12:13]
	v_add_f32_e32 v6, v6, v5
	v_add_f32_e32 v7, v7, v6
	;; [unrolled: 1-line block ×7, first 2 shown]
	s_cbranch_scc0 .LBB9_4
.LBB9_2:                                ; =>This Inner Loop Header: Depth=1
	s_waitcnt vmcnt(1)
	v_add_f32_e32 v0, v5, v6
	v_add_f32_e32 v0, v7, v0
	;; [unrolled: 1-line block ×3, first 2 shown]
	s_waitcnt vmcnt(0)
	v_add_f32_e32 v0, v1, v0
	v_add_f32_e32 v0, v2, v0
	;; [unrolled: 1-line block ×4, first 2 shown]
	s_nop 1
	v_mov_b32_dpp v13, v0 row_shr:1 row_mask:0xf bank_mask:0xf
	v_add_f32_e32 v13, v0, v13
	v_cndmask_b32_e32 v0, v13, v0, vcc
	s_nop 1
	v_mov_b32_dpp v13, v0 row_shr:2 row_mask:0xf bank_mask:0xf
	v_add_f32_e32 v13, v0, v13
	v_cndmask_b32_e64 v0, v0, v13, s[0:1]
	s_nop 1
	v_mov_b32_dpp v13, v0 row_shr:4 row_mask:0xf bank_mask:0xf
	v_add_f32_e32 v13, v0, v13
	v_cndmask_b32_e64 v0, v0, v13, s[2:3]
	;; [unrolled: 4-line block ×3, first 2 shown]
	s_nop 1
	v_mov_b32_dpp v13, v0 row_bcast:15 row_mask:0xf bank_mask:0xf
	v_add_f32_e32 v13, v0, v13
	v_cndmask_b32_e64 v0, v13, v0, s[6:7]
	s_nop 1
	v_mov_b32_dpp v13, v0 row_bcast:31 row_mask:0xf bank_mask:0xf
	v_add_f32_e32 v13, v0, v13
	v_cndmask_b32_e64 v0, v0, v13, s[8:9]
	s_and_saveexec_b64 s[16:17], s[10:11]
	s_cbranch_execz .LBB9_1
; %bb.3:                                ;   in Loop: Header=BB9_2 Depth=1
	ds_write_b32 v9, v0
	s_branch .LBB9_1
.LBB9_4:
	v_mov_b32_e32 v0, s15
	v_add_co_u32_e32 v9, vcc, s14, v10
	v_addc_co_u32_e32 v10, vcc, v0, v11, vcc
	global_store_dwordx4 v[9:10], v[5:8], off
	global_store_dwordx4 v[9:10], v[1:4], off offset:16
	s_endpgm
	.section	.rodata,"a",@progbits
	.p2align	6, 0x0
	.amdhsa_kernel _Z6kernelI14inclusive_scanILN6hipcub18BlockScanAlgorithmE1EEfLj64ELj8ELj100EEvPKT0_PS4_S4_
		.amdhsa_group_segment_fixed_size 4
		.amdhsa_private_segment_fixed_size 0
		.amdhsa_kernarg_size 280
		.amdhsa_user_sgpr_count 6
		.amdhsa_user_sgpr_private_segment_buffer 1
		.amdhsa_user_sgpr_dispatch_ptr 0
		.amdhsa_user_sgpr_queue_ptr 0
		.amdhsa_user_sgpr_kernarg_segment_ptr 1
		.amdhsa_user_sgpr_dispatch_id 0
		.amdhsa_user_sgpr_flat_scratch_init 0
		.amdhsa_user_sgpr_private_segment_size 0
		.amdhsa_uses_dynamic_stack 0
		.amdhsa_system_sgpr_private_segment_wavefront_offset 0
		.amdhsa_system_sgpr_workgroup_id_x 1
		.amdhsa_system_sgpr_workgroup_id_y 0
		.amdhsa_system_sgpr_workgroup_id_z 0
		.amdhsa_system_sgpr_workgroup_info 0
		.amdhsa_system_vgpr_workitem_id 0
		.amdhsa_next_free_vgpr 15
		.amdhsa_next_free_sgpr 19
		.amdhsa_reserve_vcc 1
		.amdhsa_reserve_flat_scratch 0
		.amdhsa_float_round_mode_32 0
		.amdhsa_float_round_mode_16_64 0
		.amdhsa_float_denorm_mode_32 3
		.amdhsa_float_denorm_mode_16_64 3
		.amdhsa_dx10_clamp 1
		.amdhsa_ieee_mode 1
		.amdhsa_fp16_overflow 0
		.amdhsa_exception_fp_ieee_invalid_op 0
		.amdhsa_exception_fp_denorm_src 0
		.amdhsa_exception_fp_ieee_div_zero 0
		.amdhsa_exception_fp_ieee_overflow 0
		.amdhsa_exception_fp_ieee_underflow 0
		.amdhsa_exception_fp_ieee_inexact 0
		.amdhsa_exception_int_div_zero 0
	.end_amdhsa_kernel
	.section	.text._Z6kernelI14inclusive_scanILN6hipcub18BlockScanAlgorithmE1EEfLj64ELj8ELj100EEvPKT0_PS4_S4_,"axG",@progbits,_Z6kernelI14inclusive_scanILN6hipcub18BlockScanAlgorithmE1EEfLj64ELj8ELj100EEvPKT0_PS4_S4_,comdat
.Lfunc_end9:
	.size	_Z6kernelI14inclusive_scanILN6hipcub18BlockScanAlgorithmE1EEfLj64ELj8ELj100EEvPKT0_PS4_S4_, .Lfunc_end9-_Z6kernelI14inclusive_scanILN6hipcub18BlockScanAlgorithmE1EEfLj64ELj8ELj100EEvPKT0_PS4_S4_
                                        ; -- End function
	.set _Z6kernelI14inclusive_scanILN6hipcub18BlockScanAlgorithmE1EEfLj64ELj8ELj100EEvPKT0_PS4_S4_.num_vgpr, 15
	.set _Z6kernelI14inclusive_scanILN6hipcub18BlockScanAlgorithmE1EEfLj64ELj8ELj100EEvPKT0_PS4_S4_.num_agpr, 0
	.set _Z6kernelI14inclusive_scanILN6hipcub18BlockScanAlgorithmE1EEfLj64ELj8ELj100EEvPKT0_PS4_S4_.numbered_sgpr, 19
	.set _Z6kernelI14inclusive_scanILN6hipcub18BlockScanAlgorithmE1EEfLj64ELj8ELj100EEvPKT0_PS4_S4_.num_named_barrier, 0
	.set _Z6kernelI14inclusive_scanILN6hipcub18BlockScanAlgorithmE1EEfLj64ELj8ELj100EEvPKT0_PS4_S4_.private_seg_size, 0
	.set _Z6kernelI14inclusive_scanILN6hipcub18BlockScanAlgorithmE1EEfLj64ELj8ELj100EEvPKT0_PS4_S4_.uses_vcc, 1
	.set _Z6kernelI14inclusive_scanILN6hipcub18BlockScanAlgorithmE1EEfLj64ELj8ELj100EEvPKT0_PS4_S4_.uses_flat_scratch, 0
	.set _Z6kernelI14inclusive_scanILN6hipcub18BlockScanAlgorithmE1EEfLj64ELj8ELj100EEvPKT0_PS4_S4_.has_dyn_sized_stack, 0
	.set _Z6kernelI14inclusive_scanILN6hipcub18BlockScanAlgorithmE1EEfLj64ELj8ELj100EEvPKT0_PS4_S4_.has_recursion, 0
	.set _Z6kernelI14inclusive_scanILN6hipcub18BlockScanAlgorithmE1EEfLj64ELj8ELj100EEvPKT0_PS4_S4_.has_indirect_call, 0
	.section	.AMDGPU.csdata,"",@progbits
; Kernel info:
; codeLenInByte = 496
; TotalNumSgprs: 23
; NumVgprs: 15
; ScratchSize: 0
; MemoryBound: 0
; FloatMode: 240
; IeeeMode: 1
; LDSByteSize: 4 bytes/workgroup (compile time only)
; SGPRBlocks: 2
; VGPRBlocks: 3
; NumSGPRsForWavesPerEU: 23
; NumVGPRsForWavesPerEU: 15
; Occupancy: 10
; WaveLimiterHint : 0
; COMPUTE_PGM_RSRC2:SCRATCH_EN: 0
; COMPUTE_PGM_RSRC2:USER_SGPR: 6
; COMPUTE_PGM_RSRC2:TRAP_HANDLER: 0
; COMPUTE_PGM_RSRC2:TGID_X_EN: 1
; COMPUTE_PGM_RSRC2:TGID_Y_EN: 0
; COMPUTE_PGM_RSRC2:TGID_Z_EN: 0
; COMPUTE_PGM_RSRC2:TIDIG_COMP_CNT: 0
	.section	.text._Z6kernelI14inclusive_scanILN6hipcub18BlockScanAlgorithmE1EEfLj64ELj11ELj100EEvPKT0_PS4_S4_,"axG",@progbits,_Z6kernelI14inclusive_scanILN6hipcub18BlockScanAlgorithmE1EEfLj64ELj11ELj100EEvPKT0_PS4_S4_,comdat
	.protected	_Z6kernelI14inclusive_scanILN6hipcub18BlockScanAlgorithmE1EEfLj64ELj11ELj100EEvPKT0_PS4_S4_ ; -- Begin function _Z6kernelI14inclusive_scanILN6hipcub18BlockScanAlgorithmE1EEfLj64ELj11ELj100EEvPKT0_PS4_S4_
	.globl	_Z6kernelI14inclusive_scanILN6hipcub18BlockScanAlgorithmE1EEfLj64ELj11ELj100EEvPKT0_PS4_S4_
	.p2align	8
	.type	_Z6kernelI14inclusive_scanILN6hipcub18BlockScanAlgorithmE1EEfLj64ELj11ELj100EEvPKT0_PS4_S4_,@function
_Z6kernelI14inclusive_scanILN6hipcub18BlockScanAlgorithmE1EEfLj64ELj11ELj100EEvPKT0_PS4_S4_: ; @_Z6kernelI14inclusive_scanILN6hipcub18BlockScanAlgorithmE1EEfLj64ELj11ELj100EEvPKT0_PS4_S4_
; %bb.0:
	s_load_dword s0, s[4:5], 0x24
	s_load_dwordx4 s[12:15], s[4:5], 0x0
	v_mov_b32_e32 v2, 0
	v_mov_b32_e32 v8, v2
	;; [unrolled: 1-line block ×3, first 2 shown]
	s_waitcnt lgkmcnt(0)
	s_and_b32 s0, s0, 0xffff
	s_mul_i32 s6, s6, s0
	v_add_u32_e32 v1, s6, v0
	v_mul_lo_u32 v1, v1, 11
	v_mov_b32_e32 v6, s13
	v_mov_b32_e32 v7, s13
	v_mov_b32_e32 v9, s13
	v_lshlrev_b64 v[3:4], 2, v[1:2]
	v_add_u32_e32 v5, 1, v1
	v_add_co_u32_e32 v19, vcc, s12, v3
	v_addc_co_u32_e32 v20, vcc, v6, v4, vcc
	v_mov_b32_e32 v6, v2
	v_lshlrev_b64 v[5:6], 2, v[5:6]
	v_mov_b32_e32 v11, s13
	v_add_co_u32_e32 v21, vcc, s12, v5
	v_addc_co_u32_e32 v22, vcc, v7, v6, vcc
	v_add_u32_e32 v7, 2, v1
	v_lshlrev_b64 v[7:8], 2, v[7:8]
	v_mov_b32_e32 v12, v2
	v_add_co_u32_e32 v23, vcc, s12, v7
	v_addc_co_u32_e32 v24, vcc, v9, v8, vcc
	v_add_u32_e32 v9, 3, v1
	;; [unrolled: 5-line block ×5, first 2 shown]
	v_mov_b32_e32 v16, v2
	v_lshlrev_b64 v[15:16], 2, v[15:16]
	v_mov_b32_e32 v17, s13
	v_add_co_u32_e32 v39, vcc, s12, v15
	v_addc_co_u32_e32 v40, vcc, v17, v16, vcc
	v_add_u32_e32 v17, 7, v1
	v_mov_b32_e32 v18, v2
	v_lshlrev_b64 v[17:18], 2, v[17:18]
	v_mov_b32_e32 v27, s13
	v_add_co_u32_e32 v41, vcc, s12, v17
	v_addc_co_u32_e32 v42, vcc, v27, v18, vcc
	global_load_dword v34, v[19:20], off
	global_load_dword v33, v[21:22], off
	;; [unrolled: 1-line block ×5, first 2 shown]
                                        ; kill: killed $vgpr25 killed $vgpr26
                                        ; kill: killed $vgpr21 killed $vgpr22
                                        ; kill: killed $vgpr23 killed $vgpr24
                                        ; kill: killed $vgpr35 killed $vgpr36
                                        ; kill: killed $vgpr19 killed $vgpr20
	global_load_dword v27, v[37:38], off
	s_nop 0
	global_load_dword v26, v[39:40], off
	global_load_dword v25, v[41:42], off
	v_add_u32_e32 v19, 8, v1
	v_mov_b32_e32 v20, v2
	v_lshlrev_b64 v[19:20], 2, v[19:20]
	v_mov_b32_e32 v21, s13
	v_add_co_u32_e32 v35, vcc, s12, v19
	v_addc_co_u32_e32 v36, vcc, v21, v20, vcc
	v_add_u32_e32 v21, 9, v1
	v_mov_b32_e32 v22, v2
	v_lshlrev_b64 v[21:22], 2, v[21:22]
	v_mov_b32_e32 v23, s13
	v_add_co_u32_e32 v37, vcc, s12, v21
	v_add_u32_e32 v1, 10, v1
	v_addc_co_u32_e32 v38, vcc, v23, v22, vcc
	v_lshlrev_b64 v[23:24], 2, v[1:2]
	v_mov_b32_e32 v30, s13
	v_add_co_u32_e32 v39, vcc, s12, v23
	v_addc_co_u32_e32 v40, vcc, v30, v24, vcc
	global_load_dword v32, v[35:36], off
	global_load_dword v30, v[37:38], off
                                        ; kill: killed $vgpr37 killed $vgpr38
                                        ; kill: killed $vgpr35 killed $vgpr36
	global_load_dword v1, v[39:40], off
	v_mbcnt_lo_u32_b32 v35, -1, 0
	v_mbcnt_hi_u32_b32 v35, -1, v35
	v_and_b32_e32 v36, 15, v35
	v_cmp_eq_u32_e32 vcc, 0, v36
	v_cmp_lt_u32_e64 s[0:1], 1, v36
	v_cmp_lt_u32_e64 s[2:3], 3, v36
	v_cmp_lt_u32_e64 s[4:5], 7, v36
	v_and_b32_e32 v36, 16, v35
	v_cmp_eq_u32_e64 s[6:7], 0, v36
	v_add_u32_e32 v36, -1, v35
	v_and_b32_e32 v37, 64, v35
	v_cmp_lt_i32_e64 s[10:11], v36, v37
	v_cmp_lt_u32_e64 s[8:9], 31, v35
	v_cndmask_b32_e64 v35, v36, v35, s[10:11]
	v_cmp_eq_u32_e64 s[10:11], 63, v0
	v_cmp_eq_u32_e64 s[12:13], 0, v0
	v_lshlrev_b32_e32 v0, 2, v35
	s_movk_i32 s18, 0x64
	s_branch .LBB10_2
.LBB10_1:                               ;   in Loop: Header=BB10_2 Depth=1
	s_or_b64 exec, exec, s[16:17]
	ds_bpermute_b32 v35, v0, v35
	s_add_i32 s18, s18, -1
	s_cmp_lg_u32 s18, 0
	s_waitcnt lgkmcnt(0)
	; wave barrier
	v_add_f32_e32 v35, v34, v35
	v_cndmask_b32_e64 v34, v35, v34, s[12:13]
	v_add_f32_e32 v33, v33, v34
	v_add_f32_e32 v31, v31, v33
	;; [unrolled: 1-line block ×10, first 2 shown]
	s_cbranch_scc0 .LBB10_4
.LBB10_2:                               ; =>This Inner Loop Header: Depth=1
	s_waitcnt vmcnt(9)
	v_add_f32_e32 v35, v33, v34
	s_waitcnt vmcnt(8)
	v_add_f32_e32 v35, v31, v35
	;; [unrolled: 2-line block ×10, first 2 shown]
	s_nop 1
	v_mov_b32_dpp v36, v35 row_shr:1 row_mask:0xf bank_mask:0xf
	v_add_f32_e32 v36, v35, v36
	v_cndmask_b32_e32 v35, v36, v35, vcc
	s_nop 1
	v_mov_b32_dpp v36, v35 row_shr:2 row_mask:0xf bank_mask:0xf
	v_add_f32_e32 v36, v35, v36
	v_cndmask_b32_e64 v35, v35, v36, s[0:1]
	s_nop 1
	v_mov_b32_dpp v36, v35 row_shr:4 row_mask:0xf bank_mask:0xf
	v_add_f32_e32 v36, v35, v36
	v_cndmask_b32_e64 v35, v35, v36, s[2:3]
	s_nop 1
	v_mov_b32_dpp v36, v35 row_shr:8 row_mask:0xf bank_mask:0xf
	v_add_f32_e32 v36, v35, v36
	v_cndmask_b32_e64 v35, v35, v36, s[4:5]
	s_nop 1
	v_mov_b32_dpp v36, v35 row_bcast:15 row_mask:0xf bank_mask:0xf
	v_add_f32_e32 v36, v35, v36
	v_cndmask_b32_e64 v35, v36, v35, s[6:7]
	s_nop 1
	v_mov_b32_dpp v36, v35 row_bcast:31 row_mask:0xf bank_mask:0xf
	v_add_f32_e32 v36, v35, v36
	v_cndmask_b32_e64 v35, v35, v36, s[8:9]
	s_and_saveexec_b64 s[16:17], s[10:11]
	s_cbranch_execz .LBB10_1
; %bb.3:                                ;   in Loop: Header=BB10_2 Depth=1
	ds_write_b32 v2, v35
	s_branch .LBB10_1
.LBB10_4:
	v_mov_b32_e32 v0, s15
	v_add_co_u32_e32 v2, vcc, s14, v3
	v_addc_co_u32_e32 v3, vcc, v0, v4, vcc
	global_store_dword v[2:3], v34, off
	v_add_co_u32_e32 v2, vcc, s14, v5
	v_addc_co_u32_e32 v3, vcc, v0, v6, vcc
	global_store_dword v[2:3], v33, off
	;; [unrolled: 3-line block ×11, first 2 shown]
	s_endpgm
	.section	.rodata,"a",@progbits
	.p2align	6, 0x0
	.amdhsa_kernel _Z6kernelI14inclusive_scanILN6hipcub18BlockScanAlgorithmE1EEfLj64ELj11ELj100EEvPKT0_PS4_S4_
		.amdhsa_group_segment_fixed_size 4
		.amdhsa_private_segment_fixed_size 0
		.amdhsa_kernarg_size 280
		.amdhsa_user_sgpr_count 6
		.amdhsa_user_sgpr_private_segment_buffer 1
		.amdhsa_user_sgpr_dispatch_ptr 0
		.amdhsa_user_sgpr_queue_ptr 0
		.amdhsa_user_sgpr_kernarg_segment_ptr 1
		.amdhsa_user_sgpr_dispatch_id 0
		.amdhsa_user_sgpr_flat_scratch_init 0
		.amdhsa_user_sgpr_private_segment_size 0
		.amdhsa_uses_dynamic_stack 0
		.amdhsa_system_sgpr_private_segment_wavefront_offset 0
		.amdhsa_system_sgpr_workgroup_id_x 1
		.amdhsa_system_sgpr_workgroup_id_y 0
		.amdhsa_system_sgpr_workgroup_id_z 0
		.amdhsa_system_sgpr_workgroup_info 0
		.amdhsa_system_vgpr_workitem_id 0
		.amdhsa_next_free_vgpr 43
		.amdhsa_next_free_sgpr 19
		.amdhsa_reserve_vcc 1
		.amdhsa_reserve_flat_scratch 0
		.amdhsa_float_round_mode_32 0
		.amdhsa_float_round_mode_16_64 0
		.amdhsa_float_denorm_mode_32 3
		.amdhsa_float_denorm_mode_16_64 3
		.amdhsa_dx10_clamp 1
		.amdhsa_ieee_mode 1
		.amdhsa_fp16_overflow 0
		.amdhsa_exception_fp_ieee_invalid_op 0
		.amdhsa_exception_fp_denorm_src 0
		.amdhsa_exception_fp_ieee_div_zero 0
		.amdhsa_exception_fp_ieee_overflow 0
		.amdhsa_exception_fp_ieee_underflow 0
		.amdhsa_exception_fp_ieee_inexact 0
		.amdhsa_exception_int_div_zero 0
	.end_amdhsa_kernel
	.section	.text._Z6kernelI14inclusive_scanILN6hipcub18BlockScanAlgorithmE1EEfLj64ELj11ELj100EEvPKT0_PS4_S4_,"axG",@progbits,_Z6kernelI14inclusive_scanILN6hipcub18BlockScanAlgorithmE1EEfLj64ELj11ELj100EEvPKT0_PS4_S4_,comdat
.Lfunc_end10:
	.size	_Z6kernelI14inclusive_scanILN6hipcub18BlockScanAlgorithmE1EEfLj64ELj11ELj100EEvPKT0_PS4_S4_, .Lfunc_end10-_Z6kernelI14inclusive_scanILN6hipcub18BlockScanAlgorithmE1EEfLj64ELj11ELj100EEvPKT0_PS4_S4_
                                        ; -- End function
	.set _Z6kernelI14inclusive_scanILN6hipcub18BlockScanAlgorithmE1EEfLj64ELj11ELj100EEvPKT0_PS4_S4_.num_vgpr, 43
	.set _Z6kernelI14inclusive_scanILN6hipcub18BlockScanAlgorithmE1EEfLj64ELj11ELj100EEvPKT0_PS4_S4_.num_agpr, 0
	.set _Z6kernelI14inclusive_scanILN6hipcub18BlockScanAlgorithmE1EEfLj64ELj11ELj100EEvPKT0_PS4_S4_.numbered_sgpr, 19
	.set _Z6kernelI14inclusive_scanILN6hipcub18BlockScanAlgorithmE1EEfLj64ELj11ELj100EEvPKT0_PS4_S4_.num_named_barrier, 0
	.set _Z6kernelI14inclusive_scanILN6hipcub18BlockScanAlgorithmE1EEfLj64ELj11ELj100EEvPKT0_PS4_S4_.private_seg_size, 0
	.set _Z6kernelI14inclusive_scanILN6hipcub18BlockScanAlgorithmE1EEfLj64ELj11ELj100EEvPKT0_PS4_S4_.uses_vcc, 1
	.set _Z6kernelI14inclusive_scanILN6hipcub18BlockScanAlgorithmE1EEfLj64ELj11ELj100EEvPKT0_PS4_S4_.uses_flat_scratch, 0
	.set _Z6kernelI14inclusive_scanILN6hipcub18BlockScanAlgorithmE1EEfLj64ELj11ELj100EEvPKT0_PS4_S4_.has_dyn_sized_stack, 0
	.set _Z6kernelI14inclusive_scanILN6hipcub18BlockScanAlgorithmE1EEfLj64ELj11ELj100EEvPKT0_PS4_S4_.has_recursion, 0
	.set _Z6kernelI14inclusive_scanILN6hipcub18BlockScanAlgorithmE1EEfLj64ELj11ELj100EEvPKT0_PS4_S4_.has_indirect_call, 0
	.section	.AMDGPU.csdata,"",@progbits
; Kernel info:
; codeLenInByte = 1060
; TotalNumSgprs: 23
; NumVgprs: 43
; ScratchSize: 0
; MemoryBound: 0
; FloatMode: 240
; IeeeMode: 1
; LDSByteSize: 4 bytes/workgroup (compile time only)
; SGPRBlocks: 2
; VGPRBlocks: 10
; NumSGPRsForWavesPerEU: 23
; NumVGPRsForWavesPerEU: 43
; Occupancy: 5
; WaveLimiterHint : 0
; COMPUTE_PGM_RSRC2:SCRATCH_EN: 0
; COMPUTE_PGM_RSRC2:USER_SGPR: 6
; COMPUTE_PGM_RSRC2:TRAP_HANDLER: 0
; COMPUTE_PGM_RSRC2:TGID_X_EN: 1
; COMPUTE_PGM_RSRC2:TGID_Y_EN: 0
; COMPUTE_PGM_RSRC2:TGID_Z_EN: 0
; COMPUTE_PGM_RSRC2:TIDIG_COMP_CNT: 0
	.section	.text._Z6kernelI14inclusive_scanILN6hipcub18BlockScanAlgorithmE1EEfLj64ELj16ELj100EEvPKT0_PS4_S4_,"axG",@progbits,_Z6kernelI14inclusive_scanILN6hipcub18BlockScanAlgorithmE1EEfLj64ELj16ELj100EEvPKT0_PS4_S4_,comdat
	.protected	_Z6kernelI14inclusive_scanILN6hipcub18BlockScanAlgorithmE1EEfLj64ELj16ELj100EEvPKT0_PS4_S4_ ; -- Begin function _Z6kernelI14inclusive_scanILN6hipcub18BlockScanAlgorithmE1EEfLj64ELj16ELj100EEvPKT0_PS4_S4_
	.globl	_Z6kernelI14inclusive_scanILN6hipcub18BlockScanAlgorithmE1EEfLj64ELj16ELj100EEvPKT0_PS4_S4_
	.p2align	8
	.type	_Z6kernelI14inclusive_scanILN6hipcub18BlockScanAlgorithmE1EEfLj64ELj16ELj100EEvPKT0_PS4_S4_,@function
_Z6kernelI14inclusive_scanILN6hipcub18BlockScanAlgorithmE1EEfLj64ELj16ELj100EEvPKT0_PS4_S4_: ; @_Z6kernelI14inclusive_scanILN6hipcub18BlockScanAlgorithmE1EEfLj64ELj16ELj100EEvPKT0_PS4_S4_
; %bb.0:
	s_load_dword s0, s[4:5], 0x24
	s_load_dwordx4 s[12:15], s[4:5], 0x0
	v_mov_b32_e32 v17, 0
	v_mbcnt_lo_u32_b32 v9, -1, 0
	v_mbcnt_hi_u32_b32 v9, -1, v9
	s_waitcnt lgkmcnt(0)
	s_and_b32 s0, s0, 0xffff
	s_mul_i32 s6, s6, s0
	v_add_lshl_u32 v16, s6, v0, 4
	v_lshlrev_b64 v[18:19], 2, v[16:17]
	v_mov_b32_e32 v1, s13
	v_add_co_u32_e32 v21, vcc, s12, v18
	v_addc_co_u32_e32 v22, vcc, v1, v19, vcc
	v_and_b32_e32 v10, 15, v9
	v_cmp_eq_u32_e32 vcc, 0, v10
	v_cmp_lt_u32_e64 s[0:1], 1, v10
	v_cmp_lt_u32_e64 s[2:3], 3, v10
	v_cmp_lt_u32_e64 s[4:5], 7, v10
	v_and_b32_e32 v10, 16, v9
	v_cmp_eq_u32_e64 s[6:7], 0, v10
	v_add_u32_e32 v10, -1, v9
	v_and_b32_e32 v11, 64, v9
	v_cmp_lt_i32_e64 s[12:13], v10, v11
	v_cmp_lt_u32_e64 s[8:9], 31, v9
	v_cndmask_b32_e64 v9, v10, v9, s[12:13]
	global_load_dwordx4 v[5:8], v[21:22], off
	global_load_dwordx4 v[1:4], v[21:22], off offset:16
	v_lshlrev_b32_e32 v20, 2, v9
	global_load_dwordx4 v[13:16], v[21:22], off offset:32
	global_load_dwordx4 v[9:12], v[21:22], off offset:48
	v_cmp_eq_u32_e64 s[10:11], 63, v0
	v_cmp_eq_u32_e64 s[12:13], 0, v0
	s_movk_i32 s18, 0x64
	s_branch .LBB11_2
.LBB11_1:                               ;   in Loop: Header=BB11_2 Depth=1
	s_or_b64 exec, exec, s[16:17]
	ds_bpermute_b32 v0, v20, v0
	s_add_i32 s18, s18, -1
	s_cmp_lg_u32 s18, 0
	s_waitcnt lgkmcnt(0)
	; wave barrier
	v_add_f32_e32 v0, v5, v0
	v_cndmask_b32_e64 v5, v0, v5, s[12:13]
	v_add_f32_e32 v6, v6, v5
	v_add_f32_e32 v7, v7, v6
	;; [unrolled: 1-line block ×15, first 2 shown]
	s_cbranch_scc0 .LBB11_4
.LBB11_2:                               ; =>This Inner Loop Header: Depth=1
	s_waitcnt vmcnt(3)
	v_add_f32_e32 v0, v6, v5
	v_add_f32_e32 v0, v7, v0
	v_add_f32_e32 v0, v8, v0
	s_waitcnt vmcnt(2)
	v_add_f32_e32 v0, v1, v0
	v_add_f32_e32 v0, v2, v0
	v_add_f32_e32 v0, v3, v0
	v_add_f32_e32 v0, v4, v0
	s_waitcnt vmcnt(1)
	v_add_f32_e32 v0, v13, v0
	;; [unrolled: 5-line block ×3, first 2 shown]
	v_add_f32_e32 v0, v10, v0
	v_add_f32_e32 v0, v11, v0
	;; [unrolled: 1-line block ×3, first 2 shown]
	s_nop 1
	v_mov_b32_dpp v21, v0 row_shr:1 row_mask:0xf bank_mask:0xf
	v_add_f32_e32 v21, v0, v21
	v_cndmask_b32_e32 v0, v21, v0, vcc
	s_nop 1
	v_mov_b32_dpp v21, v0 row_shr:2 row_mask:0xf bank_mask:0xf
	v_add_f32_e32 v21, v0, v21
	v_cndmask_b32_e64 v0, v0, v21, s[0:1]
	s_nop 1
	v_mov_b32_dpp v21, v0 row_shr:4 row_mask:0xf bank_mask:0xf
	v_add_f32_e32 v21, v0, v21
	v_cndmask_b32_e64 v0, v0, v21, s[2:3]
	;; [unrolled: 4-line block ×3, first 2 shown]
	s_nop 1
	v_mov_b32_dpp v21, v0 row_bcast:15 row_mask:0xf bank_mask:0xf
	v_add_f32_e32 v21, v0, v21
	v_cndmask_b32_e64 v0, v21, v0, s[6:7]
	s_nop 1
	v_mov_b32_dpp v21, v0 row_bcast:31 row_mask:0xf bank_mask:0xf
	v_add_f32_e32 v21, v0, v21
	v_cndmask_b32_e64 v0, v0, v21, s[8:9]
	s_and_saveexec_b64 s[16:17], s[10:11]
	s_cbranch_execz .LBB11_1
; %bb.3:                                ;   in Loop: Header=BB11_2 Depth=1
	ds_write_b32 v17, v0
	s_branch .LBB11_1
.LBB11_4:
	v_mov_b32_e32 v0, s15
	v_add_co_u32_e32 v17, vcc, s14, v18
	v_addc_co_u32_e32 v18, vcc, v0, v19, vcc
	global_store_dwordx4 v[17:18], v[5:8], off
	global_store_dwordx4 v[17:18], v[1:4], off offset:16
	global_store_dwordx4 v[17:18], v[13:16], off offset:32
	;; [unrolled: 1-line block ×3, first 2 shown]
	s_endpgm
	.section	.rodata,"a",@progbits
	.p2align	6, 0x0
	.amdhsa_kernel _Z6kernelI14inclusive_scanILN6hipcub18BlockScanAlgorithmE1EEfLj64ELj16ELj100EEvPKT0_PS4_S4_
		.amdhsa_group_segment_fixed_size 4
		.amdhsa_private_segment_fixed_size 0
		.amdhsa_kernarg_size 280
		.amdhsa_user_sgpr_count 6
		.amdhsa_user_sgpr_private_segment_buffer 1
		.amdhsa_user_sgpr_dispatch_ptr 0
		.amdhsa_user_sgpr_queue_ptr 0
		.amdhsa_user_sgpr_kernarg_segment_ptr 1
		.amdhsa_user_sgpr_dispatch_id 0
		.amdhsa_user_sgpr_flat_scratch_init 0
		.amdhsa_user_sgpr_private_segment_size 0
		.amdhsa_uses_dynamic_stack 0
		.amdhsa_system_sgpr_private_segment_wavefront_offset 0
		.amdhsa_system_sgpr_workgroup_id_x 1
		.amdhsa_system_sgpr_workgroup_id_y 0
		.amdhsa_system_sgpr_workgroup_id_z 0
		.amdhsa_system_sgpr_workgroup_info 0
		.amdhsa_system_vgpr_workitem_id 0
		.amdhsa_next_free_vgpr 23
		.amdhsa_next_free_sgpr 19
		.amdhsa_reserve_vcc 1
		.amdhsa_reserve_flat_scratch 0
		.amdhsa_float_round_mode_32 0
		.amdhsa_float_round_mode_16_64 0
		.amdhsa_float_denorm_mode_32 3
		.amdhsa_float_denorm_mode_16_64 3
		.amdhsa_dx10_clamp 1
		.amdhsa_ieee_mode 1
		.amdhsa_fp16_overflow 0
		.amdhsa_exception_fp_ieee_invalid_op 0
		.amdhsa_exception_fp_denorm_src 0
		.amdhsa_exception_fp_ieee_div_zero 0
		.amdhsa_exception_fp_ieee_overflow 0
		.amdhsa_exception_fp_ieee_underflow 0
		.amdhsa_exception_fp_ieee_inexact 0
		.amdhsa_exception_int_div_zero 0
	.end_amdhsa_kernel
	.section	.text._Z6kernelI14inclusive_scanILN6hipcub18BlockScanAlgorithmE1EEfLj64ELj16ELj100EEvPKT0_PS4_S4_,"axG",@progbits,_Z6kernelI14inclusive_scanILN6hipcub18BlockScanAlgorithmE1EEfLj64ELj16ELj100EEvPKT0_PS4_S4_,comdat
.Lfunc_end11:
	.size	_Z6kernelI14inclusive_scanILN6hipcub18BlockScanAlgorithmE1EEfLj64ELj16ELj100EEvPKT0_PS4_S4_, .Lfunc_end11-_Z6kernelI14inclusive_scanILN6hipcub18BlockScanAlgorithmE1EEfLj64ELj16ELj100EEvPKT0_PS4_S4_
                                        ; -- End function
	.set _Z6kernelI14inclusive_scanILN6hipcub18BlockScanAlgorithmE1EEfLj64ELj16ELj100EEvPKT0_PS4_S4_.num_vgpr, 23
	.set _Z6kernelI14inclusive_scanILN6hipcub18BlockScanAlgorithmE1EEfLj64ELj16ELj100EEvPKT0_PS4_S4_.num_agpr, 0
	.set _Z6kernelI14inclusive_scanILN6hipcub18BlockScanAlgorithmE1EEfLj64ELj16ELj100EEvPKT0_PS4_S4_.numbered_sgpr, 19
	.set _Z6kernelI14inclusive_scanILN6hipcub18BlockScanAlgorithmE1EEfLj64ELj16ELj100EEvPKT0_PS4_S4_.num_named_barrier, 0
	.set _Z6kernelI14inclusive_scanILN6hipcub18BlockScanAlgorithmE1EEfLj64ELj16ELj100EEvPKT0_PS4_S4_.private_seg_size, 0
	.set _Z6kernelI14inclusive_scanILN6hipcub18BlockScanAlgorithmE1EEfLj64ELj16ELj100EEvPKT0_PS4_S4_.uses_vcc, 1
	.set _Z6kernelI14inclusive_scanILN6hipcub18BlockScanAlgorithmE1EEfLj64ELj16ELj100EEvPKT0_PS4_S4_.uses_flat_scratch, 0
	.set _Z6kernelI14inclusive_scanILN6hipcub18BlockScanAlgorithmE1EEfLj64ELj16ELj100EEvPKT0_PS4_S4_.has_dyn_sized_stack, 0
	.set _Z6kernelI14inclusive_scanILN6hipcub18BlockScanAlgorithmE1EEfLj64ELj16ELj100EEvPKT0_PS4_S4_.has_recursion, 0
	.set _Z6kernelI14inclusive_scanILN6hipcub18BlockScanAlgorithmE1EEfLj64ELj16ELj100EEvPKT0_PS4_S4_.has_indirect_call, 0
	.section	.AMDGPU.csdata,"",@progbits
; Kernel info:
; codeLenInByte = 600
; TotalNumSgprs: 23
; NumVgprs: 23
; ScratchSize: 0
; MemoryBound: 0
; FloatMode: 240
; IeeeMode: 1
; LDSByteSize: 4 bytes/workgroup (compile time only)
; SGPRBlocks: 2
; VGPRBlocks: 5
; NumSGPRsForWavesPerEU: 23
; NumVGPRsForWavesPerEU: 23
; Occupancy: 10
; WaveLimiterHint : 0
; COMPUTE_PGM_RSRC2:SCRATCH_EN: 0
; COMPUTE_PGM_RSRC2:USER_SGPR: 6
; COMPUTE_PGM_RSRC2:TRAP_HANDLER: 0
; COMPUTE_PGM_RSRC2:TGID_X_EN: 1
; COMPUTE_PGM_RSRC2:TGID_Y_EN: 0
; COMPUTE_PGM_RSRC2:TGID_Z_EN: 0
; COMPUTE_PGM_RSRC2:TIDIG_COMP_CNT: 0
	.section	.text._Z6kernelI14inclusive_scanILN6hipcub18BlockScanAlgorithmE1EEdLj64ELj1ELj100EEvPKT0_PS4_S4_,"axG",@progbits,_Z6kernelI14inclusive_scanILN6hipcub18BlockScanAlgorithmE1EEdLj64ELj1ELj100EEvPKT0_PS4_S4_,comdat
	.protected	_Z6kernelI14inclusive_scanILN6hipcub18BlockScanAlgorithmE1EEdLj64ELj1ELj100EEvPKT0_PS4_S4_ ; -- Begin function _Z6kernelI14inclusive_scanILN6hipcub18BlockScanAlgorithmE1EEdLj64ELj1ELj100EEvPKT0_PS4_S4_
	.globl	_Z6kernelI14inclusive_scanILN6hipcub18BlockScanAlgorithmE1EEdLj64ELj1ELj100EEvPKT0_PS4_S4_
	.p2align	8
	.type	_Z6kernelI14inclusive_scanILN6hipcub18BlockScanAlgorithmE1EEdLj64ELj1ELj100EEvPKT0_PS4_S4_,@function
_Z6kernelI14inclusive_scanILN6hipcub18BlockScanAlgorithmE1EEdLj64ELj1ELj100EEvPKT0_PS4_S4_: ; @_Z6kernelI14inclusive_scanILN6hipcub18BlockScanAlgorithmE1EEdLj64ELj1ELj100EEvPKT0_PS4_S4_
; %bb.0:
	s_load_dword s0, s[4:5], 0x24
	s_load_dwordx4 s[12:15], s[4:5], 0x0
	v_mov_b32_e32 v2, 0
	v_cmp_eq_u32_e64 s[10:11], 63, v0
	s_movk_i32 s16, 0x64
	s_waitcnt lgkmcnt(0)
	s_and_b32 s0, s0, 0xffff
	s_mul_i32 s6, s6, s0
	v_add_u32_e32 v1, s6, v0
	v_lshlrev_b64 v[3:4], 3, v[1:2]
	v_mov_b32_e32 v1, s13
	v_add_co_u32_e32 v5, vcc, s12, v3
	v_addc_co_u32_e32 v6, vcc, v1, v4, vcc
	global_load_dwordx2 v[5:6], v[5:6], off
	v_mbcnt_lo_u32_b32 v1, -1, 0
	v_mbcnt_hi_u32_b32 v1, -1, v1
	v_and_b32_e32 v7, 15, v1
	v_cmp_ne_u32_e32 vcc, 0, v7
	v_cmp_lt_u32_e64 s[0:1], 1, v7
	v_cmp_lt_u32_e64 s[2:3], 3, v7
	;; [unrolled: 1-line block ×3, first 2 shown]
	v_and_b32_e32 v7, 16, v1
	v_cmp_ne_u32_e64 s[6:7], 0, v7
	v_cmp_lt_u32_e64 s[8:9], 31, v1
	s_branch .LBB12_2
.LBB12_1:                               ;   in Loop: Header=BB12_2 Depth=1
	s_or_b64 exec, exec, s[12:13]
	s_add_i32 s16, s16, -1
	s_cmp_lg_u32 s16, 0
	s_waitcnt lgkmcnt(0)
	; wave barrier
	s_cbranch_scc0 .LBB12_14
.LBB12_2:                               ; =>This Inner Loop Header: Depth=1
	s_waitcnt vmcnt(0)
	v_mov_b32_dpp v0, v5 row_shr:1 row_mask:0xf bank_mask:0xf
	v_mov_b32_dpp v1, v6 row_shr:1 row_mask:0xf bank_mask:0xf
	s_and_saveexec_b64 s[12:13], vcc
; %bb.3:                                ;   in Loop: Header=BB12_2 Depth=1
	v_add_f64 v[5:6], v[5:6], v[0:1]
; %bb.4:                                ;   in Loop: Header=BB12_2 Depth=1
	s_or_b64 exec, exec, s[12:13]
	s_nop 0
	v_mov_b32_dpp v0, v5 row_shr:2 row_mask:0xf bank_mask:0xf
	v_mov_b32_dpp v1, v6 row_shr:2 row_mask:0xf bank_mask:0xf
	s_and_saveexec_b64 s[12:13], s[0:1]
; %bb.5:                                ;   in Loop: Header=BB12_2 Depth=1
	v_add_f64 v[5:6], v[5:6], v[0:1]
; %bb.6:                                ;   in Loop: Header=BB12_2 Depth=1
	s_or_b64 exec, exec, s[12:13]
	s_nop 0
	v_mov_b32_dpp v0, v5 row_shr:4 row_mask:0xf bank_mask:0xf
	v_mov_b32_dpp v1, v6 row_shr:4 row_mask:0xf bank_mask:0xf
	s_and_saveexec_b64 s[12:13], s[2:3]
	;; [unrolled: 8-line block ×3, first 2 shown]
; %bb.9:                                ;   in Loop: Header=BB12_2 Depth=1
	v_add_f64 v[5:6], v[5:6], v[0:1]
; %bb.10:                               ;   in Loop: Header=BB12_2 Depth=1
	s_or_b64 exec, exec, s[12:13]
	s_nop 0
	v_mov_b32_dpp v0, v5 row_bcast:15 row_mask:0xf bank_mask:0xf
	v_mov_b32_dpp v1, v6 row_bcast:15 row_mask:0xf bank_mask:0xf
	s_and_saveexec_b64 s[12:13], s[6:7]
; %bb.11:                               ;   in Loop: Header=BB12_2 Depth=1
	v_add_f64 v[5:6], v[5:6], v[0:1]
; %bb.12:                               ;   in Loop: Header=BB12_2 Depth=1
	s_or_b64 exec, exec, s[12:13]
	s_nop 0
	v_mov_b32_dpp v0, v5 row_bcast:31 row_mask:0xf bank_mask:0xf
	v_mov_b32_dpp v1, v6 row_bcast:31 row_mask:0xf bank_mask:0xf
	v_add_f64 v[0:1], v[5:6], v[0:1]
	v_cndmask_b32_e64 v6, v6, v1, s[8:9]
	v_cndmask_b32_e64 v5, v5, v0, s[8:9]
	s_and_saveexec_b64 s[12:13], s[10:11]
	s_cbranch_execz .LBB12_1
; %bb.13:                               ;   in Loop: Header=BB12_2 Depth=1
	ds_write_b64 v2, v[5:6]
	s_branch .LBB12_1
.LBB12_14:
	v_mov_b32_e32 v1, s15
	v_add_co_u32_e32 v0, vcc, s14, v3
	v_addc_co_u32_e32 v1, vcc, v1, v4, vcc
	global_store_dwordx2 v[0:1], v[5:6], off
	s_endpgm
	.section	.rodata,"a",@progbits
	.p2align	6, 0x0
	.amdhsa_kernel _Z6kernelI14inclusive_scanILN6hipcub18BlockScanAlgorithmE1EEdLj64ELj1ELj100EEvPKT0_PS4_S4_
		.amdhsa_group_segment_fixed_size 8
		.amdhsa_private_segment_fixed_size 0
		.amdhsa_kernarg_size 280
		.amdhsa_user_sgpr_count 6
		.amdhsa_user_sgpr_private_segment_buffer 1
		.amdhsa_user_sgpr_dispatch_ptr 0
		.amdhsa_user_sgpr_queue_ptr 0
		.amdhsa_user_sgpr_kernarg_segment_ptr 1
		.amdhsa_user_sgpr_dispatch_id 0
		.amdhsa_user_sgpr_flat_scratch_init 0
		.amdhsa_user_sgpr_private_segment_size 0
		.amdhsa_uses_dynamic_stack 0
		.amdhsa_system_sgpr_private_segment_wavefront_offset 0
		.amdhsa_system_sgpr_workgroup_id_x 1
		.amdhsa_system_sgpr_workgroup_id_y 0
		.amdhsa_system_sgpr_workgroup_id_z 0
		.amdhsa_system_sgpr_workgroup_info 0
		.amdhsa_system_vgpr_workitem_id 0
		.amdhsa_next_free_vgpr 8
		.amdhsa_next_free_sgpr 17
		.amdhsa_reserve_vcc 1
		.amdhsa_reserve_flat_scratch 0
		.amdhsa_float_round_mode_32 0
		.amdhsa_float_round_mode_16_64 0
		.amdhsa_float_denorm_mode_32 3
		.amdhsa_float_denorm_mode_16_64 3
		.amdhsa_dx10_clamp 1
		.amdhsa_ieee_mode 1
		.amdhsa_fp16_overflow 0
		.amdhsa_exception_fp_ieee_invalid_op 0
		.amdhsa_exception_fp_denorm_src 0
		.amdhsa_exception_fp_ieee_div_zero 0
		.amdhsa_exception_fp_ieee_overflow 0
		.amdhsa_exception_fp_ieee_underflow 0
		.amdhsa_exception_fp_ieee_inexact 0
		.amdhsa_exception_int_div_zero 0
	.end_amdhsa_kernel
	.section	.text._Z6kernelI14inclusive_scanILN6hipcub18BlockScanAlgorithmE1EEdLj64ELj1ELj100EEvPKT0_PS4_S4_,"axG",@progbits,_Z6kernelI14inclusive_scanILN6hipcub18BlockScanAlgorithmE1EEdLj64ELj1ELj100EEvPKT0_PS4_S4_,comdat
.Lfunc_end12:
	.size	_Z6kernelI14inclusive_scanILN6hipcub18BlockScanAlgorithmE1EEdLj64ELj1ELj100EEvPKT0_PS4_S4_, .Lfunc_end12-_Z6kernelI14inclusive_scanILN6hipcub18BlockScanAlgorithmE1EEdLj64ELj1ELj100EEvPKT0_PS4_S4_
                                        ; -- End function
	.set _Z6kernelI14inclusive_scanILN6hipcub18BlockScanAlgorithmE1EEdLj64ELj1ELj100EEvPKT0_PS4_S4_.num_vgpr, 8
	.set _Z6kernelI14inclusive_scanILN6hipcub18BlockScanAlgorithmE1EEdLj64ELj1ELj100EEvPKT0_PS4_S4_.num_agpr, 0
	.set _Z6kernelI14inclusive_scanILN6hipcub18BlockScanAlgorithmE1EEdLj64ELj1ELj100EEvPKT0_PS4_S4_.numbered_sgpr, 17
	.set _Z6kernelI14inclusive_scanILN6hipcub18BlockScanAlgorithmE1EEdLj64ELj1ELj100EEvPKT0_PS4_S4_.num_named_barrier, 0
	.set _Z6kernelI14inclusive_scanILN6hipcub18BlockScanAlgorithmE1EEdLj64ELj1ELj100EEvPKT0_PS4_S4_.private_seg_size, 0
	.set _Z6kernelI14inclusive_scanILN6hipcub18BlockScanAlgorithmE1EEdLj64ELj1ELj100EEvPKT0_PS4_S4_.uses_vcc, 1
	.set _Z6kernelI14inclusive_scanILN6hipcub18BlockScanAlgorithmE1EEdLj64ELj1ELj100EEvPKT0_PS4_S4_.uses_flat_scratch, 0
	.set _Z6kernelI14inclusive_scanILN6hipcub18BlockScanAlgorithmE1EEdLj64ELj1ELj100EEvPKT0_PS4_S4_.has_dyn_sized_stack, 0
	.set _Z6kernelI14inclusive_scanILN6hipcub18BlockScanAlgorithmE1EEdLj64ELj1ELj100EEvPKT0_PS4_S4_.has_recursion, 0
	.set _Z6kernelI14inclusive_scanILN6hipcub18BlockScanAlgorithmE1EEdLj64ELj1ELj100EEvPKT0_PS4_S4_.has_indirect_call, 0
	.section	.AMDGPU.csdata,"",@progbits
; Kernel info:
; codeLenInByte = 440
; TotalNumSgprs: 21
; NumVgprs: 8
; ScratchSize: 0
; MemoryBound: 0
; FloatMode: 240
; IeeeMode: 1
; LDSByteSize: 8 bytes/workgroup (compile time only)
; SGPRBlocks: 2
; VGPRBlocks: 1
; NumSGPRsForWavesPerEU: 21
; NumVGPRsForWavesPerEU: 8
; Occupancy: 10
; WaveLimiterHint : 0
; COMPUTE_PGM_RSRC2:SCRATCH_EN: 0
; COMPUTE_PGM_RSRC2:USER_SGPR: 6
; COMPUTE_PGM_RSRC2:TRAP_HANDLER: 0
; COMPUTE_PGM_RSRC2:TGID_X_EN: 1
; COMPUTE_PGM_RSRC2:TGID_Y_EN: 0
; COMPUTE_PGM_RSRC2:TGID_Z_EN: 0
; COMPUTE_PGM_RSRC2:TIDIG_COMP_CNT: 0
	.section	.text._Z6kernelI14inclusive_scanILN6hipcub18BlockScanAlgorithmE1EEdLj64ELj3ELj100EEvPKT0_PS4_S4_,"axG",@progbits,_Z6kernelI14inclusive_scanILN6hipcub18BlockScanAlgorithmE1EEdLj64ELj3ELj100EEvPKT0_PS4_S4_,comdat
	.protected	_Z6kernelI14inclusive_scanILN6hipcub18BlockScanAlgorithmE1EEdLj64ELj3ELj100EEvPKT0_PS4_S4_ ; -- Begin function _Z6kernelI14inclusive_scanILN6hipcub18BlockScanAlgorithmE1EEdLj64ELj3ELj100EEvPKT0_PS4_S4_
	.globl	_Z6kernelI14inclusive_scanILN6hipcub18BlockScanAlgorithmE1EEdLj64ELj3ELj100EEvPKT0_PS4_S4_
	.p2align	8
	.type	_Z6kernelI14inclusive_scanILN6hipcub18BlockScanAlgorithmE1EEdLj64ELj3ELj100EEvPKT0_PS4_S4_,@function
_Z6kernelI14inclusive_scanILN6hipcub18BlockScanAlgorithmE1EEdLj64ELj3ELj100EEvPKT0_PS4_S4_: ; @_Z6kernelI14inclusive_scanILN6hipcub18BlockScanAlgorithmE1EEdLj64ELj3ELj100EEvPKT0_PS4_S4_
; %bb.0:
	s_load_dword s0, s[4:5], 0x24
	s_load_dwordx4 s[12:15], s[4:5], 0x0
	v_mov_b32_e32 v2, 0
	v_mov_b32_e32 v6, v2
	v_cmp_eq_u32_e64 s[10:11], 63, v0
	s_waitcnt lgkmcnt(0)
	s_and_b32 s0, s0, 0xffff
	s_mul_i32 s6, s6, s0
	v_add_u32_e32 v1, s6, v0
	v_lshl_add_u32 v1, v1, 1, v1
	v_lshlrev_b64 v[3:4], 3, v[1:2]
	v_mov_b32_e32 v5, s13
	v_add_co_u32_e32 v15, vcc, s12, v3
	v_addc_co_u32_e32 v16, vcc, v5, v4, vcc
	v_add_u32_e32 v5, 1, v1
	v_lshlrev_b64 v[5:6], 3, v[5:6]
	v_mov_b32_e32 v7, s13
	v_add_co_u32_e32 v17, vcc, s12, v5
	v_add_u32_e32 v1, 2, v1
	v_addc_co_u32_e32 v18, vcc, v7, v6, vcc
	v_lshlrev_b64 v[7:8], 3, v[1:2]
	v_mov_b32_e32 v1, s13
	v_add_co_u32_e32 v19, vcc, s12, v7
	v_addc_co_u32_e32 v20, vcc, v1, v8, vcc
	global_load_dwordx2 v[13:14], v[15:16], off
	global_load_dwordx2 v[11:12], v[17:18], off
	;; [unrolled: 1-line block ×3, first 2 shown]
	v_mbcnt_lo_u32_b32 v1, -1, 0
	v_mbcnt_hi_u32_b32 v1, -1, v1
	v_and_b32_e32 v15, 15, v1
	v_cmp_ne_u32_e32 vcc, 0, v15
	v_cmp_lt_u32_e64 s[0:1], 1, v15
	v_cmp_lt_u32_e64 s[2:3], 3, v15
	;; [unrolled: 1-line block ×3, first 2 shown]
	v_and_b32_e32 v15, 16, v1
	v_cmp_ne_u32_e64 s[6:7], 0, v15
	v_add_u32_e32 v15, -1, v1
	v_and_b32_e32 v16, 64, v1
	v_cmp_lt_i32_e64 s[12:13], v15, v16
	v_cmp_lt_u32_e64 s[8:9], 31, v1
	v_cndmask_b32_e64 v1, v15, v1, s[12:13]
	v_lshlrev_b32_e32 v17, 2, v1
	v_cmp_eq_u32_e64 s[12:13], 0, v0
	s_movk_i32 s18, 0x64
	s_branch .LBB13_2
.LBB13_1:                               ;   in Loop: Header=BB13_2 Depth=1
	s_or_b64 exec, exec, s[16:17]
	ds_bpermute_b32 v0, v17, v0
	ds_bpermute_b32 v1, v17, v1
	s_add_i32 s18, s18, -1
	s_cmp_lg_u32 s18, 0
	s_waitcnt lgkmcnt(0)
	; wave barrier
	v_add_f64 v[0:1], v[13:14], v[0:1]
	v_cndmask_b32_e64 v14, v1, v14, s[12:13]
	v_cndmask_b32_e64 v13, v0, v13, s[12:13]
	v_add_f64 v[11:12], v[11:12], v[13:14]
	v_add_f64 v[9:10], v[9:10], v[11:12]
	s_cbranch_scc0 .LBB13_14
.LBB13_2:                               ; =>This Inner Loop Header: Depth=1
	s_waitcnt vmcnt(1)
	v_add_f64 v[0:1], v[13:14], v[11:12]
	s_waitcnt vmcnt(0)
	v_add_f64 v[0:1], v[9:10], v[0:1]
	s_nop 1
	v_mov_b32_dpp v15, v0 row_shr:1 row_mask:0xf bank_mask:0xf
	v_mov_b32_dpp v16, v1 row_shr:1 row_mask:0xf bank_mask:0xf
	s_and_saveexec_b64 s[16:17], vcc
; %bb.3:                                ;   in Loop: Header=BB13_2 Depth=1
	v_add_f64 v[0:1], v[0:1], v[15:16]
; %bb.4:                                ;   in Loop: Header=BB13_2 Depth=1
	s_or_b64 exec, exec, s[16:17]
	s_nop 0
	v_mov_b32_dpp v15, v0 row_shr:2 row_mask:0xf bank_mask:0xf
	v_mov_b32_dpp v16, v1 row_shr:2 row_mask:0xf bank_mask:0xf
	s_and_saveexec_b64 s[16:17], s[0:1]
; %bb.5:                                ;   in Loop: Header=BB13_2 Depth=1
	v_add_f64 v[0:1], v[0:1], v[15:16]
; %bb.6:                                ;   in Loop: Header=BB13_2 Depth=1
	s_or_b64 exec, exec, s[16:17]
	s_nop 0
	v_mov_b32_dpp v15, v0 row_shr:4 row_mask:0xf bank_mask:0xf
	v_mov_b32_dpp v16, v1 row_shr:4 row_mask:0xf bank_mask:0xf
	s_and_saveexec_b64 s[16:17], s[2:3]
	;; [unrolled: 8-line block ×3, first 2 shown]
; %bb.9:                                ;   in Loop: Header=BB13_2 Depth=1
	v_add_f64 v[0:1], v[0:1], v[15:16]
; %bb.10:                               ;   in Loop: Header=BB13_2 Depth=1
	s_or_b64 exec, exec, s[16:17]
	s_nop 0
	v_mov_b32_dpp v15, v0 row_bcast:15 row_mask:0xf bank_mask:0xf
	v_mov_b32_dpp v16, v1 row_bcast:15 row_mask:0xf bank_mask:0xf
	s_and_saveexec_b64 s[16:17], s[6:7]
; %bb.11:                               ;   in Loop: Header=BB13_2 Depth=1
	v_add_f64 v[0:1], v[0:1], v[15:16]
; %bb.12:                               ;   in Loop: Header=BB13_2 Depth=1
	s_or_b64 exec, exec, s[16:17]
	s_nop 0
	v_mov_b32_dpp v15, v0 row_bcast:31 row_mask:0xf bank_mask:0xf
	v_mov_b32_dpp v16, v1 row_bcast:31 row_mask:0xf bank_mask:0xf
	v_add_f64 v[15:16], v[0:1], v[15:16]
	v_cndmask_b32_e64 v1, v1, v16, s[8:9]
	v_cndmask_b32_e64 v0, v0, v15, s[8:9]
	s_and_saveexec_b64 s[16:17], s[10:11]
	s_cbranch_execz .LBB13_1
; %bb.13:                               ;   in Loop: Header=BB13_2 Depth=1
	ds_write_b64 v2, v[0:1]
	s_branch .LBB13_1
.LBB13_14:
	v_mov_b32_e32 v1, s15
	v_add_co_u32_e32 v0, vcc, s14, v3
	v_addc_co_u32_e32 v1, vcc, v1, v4, vcc
	global_store_dwordx2 v[0:1], v[13:14], off
	v_mov_b32_e32 v1, s15
	v_add_co_u32_e32 v0, vcc, s14, v5
	v_addc_co_u32_e32 v1, vcc, v1, v6, vcc
	global_store_dwordx2 v[0:1], v[11:12], off
	;; [unrolled: 4-line block ×3, first 2 shown]
	s_endpgm
	.section	.rodata,"a",@progbits
	.p2align	6, 0x0
	.amdhsa_kernel _Z6kernelI14inclusive_scanILN6hipcub18BlockScanAlgorithmE1EEdLj64ELj3ELj100EEvPKT0_PS4_S4_
		.amdhsa_group_segment_fixed_size 8
		.amdhsa_private_segment_fixed_size 0
		.amdhsa_kernarg_size 280
		.amdhsa_user_sgpr_count 6
		.amdhsa_user_sgpr_private_segment_buffer 1
		.amdhsa_user_sgpr_dispatch_ptr 0
		.amdhsa_user_sgpr_queue_ptr 0
		.amdhsa_user_sgpr_kernarg_segment_ptr 1
		.amdhsa_user_sgpr_dispatch_id 0
		.amdhsa_user_sgpr_flat_scratch_init 0
		.amdhsa_user_sgpr_private_segment_size 0
		.amdhsa_uses_dynamic_stack 0
		.amdhsa_system_sgpr_private_segment_wavefront_offset 0
		.amdhsa_system_sgpr_workgroup_id_x 1
		.amdhsa_system_sgpr_workgroup_id_y 0
		.amdhsa_system_sgpr_workgroup_id_z 0
		.amdhsa_system_sgpr_workgroup_info 0
		.amdhsa_system_vgpr_workitem_id 0
		.amdhsa_next_free_vgpr 21
		.amdhsa_next_free_sgpr 19
		.amdhsa_reserve_vcc 1
		.amdhsa_reserve_flat_scratch 0
		.amdhsa_float_round_mode_32 0
		.amdhsa_float_round_mode_16_64 0
		.amdhsa_float_denorm_mode_32 3
		.amdhsa_float_denorm_mode_16_64 3
		.amdhsa_dx10_clamp 1
		.amdhsa_ieee_mode 1
		.amdhsa_fp16_overflow 0
		.amdhsa_exception_fp_ieee_invalid_op 0
		.amdhsa_exception_fp_denorm_src 0
		.amdhsa_exception_fp_ieee_div_zero 0
		.amdhsa_exception_fp_ieee_overflow 0
		.amdhsa_exception_fp_ieee_underflow 0
		.amdhsa_exception_fp_ieee_inexact 0
		.amdhsa_exception_int_div_zero 0
	.end_amdhsa_kernel
	.section	.text._Z6kernelI14inclusive_scanILN6hipcub18BlockScanAlgorithmE1EEdLj64ELj3ELj100EEvPKT0_PS4_S4_,"axG",@progbits,_Z6kernelI14inclusive_scanILN6hipcub18BlockScanAlgorithmE1EEdLj64ELj3ELj100EEvPKT0_PS4_S4_,comdat
.Lfunc_end13:
	.size	_Z6kernelI14inclusive_scanILN6hipcub18BlockScanAlgorithmE1EEdLj64ELj3ELj100EEvPKT0_PS4_S4_, .Lfunc_end13-_Z6kernelI14inclusive_scanILN6hipcub18BlockScanAlgorithmE1EEdLj64ELj3ELj100EEvPKT0_PS4_S4_
                                        ; -- End function
	.set _Z6kernelI14inclusive_scanILN6hipcub18BlockScanAlgorithmE1EEdLj64ELj3ELj100EEvPKT0_PS4_S4_.num_vgpr, 21
	.set _Z6kernelI14inclusive_scanILN6hipcub18BlockScanAlgorithmE1EEdLj64ELj3ELj100EEvPKT0_PS4_S4_.num_agpr, 0
	.set _Z6kernelI14inclusive_scanILN6hipcub18BlockScanAlgorithmE1EEdLj64ELj3ELj100EEvPKT0_PS4_S4_.numbered_sgpr, 19
	.set _Z6kernelI14inclusive_scanILN6hipcub18BlockScanAlgorithmE1EEdLj64ELj3ELj100EEvPKT0_PS4_S4_.num_named_barrier, 0
	.set _Z6kernelI14inclusive_scanILN6hipcub18BlockScanAlgorithmE1EEdLj64ELj3ELj100EEvPKT0_PS4_S4_.private_seg_size, 0
	.set _Z6kernelI14inclusive_scanILN6hipcub18BlockScanAlgorithmE1EEdLj64ELj3ELj100EEvPKT0_PS4_S4_.uses_vcc, 1
	.set _Z6kernelI14inclusive_scanILN6hipcub18BlockScanAlgorithmE1EEdLj64ELj3ELj100EEvPKT0_PS4_S4_.uses_flat_scratch, 0
	.set _Z6kernelI14inclusive_scanILN6hipcub18BlockScanAlgorithmE1EEdLj64ELj3ELj100EEvPKT0_PS4_S4_.has_dyn_sized_stack, 0
	.set _Z6kernelI14inclusive_scanILN6hipcub18BlockScanAlgorithmE1EEdLj64ELj3ELj100EEvPKT0_PS4_S4_.has_recursion, 0
	.set _Z6kernelI14inclusive_scanILN6hipcub18BlockScanAlgorithmE1EEdLj64ELj3ELj100EEvPKT0_PS4_S4_.has_indirect_call, 0
	.section	.AMDGPU.csdata,"",@progbits
; Kernel info:
; codeLenInByte = 672
; TotalNumSgprs: 23
; NumVgprs: 21
; ScratchSize: 0
; MemoryBound: 0
; FloatMode: 240
; IeeeMode: 1
; LDSByteSize: 8 bytes/workgroup (compile time only)
; SGPRBlocks: 2
; VGPRBlocks: 5
; NumSGPRsForWavesPerEU: 23
; NumVGPRsForWavesPerEU: 21
; Occupancy: 10
; WaveLimiterHint : 0
; COMPUTE_PGM_RSRC2:SCRATCH_EN: 0
; COMPUTE_PGM_RSRC2:USER_SGPR: 6
; COMPUTE_PGM_RSRC2:TRAP_HANDLER: 0
; COMPUTE_PGM_RSRC2:TGID_X_EN: 1
; COMPUTE_PGM_RSRC2:TGID_Y_EN: 0
; COMPUTE_PGM_RSRC2:TGID_Z_EN: 0
; COMPUTE_PGM_RSRC2:TIDIG_COMP_CNT: 0
	.section	.text._Z6kernelI14inclusive_scanILN6hipcub18BlockScanAlgorithmE1EEdLj64ELj4ELj100EEvPKT0_PS4_S4_,"axG",@progbits,_Z6kernelI14inclusive_scanILN6hipcub18BlockScanAlgorithmE1EEdLj64ELj4ELj100EEvPKT0_PS4_S4_,comdat
	.protected	_Z6kernelI14inclusive_scanILN6hipcub18BlockScanAlgorithmE1EEdLj64ELj4ELj100EEvPKT0_PS4_S4_ ; -- Begin function _Z6kernelI14inclusive_scanILN6hipcub18BlockScanAlgorithmE1EEdLj64ELj4ELj100EEvPKT0_PS4_S4_
	.globl	_Z6kernelI14inclusive_scanILN6hipcub18BlockScanAlgorithmE1EEdLj64ELj4ELj100EEvPKT0_PS4_S4_
	.p2align	8
	.type	_Z6kernelI14inclusive_scanILN6hipcub18BlockScanAlgorithmE1EEdLj64ELj4ELj100EEvPKT0_PS4_S4_,@function
_Z6kernelI14inclusive_scanILN6hipcub18BlockScanAlgorithmE1EEdLj64ELj4ELj100EEvPKT0_PS4_S4_: ; @_Z6kernelI14inclusive_scanILN6hipcub18BlockScanAlgorithmE1EEdLj64ELj4ELj100EEvPKT0_PS4_S4_
; %bb.0:
	s_load_dword s0, s[4:5], 0x24
	s_load_dwordx4 s[12:15], s[4:5], 0x0
	v_mov_b32_e32 v9, 0
	v_cmp_eq_u32_e64 s[10:11], 63, v0
	s_movk_i32 s18, 0x64
	s_waitcnt lgkmcnt(0)
	s_and_b32 s0, s0, 0xffff
	s_mul_i32 s6, s6, s0
	v_add_lshl_u32 v8, s6, v0, 2
	v_lshlrev_b64 v[10:11], 3, v[8:9]
	v_mov_b32_e32 v1, s13
	v_add_co_u32_e32 v12, vcc, s12, v10
	v_addc_co_u32_e32 v13, vcc, v1, v11, vcc
	global_load_dwordx4 v[1:4], v[12:13], off offset:16
	global_load_dwordx4 v[5:8], v[12:13], off
	v_mbcnt_lo_u32_b32 v12, -1, 0
	v_mbcnt_hi_u32_b32 v12, -1, v12
	v_and_b32_e32 v13, 15, v12
	v_cmp_ne_u32_e32 vcc, 0, v13
	v_cmp_lt_u32_e64 s[0:1], 1, v13
	v_cmp_lt_u32_e64 s[2:3], 3, v13
	;; [unrolled: 1-line block ×3, first 2 shown]
	v_and_b32_e32 v13, 16, v12
	v_cmp_ne_u32_e64 s[6:7], 0, v13
	v_add_u32_e32 v13, -1, v12
	v_and_b32_e32 v14, 64, v12
	v_cmp_lt_i32_e64 s[12:13], v13, v14
	v_cmp_lt_u32_e64 s[8:9], 31, v12
	v_cndmask_b32_e64 v12, v13, v12, s[12:13]
	v_lshlrev_b32_e32 v16, 2, v12
	v_cmp_eq_u32_e64 s[12:13], 0, v0
	s_branch .LBB14_2
.LBB14_1:                               ;   in Loop: Header=BB14_2 Depth=1
	s_or_b64 exec, exec, s[16:17]
	ds_bpermute_b32 v12, v16, v12
	ds_bpermute_b32 v13, v16, v13
	s_add_i32 s18, s18, -1
	s_cmp_lg_u32 s18, 0
	s_waitcnt lgkmcnt(0)
	; wave barrier
	v_add_f64 v[12:13], v[5:6], v[12:13]
	v_cndmask_b32_e64 v6, v13, v6, s[12:13]
	v_cndmask_b32_e64 v5, v12, v5, s[12:13]
	v_add_f64 v[7:8], v[7:8], v[5:6]
	v_add_f64 v[1:2], v[1:2], v[7:8]
	;; [unrolled: 1-line block ×3, first 2 shown]
	s_cbranch_scc0 .LBB14_14
.LBB14_2:                               ; =>This Inner Loop Header: Depth=1
	s_waitcnt vmcnt(0)
	v_add_f64 v[12:13], v[5:6], v[7:8]
	v_add_f64 v[12:13], v[1:2], v[12:13]
	v_add_f64 v[12:13], v[3:4], v[12:13]
	s_nop 1
	v_mov_b32_dpp v14, v12 row_shr:1 row_mask:0xf bank_mask:0xf
	v_mov_b32_dpp v15, v13 row_shr:1 row_mask:0xf bank_mask:0xf
	s_and_saveexec_b64 s[16:17], vcc
; %bb.3:                                ;   in Loop: Header=BB14_2 Depth=1
	v_add_f64 v[12:13], v[12:13], v[14:15]
; %bb.4:                                ;   in Loop: Header=BB14_2 Depth=1
	s_or_b64 exec, exec, s[16:17]
	s_nop 0
	v_mov_b32_dpp v14, v12 row_shr:2 row_mask:0xf bank_mask:0xf
	v_mov_b32_dpp v15, v13 row_shr:2 row_mask:0xf bank_mask:0xf
	s_and_saveexec_b64 s[16:17], s[0:1]
; %bb.5:                                ;   in Loop: Header=BB14_2 Depth=1
	v_add_f64 v[12:13], v[12:13], v[14:15]
; %bb.6:                                ;   in Loop: Header=BB14_2 Depth=1
	s_or_b64 exec, exec, s[16:17]
	s_nop 0
	v_mov_b32_dpp v14, v12 row_shr:4 row_mask:0xf bank_mask:0xf
	v_mov_b32_dpp v15, v13 row_shr:4 row_mask:0xf bank_mask:0xf
	s_and_saveexec_b64 s[16:17], s[2:3]
; %bb.7:                                ;   in Loop: Header=BB14_2 Depth=1
	v_add_f64 v[12:13], v[12:13], v[14:15]
; %bb.8:                                ;   in Loop: Header=BB14_2 Depth=1
	s_or_b64 exec, exec, s[16:17]
	s_nop 0
	v_mov_b32_dpp v14, v12 row_shr:8 row_mask:0xf bank_mask:0xf
	v_mov_b32_dpp v15, v13 row_shr:8 row_mask:0xf bank_mask:0xf
	s_and_saveexec_b64 s[16:17], s[4:5]
; %bb.9:                                ;   in Loop: Header=BB14_2 Depth=1
	v_add_f64 v[12:13], v[12:13], v[14:15]
; %bb.10:                               ;   in Loop: Header=BB14_2 Depth=1
	s_or_b64 exec, exec, s[16:17]
	s_nop 0
	v_mov_b32_dpp v14, v12 row_bcast:15 row_mask:0xf bank_mask:0xf
	v_mov_b32_dpp v15, v13 row_bcast:15 row_mask:0xf bank_mask:0xf
	s_and_saveexec_b64 s[16:17], s[6:7]
; %bb.11:                               ;   in Loop: Header=BB14_2 Depth=1
	v_add_f64 v[12:13], v[12:13], v[14:15]
; %bb.12:                               ;   in Loop: Header=BB14_2 Depth=1
	s_or_b64 exec, exec, s[16:17]
	s_nop 0
	v_mov_b32_dpp v14, v12 row_bcast:31 row_mask:0xf bank_mask:0xf
	v_mov_b32_dpp v15, v13 row_bcast:31 row_mask:0xf bank_mask:0xf
	v_add_f64 v[14:15], v[12:13], v[14:15]
	v_cndmask_b32_e64 v13, v13, v15, s[8:9]
	v_cndmask_b32_e64 v12, v12, v14, s[8:9]
	s_and_saveexec_b64 s[16:17], s[10:11]
	s_cbranch_execz .LBB14_1
; %bb.13:                               ;   in Loop: Header=BB14_2 Depth=1
	ds_write_b64 v9, v[12:13]
	s_branch .LBB14_1
.LBB14_14:
	v_mov_b32_e32 v0, s15
	v_add_co_u32_e32 v9, vcc, s14, v10
	v_addc_co_u32_e32 v10, vcc, v0, v11, vcc
	global_store_dwordx4 v[9:10], v[5:8], off
	global_store_dwordx4 v[9:10], v[1:4], off offset:16
	s_endpgm
	.section	.rodata,"a",@progbits
	.p2align	6, 0x0
	.amdhsa_kernel _Z6kernelI14inclusive_scanILN6hipcub18BlockScanAlgorithmE1EEdLj64ELj4ELj100EEvPKT0_PS4_S4_
		.amdhsa_group_segment_fixed_size 8
		.amdhsa_private_segment_fixed_size 0
		.amdhsa_kernarg_size 280
		.amdhsa_user_sgpr_count 6
		.amdhsa_user_sgpr_private_segment_buffer 1
		.amdhsa_user_sgpr_dispatch_ptr 0
		.amdhsa_user_sgpr_queue_ptr 0
		.amdhsa_user_sgpr_kernarg_segment_ptr 1
		.amdhsa_user_sgpr_dispatch_id 0
		.amdhsa_user_sgpr_flat_scratch_init 0
		.amdhsa_user_sgpr_private_segment_size 0
		.amdhsa_uses_dynamic_stack 0
		.amdhsa_system_sgpr_private_segment_wavefront_offset 0
		.amdhsa_system_sgpr_workgroup_id_x 1
		.amdhsa_system_sgpr_workgroup_id_y 0
		.amdhsa_system_sgpr_workgroup_id_z 0
		.amdhsa_system_sgpr_workgroup_info 0
		.amdhsa_system_vgpr_workitem_id 0
		.amdhsa_next_free_vgpr 17
		.amdhsa_next_free_sgpr 19
		.amdhsa_reserve_vcc 1
		.amdhsa_reserve_flat_scratch 0
		.amdhsa_float_round_mode_32 0
		.amdhsa_float_round_mode_16_64 0
		.amdhsa_float_denorm_mode_32 3
		.amdhsa_float_denorm_mode_16_64 3
		.amdhsa_dx10_clamp 1
		.amdhsa_ieee_mode 1
		.amdhsa_fp16_overflow 0
		.amdhsa_exception_fp_ieee_invalid_op 0
		.amdhsa_exception_fp_denorm_src 0
		.amdhsa_exception_fp_ieee_div_zero 0
		.amdhsa_exception_fp_ieee_overflow 0
		.amdhsa_exception_fp_ieee_underflow 0
		.amdhsa_exception_fp_ieee_inexact 0
		.amdhsa_exception_int_div_zero 0
	.end_amdhsa_kernel
	.section	.text._Z6kernelI14inclusive_scanILN6hipcub18BlockScanAlgorithmE1EEdLj64ELj4ELj100EEvPKT0_PS4_S4_,"axG",@progbits,_Z6kernelI14inclusive_scanILN6hipcub18BlockScanAlgorithmE1EEdLj64ELj4ELj100EEvPKT0_PS4_S4_,comdat
.Lfunc_end14:
	.size	_Z6kernelI14inclusive_scanILN6hipcub18BlockScanAlgorithmE1EEdLj64ELj4ELj100EEvPKT0_PS4_S4_, .Lfunc_end14-_Z6kernelI14inclusive_scanILN6hipcub18BlockScanAlgorithmE1EEdLj64ELj4ELj100EEvPKT0_PS4_S4_
                                        ; -- End function
	.set _Z6kernelI14inclusive_scanILN6hipcub18BlockScanAlgorithmE1EEdLj64ELj4ELj100EEvPKT0_PS4_S4_.num_vgpr, 17
	.set _Z6kernelI14inclusive_scanILN6hipcub18BlockScanAlgorithmE1EEdLj64ELj4ELj100EEvPKT0_PS4_S4_.num_agpr, 0
	.set _Z6kernelI14inclusive_scanILN6hipcub18BlockScanAlgorithmE1EEdLj64ELj4ELj100EEvPKT0_PS4_S4_.numbered_sgpr, 19
	.set _Z6kernelI14inclusive_scanILN6hipcub18BlockScanAlgorithmE1EEdLj64ELj4ELj100EEvPKT0_PS4_S4_.num_named_barrier, 0
	.set _Z6kernelI14inclusive_scanILN6hipcub18BlockScanAlgorithmE1EEdLj64ELj4ELj100EEvPKT0_PS4_S4_.private_seg_size, 0
	.set _Z6kernelI14inclusive_scanILN6hipcub18BlockScanAlgorithmE1EEdLj64ELj4ELj100EEvPKT0_PS4_S4_.uses_vcc, 1
	.set _Z6kernelI14inclusive_scanILN6hipcub18BlockScanAlgorithmE1EEdLj64ELj4ELj100EEvPKT0_PS4_S4_.uses_flat_scratch, 0
	.set _Z6kernelI14inclusive_scanILN6hipcub18BlockScanAlgorithmE1EEdLj64ELj4ELj100EEvPKT0_PS4_S4_.has_dyn_sized_stack, 0
	.set _Z6kernelI14inclusive_scanILN6hipcub18BlockScanAlgorithmE1EEdLj64ELj4ELj100EEvPKT0_PS4_S4_.has_recursion, 0
	.set _Z6kernelI14inclusive_scanILN6hipcub18BlockScanAlgorithmE1EEdLj64ELj4ELj100EEvPKT0_PS4_S4_.has_indirect_call, 0
	.section	.AMDGPU.csdata,"",@progbits
; Kernel info:
; codeLenInByte = 588
; TotalNumSgprs: 23
; NumVgprs: 17
; ScratchSize: 0
; MemoryBound: 0
; FloatMode: 240
; IeeeMode: 1
; LDSByteSize: 8 bytes/workgroup (compile time only)
; SGPRBlocks: 2
; VGPRBlocks: 4
; NumSGPRsForWavesPerEU: 23
; NumVGPRsForWavesPerEU: 17
; Occupancy: 10
; WaveLimiterHint : 0
; COMPUTE_PGM_RSRC2:SCRATCH_EN: 0
; COMPUTE_PGM_RSRC2:USER_SGPR: 6
; COMPUTE_PGM_RSRC2:TRAP_HANDLER: 0
; COMPUTE_PGM_RSRC2:TGID_X_EN: 1
; COMPUTE_PGM_RSRC2:TGID_Y_EN: 0
; COMPUTE_PGM_RSRC2:TGID_Z_EN: 0
; COMPUTE_PGM_RSRC2:TIDIG_COMP_CNT: 0
	.section	.text._Z6kernelI14inclusive_scanILN6hipcub18BlockScanAlgorithmE1EEdLj64ELj8ELj100EEvPKT0_PS4_S4_,"axG",@progbits,_Z6kernelI14inclusive_scanILN6hipcub18BlockScanAlgorithmE1EEdLj64ELj8ELj100EEvPKT0_PS4_S4_,comdat
	.protected	_Z6kernelI14inclusive_scanILN6hipcub18BlockScanAlgorithmE1EEdLj64ELj8ELj100EEvPKT0_PS4_S4_ ; -- Begin function _Z6kernelI14inclusive_scanILN6hipcub18BlockScanAlgorithmE1EEdLj64ELj8ELj100EEvPKT0_PS4_S4_
	.globl	_Z6kernelI14inclusive_scanILN6hipcub18BlockScanAlgorithmE1EEdLj64ELj8ELj100EEvPKT0_PS4_S4_
	.p2align	8
	.type	_Z6kernelI14inclusive_scanILN6hipcub18BlockScanAlgorithmE1EEdLj64ELj8ELj100EEvPKT0_PS4_S4_,@function
_Z6kernelI14inclusive_scanILN6hipcub18BlockScanAlgorithmE1EEdLj64ELj8ELj100EEvPKT0_PS4_S4_: ; @_Z6kernelI14inclusive_scanILN6hipcub18BlockScanAlgorithmE1EEdLj64ELj8ELj100EEvPKT0_PS4_S4_
; %bb.0:
	s_load_dword s0, s[4:5], 0x24
	s_load_dwordx4 s[12:15], s[4:5], 0x0
	v_mov_b32_e32 v17, 0
	v_cmp_eq_u32_e64 s[10:11], 63, v0
	s_movk_i32 s18, 0x64
	s_waitcnt lgkmcnt(0)
	s_and_b32 s0, s0, 0xffff
	s_mul_i32 s6, s6, s0
	v_add_lshl_u32 v16, s6, v0, 3
	v_lshlrev_b64 v[18:19], 3, v[16:17]
	v_mov_b32_e32 v1, s13
	v_add_co_u32_e32 v20, vcc, s12, v18
	v_addc_co_u32_e32 v21, vcc, v1, v19, vcc
	global_load_dwordx4 v[1:4], v[20:21], off offset:48
	global_load_dwordx4 v[5:8], v[20:21], off offset:32
	;; [unrolled: 1-line block ×3, first 2 shown]
	global_load_dwordx4 v[13:16], v[20:21], off
	v_mbcnt_lo_u32_b32 v20, -1, 0
	v_mbcnt_hi_u32_b32 v20, -1, v20
	v_and_b32_e32 v21, 15, v20
	v_cmp_ne_u32_e32 vcc, 0, v21
	v_cmp_lt_u32_e64 s[0:1], 1, v21
	v_cmp_lt_u32_e64 s[2:3], 3, v21
	;; [unrolled: 1-line block ×3, first 2 shown]
	v_and_b32_e32 v21, 16, v20
	v_cmp_ne_u32_e64 s[6:7], 0, v21
	v_add_u32_e32 v21, -1, v20
	v_and_b32_e32 v22, 64, v20
	v_cmp_lt_i32_e64 s[12:13], v21, v22
	v_cmp_lt_u32_e64 s[8:9], 31, v20
	v_cndmask_b32_e64 v20, v21, v20, s[12:13]
	v_lshlrev_b32_e32 v24, 2, v20
	v_cmp_eq_u32_e64 s[12:13], 0, v0
	s_branch .LBB15_2
.LBB15_1:                               ;   in Loop: Header=BB15_2 Depth=1
	s_or_b64 exec, exec, s[16:17]
	ds_bpermute_b32 v20, v24, v20
	ds_bpermute_b32 v21, v24, v21
	s_add_i32 s18, s18, -1
	s_cmp_lg_u32 s18, 0
	s_waitcnt lgkmcnt(0)
	; wave barrier
	v_add_f64 v[20:21], v[13:14], v[20:21]
	v_cndmask_b32_e64 v14, v21, v14, s[12:13]
	v_cndmask_b32_e64 v13, v20, v13, s[12:13]
	v_add_f64 v[15:16], v[15:16], v[13:14]
	v_add_f64 v[9:10], v[9:10], v[15:16]
	;; [unrolled: 1-line block ×7, first 2 shown]
	s_cbranch_scc0 .LBB15_14
.LBB15_2:                               ; =>This Inner Loop Header: Depth=1
	s_waitcnt vmcnt(0)
	v_add_f64 v[20:21], v[15:16], v[13:14]
	v_add_f64 v[20:21], v[9:10], v[20:21]
	;; [unrolled: 1-line block ×7, first 2 shown]
	s_nop 1
	v_mov_b32_dpp v22, v20 row_shr:1 row_mask:0xf bank_mask:0xf
	v_mov_b32_dpp v23, v21 row_shr:1 row_mask:0xf bank_mask:0xf
	s_and_saveexec_b64 s[16:17], vcc
; %bb.3:                                ;   in Loop: Header=BB15_2 Depth=1
	v_add_f64 v[20:21], v[20:21], v[22:23]
; %bb.4:                                ;   in Loop: Header=BB15_2 Depth=1
	s_or_b64 exec, exec, s[16:17]
	s_nop 0
	v_mov_b32_dpp v22, v20 row_shr:2 row_mask:0xf bank_mask:0xf
	v_mov_b32_dpp v23, v21 row_shr:2 row_mask:0xf bank_mask:0xf
	s_and_saveexec_b64 s[16:17], s[0:1]
; %bb.5:                                ;   in Loop: Header=BB15_2 Depth=1
	v_add_f64 v[20:21], v[20:21], v[22:23]
; %bb.6:                                ;   in Loop: Header=BB15_2 Depth=1
	s_or_b64 exec, exec, s[16:17]
	s_nop 0
	v_mov_b32_dpp v22, v20 row_shr:4 row_mask:0xf bank_mask:0xf
	v_mov_b32_dpp v23, v21 row_shr:4 row_mask:0xf bank_mask:0xf
	s_and_saveexec_b64 s[16:17], s[2:3]
	;; [unrolled: 8-line block ×3, first 2 shown]
; %bb.9:                                ;   in Loop: Header=BB15_2 Depth=1
	v_add_f64 v[20:21], v[20:21], v[22:23]
; %bb.10:                               ;   in Loop: Header=BB15_2 Depth=1
	s_or_b64 exec, exec, s[16:17]
	s_nop 0
	v_mov_b32_dpp v22, v20 row_bcast:15 row_mask:0xf bank_mask:0xf
	v_mov_b32_dpp v23, v21 row_bcast:15 row_mask:0xf bank_mask:0xf
	s_and_saveexec_b64 s[16:17], s[6:7]
; %bb.11:                               ;   in Loop: Header=BB15_2 Depth=1
	v_add_f64 v[20:21], v[20:21], v[22:23]
; %bb.12:                               ;   in Loop: Header=BB15_2 Depth=1
	s_or_b64 exec, exec, s[16:17]
	s_nop 0
	v_mov_b32_dpp v22, v20 row_bcast:31 row_mask:0xf bank_mask:0xf
	v_mov_b32_dpp v23, v21 row_bcast:31 row_mask:0xf bank_mask:0xf
	v_add_f64 v[22:23], v[20:21], v[22:23]
	v_cndmask_b32_e64 v21, v21, v23, s[8:9]
	v_cndmask_b32_e64 v20, v20, v22, s[8:9]
	s_and_saveexec_b64 s[16:17], s[10:11]
	s_cbranch_execz .LBB15_1
; %bb.13:                               ;   in Loop: Header=BB15_2 Depth=1
	ds_write_b64 v17, v[20:21]
	s_branch .LBB15_1
.LBB15_14:
	v_mov_b32_e32 v0, s15
	v_add_co_u32_e32 v17, vcc, s14, v18
	v_addc_co_u32_e32 v18, vcc, v0, v19, vcc
	global_store_dwordx4 v[17:18], v[13:16], off
	global_store_dwordx4 v[17:18], v[9:12], off offset:16
	global_store_dwordx4 v[17:18], v[5:8], off offset:32
	;; [unrolled: 1-line block ×3, first 2 shown]
	s_endpgm
	.section	.rodata,"a",@progbits
	.p2align	6, 0x0
	.amdhsa_kernel _Z6kernelI14inclusive_scanILN6hipcub18BlockScanAlgorithmE1EEdLj64ELj8ELj100EEvPKT0_PS4_S4_
		.amdhsa_group_segment_fixed_size 8
		.amdhsa_private_segment_fixed_size 0
		.amdhsa_kernarg_size 280
		.amdhsa_user_sgpr_count 6
		.amdhsa_user_sgpr_private_segment_buffer 1
		.amdhsa_user_sgpr_dispatch_ptr 0
		.amdhsa_user_sgpr_queue_ptr 0
		.amdhsa_user_sgpr_kernarg_segment_ptr 1
		.amdhsa_user_sgpr_dispatch_id 0
		.amdhsa_user_sgpr_flat_scratch_init 0
		.amdhsa_user_sgpr_private_segment_size 0
		.amdhsa_uses_dynamic_stack 0
		.amdhsa_system_sgpr_private_segment_wavefront_offset 0
		.amdhsa_system_sgpr_workgroup_id_x 1
		.amdhsa_system_sgpr_workgroup_id_y 0
		.amdhsa_system_sgpr_workgroup_id_z 0
		.amdhsa_system_sgpr_workgroup_info 0
		.amdhsa_system_vgpr_workitem_id 0
		.amdhsa_next_free_vgpr 25
		.amdhsa_next_free_sgpr 19
		.amdhsa_reserve_vcc 1
		.amdhsa_reserve_flat_scratch 0
		.amdhsa_float_round_mode_32 0
		.amdhsa_float_round_mode_16_64 0
		.amdhsa_float_denorm_mode_32 3
		.amdhsa_float_denorm_mode_16_64 3
		.amdhsa_dx10_clamp 1
		.amdhsa_ieee_mode 1
		.amdhsa_fp16_overflow 0
		.amdhsa_exception_fp_ieee_invalid_op 0
		.amdhsa_exception_fp_denorm_src 0
		.amdhsa_exception_fp_ieee_div_zero 0
		.amdhsa_exception_fp_ieee_overflow 0
		.amdhsa_exception_fp_ieee_underflow 0
		.amdhsa_exception_fp_ieee_inexact 0
		.amdhsa_exception_int_div_zero 0
	.end_amdhsa_kernel
	.section	.text._Z6kernelI14inclusive_scanILN6hipcub18BlockScanAlgorithmE1EEdLj64ELj8ELj100EEvPKT0_PS4_S4_,"axG",@progbits,_Z6kernelI14inclusive_scanILN6hipcub18BlockScanAlgorithmE1EEdLj64ELj8ELj100EEvPKT0_PS4_S4_,comdat
.Lfunc_end15:
	.size	_Z6kernelI14inclusive_scanILN6hipcub18BlockScanAlgorithmE1EEdLj64ELj8ELj100EEvPKT0_PS4_S4_, .Lfunc_end15-_Z6kernelI14inclusive_scanILN6hipcub18BlockScanAlgorithmE1EEdLj64ELj8ELj100EEvPKT0_PS4_S4_
                                        ; -- End function
	.set _Z6kernelI14inclusive_scanILN6hipcub18BlockScanAlgorithmE1EEdLj64ELj8ELj100EEvPKT0_PS4_S4_.num_vgpr, 25
	.set _Z6kernelI14inclusive_scanILN6hipcub18BlockScanAlgorithmE1EEdLj64ELj8ELj100EEvPKT0_PS4_S4_.num_agpr, 0
	.set _Z6kernelI14inclusive_scanILN6hipcub18BlockScanAlgorithmE1EEdLj64ELj8ELj100EEvPKT0_PS4_S4_.numbered_sgpr, 19
	.set _Z6kernelI14inclusive_scanILN6hipcub18BlockScanAlgorithmE1EEdLj64ELj8ELj100EEvPKT0_PS4_S4_.num_named_barrier, 0
	.set _Z6kernelI14inclusive_scanILN6hipcub18BlockScanAlgorithmE1EEdLj64ELj8ELj100EEvPKT0_PS4_S4_.private_seg_size, 0
	.set _Z6kernelI14inclusive_scanILN6hipcub18BlockScanAlgorithmE1EEdLj64ELj8ELj100EEvPKT0_PS4_S4_.uses_vcc, 1
	.set _Z6kernelI14inclusive_scanILN6hipcub18BlockScanAlgorithmE1EEdLj64ELj8ELj100EEvPKT0_PS4_S4_.uses_flat_scratch, 0
	.set _Z6kernelI14inclusive_scanILN6hipcub18BlockScanAlgorithmE1EEdLj64ELj8ELj100EEvPKT0_PS4_S4_.has_dyn_sized_stack, 0
	.set _Z6kernelI14inclusive_scanILN6hipcub18BlockScanAlgorithmE1EEdLj64ELj8ELj100EEvPKT0_PS4_S4_.has_recursion, 0
	.set _Z6kernelI14inclusive_scanILN6hipcub18BlockScanAlgorithmE1EEdLj64ELj8ELj100EEvPKT0_PS4_S4_.has_indirect_call, 0
	.section	.AMDGPU.csdata,"",@progbits
; Kernel info:
; codeLenInByte = 684
; TotalNumSgprs: 23
; NumVgprs: 25
; ScratchSize: 0
; MemoryBound: 0
; FloatMode: 240
; IeeeMode: 1
; LDSByteSize: 8 bytes/workgroup (compile time only)
; SGPRBlocks: 2
; VGPRBlocks: 6
; NumSGPRsForWavesPerEU: 23
; NumVGPRsForWavesPerEU: 25
; Occupancy: 9
; WaveLimiterHint : 0
; COMPUTE_PGM_RSRC2:SCRATCH_EN: 0
; COMPUTE_PGM_RSRC2:USER_SGPR: 6
; COMPUTE_PGM_RSRC2:TRAP_HANDLER: 0
; COMPUTE_PGM_RSRC2:TGID_X_EN: 1
; COMPUTE_PGM_RSRC2:TGID_Y_EN: 0
; COMPUTE_PGM_RSRC2:TGID_Z_EN: 0
; COMPUTE_PGM_RSRC2:TIDIG_COMP_CNT: 0
	.section	.text._Z6kernelI14inclusive_scanILN6hipcub18BlockScanAlgorithmE1EEdLj64ELj11ELj100EEvPKT0_PS4_S4_,"axG",@progbits,_Z6kernelI14inclusive_scanILN6hipcub18BlockScanAlgorithmE1EEdLj64ELj11ELj100EEvPKT0_PS4_S4_,comdat
	.protected	_Z6kernelI14inclusive_scanILN6hipcub18BlockScanAlgorithmE1EEdLj64ELj11ELj100EEvPKT0_PS4_S4_ ; -- Begin function _Z6kernelI14inclusive_scanILN6hipcub18BlockScanAlgorithmE1EEdLj64ELj11ELj100EEvPKT0_PS4_S4_
	.globl	_Z6kernelI14inclusive_scanILN6hipcub18BlockScanAlgorithmE1EEdLj64ELj11ELj100EEvPKT0_PS4_S4_
	.p2align	8
	.type	_Z6kernelI14inclusive_scanILN6hipcub18BlockScanAlgorithmE1EEdLj64ELj11ELj100EEvPKT0_PS4_S4_,@function
_Z6kernelI14inclusive_scanILN6hipcub18BlockScanAlgorithmE1EEdLj64ELj11ELj100EEvPKT0_PS4_S4_: ; @_Z6kernelI14inclusive_scanILN6hipcub18BlockScanAlgorithmE1EEdLj64ELj11ELj100EEvPKT0_PS4_S4_
; %bb.0:
	s_load_dword s0, s[4:5], 0x24
	s_load_dwordx4 s[12:15], s[4:5], 0x0
	v_mov_b32_e32 v2, 0
	v_mov_b32_e32 v8, v2
	;; [unrolled: 1-line block ×3, first 2 shown]
	s_waitcnt lgkmcnt(0)
	s_and_b32 s0, s0, 0xffff
	s_mul_i32 s6, s6, s0
	v_add_u32_e32 v1, s6, v0
	v_mul_lo_u32 v1, v1, 11
	v_mov_b32_e32 v6, s13
	v_mov_b32_e32 v7, s13
	v_mov_b32_e32 v9, s13
	v_lshlrev_b64 v[3:4], 3, v[1:2]
	v_add_u32_e32 v5, 1, v1
	v_add_co_u32_e32 v25, vcc, s12, v3
	v_addc_co_u32_e32 v26, vcc, v6, v4, vcc
	v_mov_b32_e32 v6, v2
	v_lshlrev_b64 v[5:6], 3, v[5:6]
	v_mov_b32_e32 v11, s13
	v_add_co_u32_e32 v29, vcc, s12, v5
	v_addc_co_u32_e32 v30, vcc, v7, v6, vcc
	v_add_u32_e32 v7, 2, v1
	v_lshlrev_b64 v[7:8], 3, v[7:8]
	v_mov_b32_e32 v12, v2
	v_add_co_u32_e32 v47, vcc, s12, v7
	v_addc_co_u32_e32 v48, vcc, v9, v8, vcc
	v_add_u32_e32 v9, 3, v1
	;; [unrolled: 5-line block ×5, first 2 shown]
	v_mov_b32_e32 v16, v2
	v_lshlrev_b64 v[15:16], 3, v[15:16]
	v_mov_b32_e32 v17, s13
	v_add_co_u32_e32 v55, vcc, s12, v15
	v_addc_co_u32_e32 v56, vcc, v17, v16, vcc
	v_add_u32_e32 v17, 7, v1
	v_mov_b32_e32 v18, v2
	v_lshlrev_b64 v[17:18], 3, v[17:18]
	v_mov_b32_e32 v19, s13
	v_add_co_u32_e32 v57, vcc, s12, v17
	v_addc_co_u32_e32 v58, vcc, v19, v18, vcc
	v_add_u32_e32 v19, 8, v1
	;; [unrolled: 6-line block ×3, first 2 shown]
	v_mov_b32_e32 v22, v2
	v_lshlrev_b64 v[21:22], 3, v[21:22]
	v_mov_b32_e32 v23, s13
	v_add_co_u32_e32 v61, vcc, s12, v21
	v_add_u32_e32 v1, 10, v1
	v_addc_co_u32_e32 v62, vcc, v23, v22, vcc
	v_lshlrev_b64 v[23:24], 3, v[1:2]
	v_mov_b32_e32 v27, s13
	v_add_co_u32_e32 v63, vcc, s12, v23
	v_addc_co_u32_e32 v64, vcc, v27, v24, vcc
	global_load_dwordx2 v[45:46], v[25:26], off
	global_load_dwordx2 v[43:44], v[29:30], off
	global_load_dwordx2 v[41:42], v[47:48], off
	global_load_dwordx2 v[39:40], v[49:50], off
	global_load_dwordx2 v[37:38], v[51:52], off
	global_load_dwordx2 v[35:36], v[53:54], off
	global_load_dwordx2 v[33:34], v[55:56], off
	global_load_dwordx2 v[31:32], v[57:58], off
	global_load_dwordx2 v[27:28], v[59:60], off
                                        ; kill: killed $vgpr59 killed $vgpr60
                                        ; kill: killed $vgpr25 killed $vgpr26
                                        ; kill: killed $vgpr47 killed $vgpr48
                                        ; kill: killed $vgpr49 killed $vgpr50
                                        ; kill: killed $vgpr53 killed $vgpr54
                                        ; kill: killed $vgpr57 killed $vgpr58
                                        ; kill: killed $vgpr29 killed $vgpr30
                                        ; kill: killed $vgpr51 killed $vgpr52
                                        ; kill: killed $vgpr55 killed $vgpr56
	global_load_dwordx2 v[29:30], v[61:62], off
	global_load_dwordx2 v[25:26], v[63:64], off
	v_mbcnt_lo_u32_b32 v1, -1, 0
	v_mbcnt_hi_u32_b32 v1, -1, v1
	v_and_b32_e32 v47, 15, v1
	v_cmp_ne_u32_e32 vcc, 0, v47
	v_cmp_lt_u32_e64 s[0:1], 1, v47
	v_cmp_lt_u32_e64 s[2:3], 3, v47
	;; [unrolled: 1-line block ×3, first 2 shown]
	v_and_b32_e32 v47, 16, v1
	v_cmp_ne_u32_e64 s[6:7], 0, v47
	v_add_u32_e32 v47, -1, v1
	v_and_b32_e32 v48, 64, v1
	v_cmp_lt_i32_e64 s[10:11], v47, v48
	v_cmp_lt_u32_e64 s[8:9], 31, v1
	v_cndmask_b32_e64 v1, v47, v1, s[10:11]
	v_cmp_eq_u32_e64 s[10:11], 63, v0
	v_cmp_eq_u32_e64 s[12:13], 0, v0
	v_lshlrev_b32_e32 v49, 2, v1
	s_movk_i32 s18, 0x64
	s_branch .LBB16_2
.LBB16_1:                               ;   in Loop: Header=BB16_2 Depth=1
	s_or_b64 exec, exec, s[16:17]
	ds_bpermute_b32 v0, v49, v0
	ds_bpermute_b32 v1, v49, v1
	s_add_i32 s18, s18, -1
	s_cmp_lg_u32 s18, 0
	s_waitcnt lgkmcnt(0)
	; wave barrier
	v_add_f64 v[0:1], v[45:46], v[0:1]
	v_cndmask_b32_e64 v46, v1, v46, s[12:13]
	v_cndmask_b32_e64 v45, v0, v45, s[12:13]
	v_add_f64 v[43:44], v[43:44], v[45:46]
	v_add_f64 v[41:42], v[41:42], v[43:44]
	;; [unrolled: 1-line block ×10, first 2 shown]
	s_cbranch_scc0 .LBB16_14
.LBB16_2:                               ; =>This Inner Loop Header: Depth=1
	s_waitcnt vmcnt(9)
	v_add_f64 v[0:1], v[43:44], v[45:46]
	s_waitcnt vmcnt(8)
	v_add_f64 v[0:1], v[41:42], v[0:1]
	;; [unrolled: 2-line block ×10, first 2 shown]
	s_nop 1
	v_mov_b32_dpp v47, v0 row_shr:1 row_mask:0xf bank_mask:0xf
	v_mov_b32_dpp v48, v1 row_shr:1 row_mask:0xf bank_mask:0xf
	s_and_saveexec_b64 s[16:17], vcc
; %bb.3:                                ;   in Loop: Header=BB16_2 Depth=1
	v_add_f64 v[0:1], v[0:1], v[47:48]
; %bb.4:                                ;   in Loop: Header=BB16_2 Depth=1
	s_or_b64 exec, exec, s[16:17]
	s_nop 0
	v_mov_b32_dpp v47, v0 row_shr:2 row_mask:0xf bank_mask:0xf
	v_mov_b32_dpp v48, v1 row_shr:2 row_mask:0xf bank_mask:0xf
	s_and_saveexec_b64 s[16:17], s[0:1]
; %bb.5:                                ;   in Loop: Header=BB16_2 Depth=1
	v_add_f64 v[0:1], v[0:1], v[47:48]
; %bb.6:                                ;   in Loop: Header=BB16_2 Depth=1
	s_or_b64 exec, exec, s[16:17]
	s_nop 0
	v_mov_b32_dpp v47, v0 row_shr:4 row_mask:0xf bank_mask:0xf
	v_mov_b32_dpp v48, v1 row_shr:4 row_mask:0xf bank_mask:0xf
	s_and_saveexec_b64 s[16:17], s[2:3]
	;; [unrolled: 8-line block ×3, first 2 shown]
; %bb.9:                                ;   in Loop: Header=BB16_2 Depth=1
	v_add_f64 v[0:1], v[0:1], v[47:48]
; %bb.10:                               ;   in Loop: Header=BB16_2 Depth=1
	s_or_b64 exec, exec, s[16:17]
	s_nop 0
	v_mov_b32_dpp v47, v0 row_bcast:15 row_mask:0xf bank_mask:0xf
	v_mov_b32_dpp v48, v1 row_bcast:15 row_mask:0xf bank_mask:0xf
	s_and_saveexec_b64 s[16:17], s[6:7]
; %bb.11:                               ;   in Loop: Header=BB16_2 Depth=1
	v_add_f64 v[0:1], v[0:1], v[47:48]
; %bb.12:                               ;   in Loop: Header=BB16_2 Depth=1
	s_or_b64 exec, exec, s[16:17]
	s_nop 0
	v_mov_b32_dpp v47, v0 row_bcast:31 row_mask:0xf bank_mask:0xf
	v_mov_b32_dpp v48, v1 row_bcast:31 row_mask:0xf bank_mask:0xf
	v_add_f64 v[47:48], v[0:1], v[47:48]
	v_cndmask_b32_e64 v1, v1, v48, s[8:9]
	v_cndmask_b32_e64 v0, v0, v47, s[8:9]
	s_and_saveexec_b64 s[16:17], s[10:11]
	s_cbranch_execz .LBB16_1
; %bb.13:                               ;   in Loop: Header=BB16_2 Depth=1
	ds_write_b64 v2, v[0:1]
	s_branch .LBB16_1
.LBB16_14:
	v_mov_b32_e32 v1, s15
	v_add_co_u32_e32 v0, vcc, s14, v3
	v_addc_co_u32_e32 v1, vcc, v1, v4, vcc
	global_store_dwordx2 v[0:1], v[45:46], off
	v_mov_b32_e32 v1, s15
	v_add_co_u32_e32 v0, vcc, s14, v5
	v_addc_co_u32_e32 v1, vcc, v1, v6, vcc
	global_store_dwordx2 v[0:1], v[43:44], off
	;; [unrolled: 4-line block ×11, first 2 shown]
	s_endpgm
	.section	.rodata,"a",@progbits
	.p2align	6, 0x0
	.amdhsa_kernel _Z6kernelI14inclusive_scanILN6hipcub18BlockScanAlgorithmE1EEdLj64ELj11ELj100EEvPKT0_PS4_S4_
		.amdhsa_group_segment_fixed_size 8
		.amdhsa_private_segment_fixed_size 0
		.amdhsa_kernarg_size 280
		.amdhsa_user_sgpr_count 6
		.amdhsa_user_sgpr_private_segment_buffer 1
		.amdhsa_user_sgpr_dispatch_ptr 0
		.amdhsa_user_sgpr_queue_ptr 0
		.amdhsa_user_sgpr_kernarg_segment_ptr 1
		.amdhsa_user_sgpr_dispatch_id 0
		.amdhsa_user_sgpr_flat_scratch_init 0
		.amdhsa_user_sgpr_private_segment_size 0
		.amdhsa_uses_dynamic_stack 0
		.amdhsa_system_sgpr_private_segment_wavefront_offset 0
		.amdhsa_system_sgpr_workgroup_id_x 1
		.amdhsa_system_sgpr_workgroup_id_y 0
		.amdhsa_system_sgpr_workgroup_id_z 0
		.amdhsa_system_sgpr_workgroup_info 0
		.amdhsa_system_vgpr_workitem_id 0
		.amdhsa_next_free_vgpr 65
		.amdhsa_next_free_sgpr 19
		.amdhsa_reserve_vcc 1
		.amdhsa_reserve_flat_scratch 0
		.amdhsa_float_round_mode_32 0
		.amdhsa_float_round_mode_16_64 0
		.amdhsa_float_denorm_mode_32 3
		.amdhsa_float_denorm_mode_16_64 3
		.amdhsa_dx10_clamp 1
		.amdhsa_ieee_mode 1
		.amdhsa_fp16_overflow 0
		.amdhsa_exception_fp_ieee_invalid_op 0
		.amdhsa_exception_fp_denorm_src 0
		.amdhsa_exception_fp_ieee_div_zero 0
		.amdhsa_exception_fp_ieee_overflow 0
		.amdhsa_exception_fp_ieee_underflow 0
		.amdhsa_exception_fp_ieee_inexact 0
		.amdhsa_exception_int_div_zero 0
	.end_amdhsa_kernel
	.section	.text._Z6kernelI14inclusive_scanILN6hipcub18BlockScanAlgorithmE1EEdLj64ELj11ELj100EEvPKT0_PS4_S4_,"axG",@progbits,_Z6kernelI14inclusive_scanILN6hipcub18BlockScanAlgorithmE1EEdLj64ELj11ELj100EEvPKT0_PS4_S4_,comdat
.Lfunc_end16:
	.size	_Z6kernelI14inclusive_scanILN6hipcub18BlockScanAlgorithmE1EEdLj64ELj11ELj100EEvPKT0_PS4_S4_, .Lfunc_end16-_Z6kernelI14inclusive_scanILN6hipcub18BlockScanAlgorithmE1EEdLj64ELj11ELj100EEvPKT0_PS4_S4_
                                        ; -- End function
	.set _Z6kernelI14inclusive_scanILN6hipcub18BlockScanAlgorithmE1EEdLj64ELj11ELj100EEvPKT0_PS4_S4_.num_vgpr, 65
	.set _Z6kernelI14inclusive_scanILN6hipcub18BlockScanAlgorithmE1EEdLj64ELj11ELj100EEvPKT0_PS4_S4_.num_agpr, 0
	.set _Z6kernelI14inclusive_scanILN6hipcub18BlockScanAlgorithmE1EEdLj64ELj11ELj100EEvPKT0_PS4_S4_.numbered_sgpr, 19
	.set _Z6kernelI14inclusive_scanILN6hipcub18BlockScanAlgorithmE1EEdLj64ELj11ELj100EEvPKT0_PS4_S4_.num_named_barrier, 0
	.set _Z6kernelI14inclusive_scanILN6hipcub18BlockScanAlgorithmE1EEdLj64ELj11ELj100EEvPKT0_PS4_S4_.private_seg_size, 0
	.set _Z6kernelI14inclusive_scanILN6hipcub18BlockScanAlgorithmE1EEdLj64ELj11ELj100EEvPKT0_PS4_S4_.uses_vcc, 1
	.set _Z6kernelI14inclusive_scanILN6hipcub18BlockScanAlgorithmE1EEdLj64ELj11ELj100EEvPKT0_PS4_S4_.uses_flat_scratch, 0
	.set _Z6kernelI14inclusive_scanILN6hipcub18BlockScanAlgorithmE1EEdLj64ELj11ELj100EEvPKT0_PS4_S4_.has_dyn_sized_stack, 0
	.set _Z6kernelI14inclusive_scanILN6hipcub18BlockScanAlgorithmE1EEdLj64ELj11ELj100EEvPKT0_PS4_S4_.has_recursion, 0
	.set _Z6kernelI14inclusive_scanILN6hipcub18BlockScanAlgorithmE1EEdLj64ELj11ELj100EEvPKT0_PS4_S4_.has_indirect_call, 0
	.section	.AMDGPU.csdata,"",@progbits
; Kernel info:
; codeLenInByte = 1280
; TotalNumSgprs: 23
; NumVgprs: 65
; ScratchSize: 0
; MemoryBound: 0
; FloatMode: 240
; IeeeMode: 1
; LDSByteSize: 8 bytes/workgroup (compile time only)
; SGPRBlocks: 2
; VGPRBlocks: 16
; NumSGPRsForWavesPerEU: 23
; NumVGPRsForWavesPerEU: 65
; Occupancy: 3
; WaveLimiterHint : 0
; COMPUTE_PGM_RSRC2:SCRATCH_EN: 0
; COMPUTE_PGM_RSRC2:USER_SGPR: 6
; COMPUTE_PGM_RSRC2:TRAP_HANDLER: 0
; COMPUTE_PGM_RSRC2:TGID_X_EN: 1
; COMPUTE_PGM_RSRC2:TGID_Y_EN: 0
; COMPUTE_PGM_RSRC2:TGID_Z_EN: 0
; COMPUTE_PGM_RSRC2:TIDIG_COMP_CNT: 0
	.section	.text._Z6kernelI14inclusive_scanILN6hipcub18BlockScanAlgorithmE1EEdLj64ELj16ELj100EEvPKT0_PS4_S4_,"axG",@progbits,_Z6kernelI14inclusive_scanILN6hipcub18BlockScanAlgorithmE1EEdLj64ELj16ELj100EEvPKT0_PS4_S4_,comdat
	.protected	_Z6kernelI14inclusive_scanILN6hipcub18BlockScanAlgorithmE1EEdLj64ELj16ELj100EEvPKT0_PS4_S4_ ; -- Begin function _Z6kernelI14inclusive_scanILN6hipcub18BlockScanAlgorithmE1EEdLj64ELj16ELj100EEvPKT0_PS4_S4_
	.globl	_Z6kernelI14inclusive_scanILN6hipcub18BlockScanAlgorithmE1EEdLj64ELj16ELj100EEvPKT0_PS4_S4_
	.p2align	8
	.type	_Z6kernelI14inclusive_scanILN6hipcub18BlockScanAlgorithmE1EEdLj64ELj16ELj100EEvPKT0_PS4_S4_,@function
_Z6kernelI14inclusive_scanILN6hipcub18BlockScanAlgorithmE1EEdLj64ELj16ELj100EEvPKT0_PS4_S4_: ; @_Z6kernelI14inclusive_scanILN6hipcub18BlockScanAlgorithmE1EEdLj64ELj16ELj100EEvPKT0_PS4_S4_
; %bb.0:
	s_load_dword s0, s[4:5], 0x24
	s_load_dwordx4 s[12:15], s[4:5], 0x0
	v_mov_b32_e32 v33, 0
	v_cmp_eq_u32_e64 s[10:11], 63, v0
	s_movk_i32 s18, 0x64
	s_waitcnt lgkmcnt(0)
	s_and_b32 s0, s0, 0xffff
	s_mul_i32 s6, s6, s0
	v_add_lshl_u32 v32, s6, v0, 4
	v_lshlrev_b64 v[34:35], 3, v[32:33]
	v_mov_b32_e32 v1, s13
	v_add_co_u32_e32 v36, vcc, s12, v34
	v_addc_co_u32_e32 v37, vcc, v1, v35, vcc
	global_load_dwordx4 v[1:4], v[36:37], off offset:48
	global_load_dwordx4 v[5:8], v[36:37], off offset:32
	;; [unrolled: 1-line block ×3, first 2 shown]
	global_load_dwordx4 v[29:32], v[36:37], off
	global_load_dwordx4 v[9:12], v[36:37], off offset:112
	global_load_dwordx4 v[13:16], v[36:37], off offset:96
	;; [unrolled: 1-line block ×4, first 2 shown]
	v_mbcnt_lo_u32_b32 v36, -1, 0
	v_mbcnt_hi_u32_b32 v36, -1, v36
	v_and_b32_e32 v37, 15, v36
	v_cmp_ne_u32_e32 vcc, 0, v37
	v_cmp_lt_u32_e64 s[0:1], 1, v37
	v_cmp_lt_u32_e64 s[2:3], 3, v37
	;; [unrolled: 1-line block ×3, first 2 shown]
	v_and_b32_e32 v37, 16, v36
	v_cmp_ne_u32_e64 s[6:7], 0, v37
	v_add_u32_e32 v37, -1, v36
	v_and_b32_e32 v38, 64, v36
	v_cmp_lt_i32_e64 s[12:13], v37, v38
	v_cmp_lt_u32_e64 s[8:9], 31, v36
	v_cndmask_b32_e64 v36, v37, v36, s[12:13]
	v_lshlrev_b32_e32 v40, 2, v36
	v_cmp_eq_u32_e64 s[12:13], 0, v0
	s_branch .LBB17_2
.LBB17_1:                               ;   in Loop: Header=BB17_2 Depth=1
	s_or_b64 exec, exec, s[16:17]
	ds_bpermute_b32 v36, v40, v36
	ds_bpermute_b32 v37, v40, v37
	s_add_i32 s18, s18, -1
	s_cmp_lg_u32 s18, 0
	s_waitcnt lgkmcnt(0)
	; wave barrier
	v_add_f64 v[36:37], v[29:30], v[36:37]
	v_cndmask_b32_e64 v30, v37, v30, s[12:13]
	v_cndmask_b32_e64 v29, v36, v29, s[12:13]
	v_add_f64 v[31:32], v[31:32], v[29:30]
	v_add_f64 v[25:26], v[25:26], v[31:32]
	;; [unrolled: 1-line block ×15, first 2 shown]
	s_cbranch_scc0 .LBB17_14
.LBB17_2:                               ; =>This Inner Loop Header: Depth=1
	s_waitcnt vmcnt(4)
	v_add_f64 v[36:37], v[31:32], v[29:30]
	v_add_f64 v[36:37], v[25:26], v[36:37]
	;; [unrolled: 1-line block ×7, first 2 shown]
	s_waitcnt vmcnt(0)
	v_add_f64 v[36:37], v[21:22], v[36:37]
	v_add_f64 v[36:37], v[23:24], v[36:37]
	v_add_f64 v[36:37], v[17:18], v[36:37]
	v_add_f64 v[36:37], v[19:20], v[36:37]
	v_add_f64 v[36:37], v[13:14], v[36:37]
	v_add_f64 v[36:37], v[15:16], v[36:37]
	v_add_f64 v[36:37], v[9:10], v[36:37]
	v_add_f64 v[36:37], v[11:12], v[36:37]
	s_nop 1
	v_mov_b32_dpp v38, v36 row_shr:1 row_mask:0xf bank_mask:0xf
	v_mov_b32_dpp v39, v37 row_shr:1 row_mask:0xf bank_mask:0xf
	s_and_saveexec_b64 s[16:17], vcc
; %bb.3:                                ;   in Loop: Header=BB17_2 Depth=1
	v_add_f64 v[36:37], v[36:37], v[38:39]
; %bb.4:                                ;   in Loop: Header=BB17_2 Depth=1
	s_or_b64 exec, exec, s[16:17]
	s_nop 0
	v_mov_b32_dpp v38, v36 row_shr:2 row_mask:0xf bank_mask:0xf
	v_mov_b32_dpp v39, v37 row_shr:2 row_mask:0xf bank_mask:0xf
	s_and_saveexec_b64 s[16:17], s[0:1]
; %bb.5:                                ;   in Loop: Header=BB17_2 Depth=1
	v_add_f64 v[36:37], v[36:37], v[38:39]
; %bb.6:                                ;   in Loop: Header=BB17_2 Depth=1
	s_or_b64 exec, exec, s[16:17]
	s_nop 0
	v_mov_b32_dpp v38, v36 row_shr:4 row_mask:0xf bank_mask:0xf
	v_mov_b32_dpp v39, v37 row_shr:4 row_mask:0xf bank_mask:0xf
	s_and_saveexec_b64 s[16:17], s[2:3]
	;; [unrolled: 8-line block ×3, first 2 shown]
; %bb.9:                                ;   in Loop: Header=BB17_2 Depth=1
	v_add_f64 v[36:37], v[36:37], v[38:39]
; %bb.10:                               ;   in Loop: Header=BB17_2 Depth=1
	s_or_b64 exec, exec, s[16:17]
	s_nop 0
	v_mov_b32_dpp v38, v36 row_bcast:15 row_mask:0xf bank_mask:0xf
	v_mov_b32_dpp v39, v37 row_bcast:15 row_mask:0xf bank_mask:0xf
	s_and_saveexec_b64 s[16:17], s[6:7]
; %bb.11:                               ;   in Loop: Header=BB17_2 Depth=1
	v_add_f64 v[36:37], v[36:37], v[38:39]
; %bb.12:                               ;   in Loop: Header=BB17_2 Depth=1
	s_or_b64 exec, exec, s[16:17]
	s_nop 0
	v_mov_b32_dpp v38, v36 row_bcast:31 row_mask:0xf bank_mask:0xf
	v_mov_b32_dpp v39, v37 row_bcast:31 row_mask:0xf bank_mask:0xf
	v_add_f64 v[38:39], v[36:37], v[38:39]
	v_cndmask_b32_e64 v37, v37, v39, s[8:9]
	v_cndmask_b32_e64 v36, v36, v38, s[8:9]
	s_and_saveexec_b64 s[16:17], s[10:11]
	s_cbranch_execz .LBB17_1
; %bb.13:                               ;   in Loop: Header=BB17_2 Depth=1
	ds_write_b64 v33, v[36:37]
	s_branch .LBB17_1
.LBB17_14:
	v_mov_b32_e32 v0, s15
	v_add_co_u32_e32 v33, vcc, s14, v34
	v_addc_co_u32_e32 v34, vcc, v0, v35, vcc
	global_store_dwordx4 v[33:34], v[29:32], off
	global_store_dwordx4 v[33:34], v[25:28], off offset:16
	global_store_dwordx4 v[33:34], v[5:8], off offset:32
	;; [unrolled: 1-line block ×7, first 2 shown]
	s_endpgm
	.section	.rodata,"a",@progbits
	.p2align	6, 0x0
	.amdhsa_kernel _Z6kernelI14inclusive_scanILN6hipcub18BlockScanAlgorithmE1EEdLj64ELj16ELj100EEvPKT0_PS4_S4_
		.amdhsa_group_segment_fixed_size 8
		.amdhsa_private_segment_fixed_size 0
		.amdhsa_kernarg_size 280
		.amdhsa_user_sgpr_count 6
		.amdhsa_user_sgpr_private_segment_buffer 1
		.amdhsa_user_sgpr_dispatch_ptr 0
		.amdhsa_user_sgpr_queue_ptr 0
		.amdhsa_user_sgpr_kernarg_segment_ptr 1
		.amdhsa_user_sgpr_dispatch_id 0
		.amdhsa_user_sgpr_flat_scratch_init 0
		.amdhsa_user_sgpr_private_segment_size 0
		.amdhsa_uses_dynamic_stack 0
		.amdhsa_system_sgpr_private_segment_wavefront_offset 0
		.amdhsa_system_sgpr_workgroup_id_x 1
		.amdhsa_system_sgpr_workgroup_id_y 0
		.amdhsa_system_sgpr_workgroup_id_z 0
		.amdhsa_system_sgpr_workgroup_info 0
		.amdhsa_system_vgpr_workitem_id 0
		.amdhsa_next_free_vgpr 41
		.amdhsa_next_free_sgpr 19
		.amdhsa_reserve_vcc 1
		.amdhsa_reserve_flat_scratch 0
		.amdhsa_float_round_mode_32 0
		.amdhsa_float_round_mode_16_64 0
		.amdhsa_float_denorm_mode_32 3
		.amdhsa_float_denorm_mode_16_64 3
		.amdhsa_dx10_clamp 1
		.amdhsa_ieee_mode 1
		.amdhsa_fp16_overflow 0
		.amdhsa_exception_fp_ieee_invalid_op 0
		.amdhsa_exception_fp_denorm_src 0
		.amdhsa_exception_fp_ieee_div_zero 0
		.amdhsa_exception_fp_ieee_overflow 0
		.amdhsa_exception_fp_ieee_underflow 0
		.amdhsa_exception_fp_ieee_inexact 0
		.amdhsa_exception_int_div_zero 0
	.end_amdhsa_kernel
	.section	.text._Z6kernelI14inclusive_scanILN6hipcub18BlockScanAlgorithmE1EEdLj64ELj16ELj100EEvPKT0_PS4_S4_,"axG",@progbits,_Z6kernelI14inclusive_scanILN6hipcub18BlockScanAlgorithmE1EEdLj64ELj16ELj100EEvPKT0_PS4_S4_,comdat
.Lfunc_end17:
	.size	_Z6kernelI14inclusive_scanILN6hipcub18BlockScanAlgorithmE1EEdLj64ELj16ELj100EEvPKT0_PS4_S4_, .Lfunc_end17-_Z6kernelI14inclusive_scanILN6hipcub18BlockScanAlgorithmE1EEdLj64ELj16ELj100EEvPKT0_PS4_S4_
                                        ; -- End function
	.set _Z6kernelI14inclusive_scanILN6hipcub18BlockScanAlgorithmE1EEdLj64ELj16ELj100EEvPKT0_PS4_S4_.num_vgpr, 41
	.set _Z6kernelI14inclusive_scanILN6hipcub18BlockScanAlgorithmE1EEdLj64ELj16ELj100EEvPKT0_PS4_S4_.num_agpr, 0
	.set _Z6kernelI14inclusive_scanILN6hipcub18BlockScanAlgorithmE1EEdLj64ELj16ELj100EEvPKT0_PS4_S4_.numbered_sgpr, 19
	.set _Z6kernelI14inclusive_scanILN6hipcub18BlockScanAlgorithmE1EEdLj64ELj16ELj100EEvPKT0_PS4_S4_.num_named_barrier, 0
	.set _Z6kernelI14inclusive_scanILN6hipcub18BlockScanAlgorithmE1EEdLj64ELj16ELj100EEvPKT0_PS4_S4_.private_seg_size, 0
	.set _Z6kernelI14inclusive_scanILN6hipcub18BlockScanAlgorithmE1EEdLj64ELj16ELj100EEvPKT0_PS4_S4_.uses_vcc, 1
	.set _Z6kernelI14inclusive_scanILN6hipcub18BlockScanAlgorithmE1EEdLj64ELj16ELj100EEvPKT0_PS4_S4_.uses_flat_scratch, 0
	.set _Z6kernelI14inclusive_scanILN6hipcub18BlockScanAlgorithmE1EEdLj64ELj16ELj100EEvPKT0_PS4_S4_.has_dyn_sized_stack, 0
	.set _Z6kernelI14inclusive_scanILN6hipcub18BlockScanAlgorithmE1EEdLj64ELj16ELj100EEvPKT0_PS4_S4_.has_recursion, 0
	.set _Z6kernelI14inclusive_scanILN6hipcub18BlockScanAlgorithmE1EEdLj64ELj16ELj100EEvPKT0_PS4_S4_.has_indirect_call, 0
	.section	.AMDGPU.csdata,"",@progbits
; Kernel info:
; codeLenInByte = 880
; TotalNumSgprs: 23
; NumVgprs: 41
; ScratchSize: 0
; MemoryBound: 1
; FloatMode: 240
; IeeeMode: 1
; LDSByteSize: 8 bytes/workgroup (compile time only)
; SGPRBlocks: 2
; VGPRBlocks: 10
; NumSGPRsForWavesPerEU: 23
; NumVGPRsForWavesPerEU: 41
; Occupancy: 5
; WaveLimiterHint : 0
; COMPUTE_PGM_RSRC2:SCRATCH_EN: 0
; COMPUTE_PGM_RSRC2:USER_SGPR: 6
; COMPUTE_PGM_RSRC2:TRAP_HANDLER: 0
; COMPUTE_PGM_RSRC2:TGID_X_EN: 1
; COMPUTE_PGM_RSRC2:TGID_Y_EN: 0
; COMPUTE_PGM_RSRC2:TGID_Z_EN: 0
; COMPUTE_PGM_RSRC2:TIDIG_COMP_CNT: 0
	.section	.text._Z6kernelI14inclusive_scanILN6hipcub18BlockScanAlgorithmE1EEhLj64ELj1ELj100EEvPKT0_PS4_S4_,"axG",@progbits,_Z6kernelI14inclusive_scanILN6hipcub18BlockScanAlgorithmE1EEhLj64ELj1ELj100EEvPKT0_PS4_S4_,comdat
	.protected	_Z6kernelI14inclusive_scanILN6hipcub18BlockScanAlgorithmE1EEhLj64ELj1ELj100EEvPKT0_PS4_S4_ ; -- Begin function _Z6kernelI14inclusive_scanILN6hipcub18BlockScanAlgorithmE1EEhLj64ELj1ELj100EEvPKT0_PS4_S4_
	.globl	_Z6kernelI14inclusive_scanILN6hipcub18BlockScanAlgorithmE1EEhLj64ELj1ELj100EEvPKT0_PS4_S4_
	.p2align	8
	.type	_Z6kernelI14inclusive_scanILN6hipcub18BlockScanAlgorithmE1EEhLj64ELj1ELj100EEvPKT0_PS4_S4_,@function
_Z6kernelI14inclusive_scanILN6hipcub18BlockScanAlgorithmE1EEhLj64ELj1ELj100EEvPKT0_PS4_S4_: ; @_Z6kernelI14inclusive_scanILN6hipcub18BlockScanAlgorithmE1EEhLj64ELj1ELj100EEvPKT0_PS4_S4_
; %bb.0:
	s_load_dword s0, s[4:5], 0x24
	s_load_dwordx4 s[12:15], s[4:5], 0x0
	v_mbcnt_lo_u32_b32 v4, -1, 0
	v_mbcnt_hi_u32_b32 v4, -1, v4
	v_and_b32_e32 v5, 15, v4
	s_waitcnt lgkmcnt(0)
	s_and_b32 s0, s0, 0xffff
	s_mul_i32 s6, s6, s0
	v_add_u32_e32 v1, s6, v0
	global_load_ubyte v3, v1, s[12:13]
	v_cmp_eq_u32_e32 vcc, 0, v5
	v_cmp_lt_u32_e64 s[0:1], 1, v5
	v_cmp_lt_u32_e64 s[2:3], 3, v5
	;; [unrolled: 1-line block ×3, first 2 shown]
	v_and_b32_e32 v5, 16, v4
	v_mov_b32_e32 v2, 0
	v_cmp_eq_u32_e64 s[6:7], 0, v5
	v_cmp_lt_u32_e64 s[8:9], 31, v4
	v_cmp_eq_u32_e64 s[10:11], 63, v0
	s_movk_i32 s16, 0x64
	s_branch .LBB18_2
.LBB18_1:                               ;   in Loop: Header=BB18_2 Depth=1
	s_or_b64 exec, exec, s[12:13]
	s_add_i32 s16, s16, -1
	s_cmp_lg_u32 s16, 0
	s_waitcnt lgkmcnt(0)
	; wave barrier
	s_cbranch_scc0 .LBB18_4
.LBB18_2:                               ; =>This Inner Loop Header: Depth=1
	s_waitcnt vmcnt(0)
	v_and_b32_e32 v0, 0xff, v3
	s_nop 1
	v_mov_b32_dpp v0, v0 row_shr:1 row_mask:0xf bank_mask:0xf
	v_cndmask_b32_e64 v0, v0, 0, vcc
	v_add_u16_e32 v0, v0, v3
	v_and_b32_e32 v3, 0xff, v0
	s_nop 1
	v_mov_b32_dpp v3, v3 row_shr:2 row_mask:0xf bank_mask:0xf
	v_cndmask_b32_e64 v3, 0, v3, s[0:1]
	v_add_u16_e32 v0, v0, v3
	v_and_b32_e32 v3, 0xff, v0
	s_nop 1
	v_mov_b32_dpp v3, v3 row_shr:4 row_mask:0xf bank_mask:0xf
	v_cndmask_b32_e64 v3, 0, v3, s[2:3]
	;; [unrolled: 5-line block ×3, first 2 shown]
	v_add_u16_e32 v0, v0, v3
	v_and_b32_e32 v3, 0xff, v0
	s_nop 1
	v_mov_b32_dpp v3, v3 row_bcast:15 row_mask:0xf bank_mask:0xf
	v_cndmask_b32_e64 v3, v3, 0, s[6:7]
	v_add_u16_e32 v0, v0, v3
	v_and_b32_e32 v3, 0xff, v0
	s_nop 1
	v_mov_b32_dpp v3, v3 row_bcast:31 row_mask:0xf bank_mask:0xf
	v_cndmask_b32_e64 v3, 0, v3, s[8:9]
	v_add_u16_e32 v3, v0, v3
	s_and_saveexec_b64 s[12:13], s[10:11]
	s_cbranch_execz .LBB18_1
; %bb.3:                                ;   in Loop: Header=BB18_2 Depth=1
	ds_write_b8 v2, v3
	s_branch .LBB18_1
.LBB18_4:
	v_mov_b32_e32 v2, s15
	v_add_co_u32_e32 v0, vcc, s14, v1
	v_addc_co_u32_e32 v1, vcc, 0, v2, vcc
	global_store_byte v[0:1], v3, off
	s_endpgm
	.section	.rodata,"a",@progbits
	.p2align	6, 0x0
	.amdhsa_kernel _Z6kernelI14inclusive_scanILN6hipcub18BlockScanAlgorithmE1EEhLj64ELj1ELj100EEvPKT0_PS4_S4_
		.amdhsa_group_segment_fixed_size 1
		.amdhsa_private_segment_fixed_size 0
		.amdhsa_kernarg_size 280
		.amdhsa_user_sgpr_count 6
		.amdhsa_user_sgpr_private_segment_buffer 1
		.amdhsa_user_sgpr_dispatch_ptr 0
		.amdhsa_user_sgpr_queue_ptr 0
		.amdhsa_user_sgpr_kernarg_segment_ptr 1
		.amdhsa_user_sgpr_dispatch_id 0
		.amdhsa_user_sgpr_flat_scratch_init 0
		.amdhsa_user_sgpr_private_segment_size 0
		.amdhsa_uses_dynamic_stack 0
		.amdhsa_system_sgpr_private_segment_wavefront_offset 0
		.amdhsa_system_sgpr_workgroup_id_x 1
		.amdhsa_system_sgpr_workgroup_id_y 0
		.amdhsa_system_sgpr_workgroup_id_z 0
		.amdhsa_system_sgpr_workgroup_info 0
		.amdhsa_system_vgpr_workitem_id 0
		.amdhsa_next_free_vgpr 6
		.amdhsa_next_free_sgpr 17
		.amdhsa_reserve_vcc 1
		.amdhsa_reserve_flat_scratch 0
		.amdhsa_float_round_mode_32 0
		.amdhsa_float_round_mode_16_64 0
		.amdhsa_float_denorm_mode_32 3
		.amdhsa_float_denorm_mode_16_64 3
		.amdhsa_dx10_clamp 1
		.amdhsa_ieee_mode 1
		.amdhsa_fp16_overflow 0
		.amdhsa_exception_fp_ieee_invalid_op 0
		.amdhsa_exception_fp_denorm_src 0
		.amdhsa_exception_fp_ieee_div_zero 0
		.amdhsa_exception_fp_ieee_overflow 0
		.amdhsa_exception_fp_ieee_underflow 0
		.amdhsa_exception_fp_ieee_inexact 0
		.amdhsa_exception_int_div_zero 0
	.end_amdhsa_kernel
	.section	.text._Z6kernelI14inclusive_scanILN6hipcub18BlockScanAlgorithmE1EEhLj64ELj1ELj100EEvPKT0_PS4_S4_,"axG",@progbits,_Z6kernelI14inclusive_scanILN6hipcub18BlockScanAlgorithmE1EEhLj64ELj1ELj100EEvPKT0_PS4_S4_,comdat
.Lfunc_end18:
	.size	_Z6kernelI14inclusive_scanILN6hipcub18BlockScanAlgorithmE1EEhLj64ELj1ELj100EEvPKT0_PS4_S4_, .Lfunc_end18-_Z6kernelI14inclusive_scanILN6hipcub18BlockScanAlgorithmE1EEhLj64ELj1ELj100EEvPKT0_PS4_S4_
                                        ; -- End function
	.set _Z6kernelI14inclusive_scanILN6hipcub18BlockScanAlgorithmE1EEhLj64ELj1ELj100EEvPKT0_PS4_S4_.num_vgpr, 6
	.set _Z6kernelI14inclusive_scanILN6hipcub18BlockScanAlgorithmE1EEhLj64ELj1ELj100EEvPKT0_PS4_S4_.num_agpr, 0
	.set _Z6kernelI14inclusive_scanILN6hipcub18BlockScanAlgorithmE1EEhLj64ELj1ELj100EEvPKT0_PS4_S4_.numbered_sgpr, 17
	.set _Z6kernelI14inclusive_scanILN6hipcub18BlockScanAlgorithmE1EEhLj64ELj1ELj100EEvPKT0_PS4_S4_.num_named_barrier, 0
	.set _Z6kernelI14inclusive_scanILN6hipcub18BlockScanAlgorithmE1EEhLj64ELj1ELj100EEvPKT0_PS4_S4_.private_seg_size, 0
	.set _Z6kernelI14inclusive_scanILN6hipcub18BlockScanAlgorithmE1EEhLj64ELj1ELj100EEvPKT0_PS4_S4_.uses_vcc, 1
	.set _Z6kernelI14inclusive_scanILN6hipcub18BlockScanAlgorithmE1EEhLj64ELj1ELj100EEvPKT0_PS4_S4_.uses_flat_scratch, 0
	.set _Z6kernelI14inclusive_scanILN6hipcub18BlockScanAlgorithmE1EEhLj64ELj1ELj100EEvPKT0_PS4_S4_.has_dyn_sized_stack, 0
	.set _Z6kernelI14inclusive_scanILN6hipcub18BlockScanAlgorithmE1EEhLj64ELj1ELj100EEvPKT0_PS4_S4_.has_recursion, 0
	.set _Z6kernelI14inclusive_scanILN6hipcub18BlockScanAlgorithmE1EEhLj64ELj1ELj100EEvPKT0_PS4_S4_.has_indirect_call, 0
	.section	.AMDGPU.csdata,"",@progbits
; Kernel info:
; codeLenInByte = 392
; TotalNumSgprs: 21
; NumVgprs: 6
; ScratchSize: 0
; MemoryBound: 0
; FloatMode: 240
; IeeeMode: 1
; LDSByteSize: 1 bytes/workgroup (compile time only)
; SGPRBlocks: 2
; VGPRBlocks: 1
; NumSGPRsForWavesPerEU: 21
; NumVGPRsForWavesPerEU: 6
; Occupancy: 10
; WaveLimiterHint : 0
; COMPUTE_PGM_RSRC2:SCRATCH_EN: 0
; COMPUTE_PGM_RSRC2:USER_SGPR: 6
; COMPUTE_PGM_RSRC2:TRAP_HANDLER: 0
; COMPUTE_PGM_RSRC2:TGID_X_EN: 1
; COMPUTE_PGM_RSRC2:TGID_Y_EN: 0
; COMPUTE_PGM_RSRC2:TGID_Z_EN: 0
; COMPUTE_PGM_RSRC2:TIDIG_COMP_CNT: 0
	.section	.text._Z6kernelI14inclusive_scanILN6hipcub18BlockScanAlgorithmE1EEhLj64ELj3ELj100EEvPKT0_PS4_S4_,"axG",@progbits,_Z6kernelI14inclusive_scanILN6hipcub18BlockScanAlgorithmE1EEhLj64ELj3ELj100EEvPKT0_PS4_S4_,comdat
	.protected	_Z6kernelI14inclusive_scanILN6hipcub18BlockScanAlgorithmE1EEhLj64ELj3ELj100EEvPKT0_PS4_S4_ ; -- Begin function _Z6kernelI14inclusive_scanILN6hipcub18BlockScanAlgorithmE1EEhLj64ELj3ELj100EEvPKT0_PS4_S4_
	.globl	_Z6kernelI14inclusive_scanILN6hipcub18BlockScanAlgorithmE1EEhLj64ELj3ELj100EEvPKT0_PS4_S4_
	.p2align	8
	.type	_Z6kernelI14inclusive_scanILN6hipcub18BlockScanAlgorithmE1EEhLj64ELj3ELj100EEvPKT0_PS4_S4_,@function
_Z6kernelI14inclusive_scanILN6hipcub18BlockScanAlgorithmE1EEhLj64ELj3ELj100EEvPKT0_PS4_S4_: ; @_Z6kernelI14inclusive_scanILN6hipcub18BlockScanAlgorithmE1EEhLj64ELj3ELj100EEvPKT0_PS4_S4_
; %bb.0:
	s_load_dword s0, s[4:5], 0x24
	s_load_dwordx4 s[12:15], s[4:5], 0x0
	v_mbcnt_lo_u32_b32 v8, -1, 0
	v_mbcnt_hi_u32_b32 v8, -1, v8
	v_and_b32_e32 v9, 15, v8
	s_waitcnt lgkmcnt(0)
	s_and_b32 s0, s0, 0xffff
	s_mul_i32 s6, s6, s0
	v_add_u32_e32 v1, s6, v0
	v_lshl_add_u32 v5, v1, 1, v1
	v_add_u32_e32 v3, 1, v5
	v_add_u32_e32 v2, 2, v5
	global_load_ubyte v6, v5, s[12:13]
	global_load_ubyte v1, v2, s[12:13]
	;; [unrolled: 1-line block ×3, first 2 shown]
	v_cmp_eq_u32_e32 vcc, 0, v9
	v_cmp_lt_u32_e64 s[0:1], 1, v9
	v_cmp_lt_u32_e64 s[2:3], 3, v9
	;; [unrolled: 1-line block ×3, first 2 shown]
	v_and_b32_e32 v9, 16, v8
	v_cmp_eq_u32_e64 s[6:7], 0, v9
	v_add_u32_e32 v9, -1, v8
	v_and_b32_e32 v10, 64, v8
	v_cmp_lt_i32_e64 s[12:13], v9, v10
	v_cmp_lt_u32_e64 s[8:9], 31, v8
	v_cndmask_b32_e64 v8, v9, v8, s[12:13]
	v_mov_b32_e32 v7, 0
	v_cmp_eq_u32_e64 s[10:11], 63, v0
	v_lshlrev_b32_e32 v8, 2, v8
	v_cmp_eq_u32_e64 s[12:13], 0, v0
	s_movk_i32 s18, 0x64
	s_branch .LBB19_2
.LBB19_1:                               ;   in Loop: Header=BB19_2 Depth=1
	s_or_b64 exec, exec, s[16:17]
	v_and_b32_e32 v0, 0xff, v0
	ds_bpermute_b32 v0, v8, v0
	s_add_i32 s18, s18, -1
	s_cmp_lg_u32 s18, 0
	s_waitcnt lgkmcnt(0)
	; wave barrier
	v_cndmask_b32_e64 v0, v0, 0, s[12:13]
	v_add_u16_e32 v6, v0, v6
	v_add_u16_e32 v4, v6, v4
	;; [unrolled: 1-line block ×3, first 2 shown]
	s_cbranch_scc0 .LBB19_4
.LBB19_2:                               ; =>This Inner Loop Header: Depth=1
	s_waitcnt vmcnt(0)
	v_add_u16_e32 v0, v4, v6
	v_add_u16_e32 v0, v0, v1
	v_and_b32_e32 v9, 0xff, v0
	s_nop 1
	v_mov_b32_dpp v9, v9 row_shr:1 row_mask:0xf bank_mask:0xf
	v_cndmask_b32_e64 v9, v9, 0, vcc
	v_add_u16_e32 v0, v9, v0
	v_and_b32_e32 v9, 0xff, v0
	s_nop 1
	v_mov_b32_dpp v9, v9 row_shr:2 row_mask:0xf bank_mask:0xf
	v_cndmask_b32_e64 v9, 0, v9, s[0:1]
	v_add_u16_e32 v0, v0, v9
	v_and_b32_e32 v9, 0xff, v0
	s_nop 1
	v_mov_b32_dpp v9, v9 row_shr:4 row_mask:0xf bank_mask:0xf
	v_cndmask_b32_e64 v9, 0, v9, s[2:3]
	;; [unrolled: 5-line block ×3, first 2 shown]
	v_add_u16_e32 v0, v0, v9
	v_and_b32_e32 v9, 0xff, v0
	s_nop 1
	v_mov_b32_dpp v9, v9 row_bcast:15 row_mask:0xf bank_mask:0xf
	v_cndmask_b32_e64 v9, v9, 0, s[6:7]
	v_add_u16_e32 v0, v0, v9
	v_and_b32_e32 v9, 0xff, v0
	s_nop 1
	v_mov_b32_dpp v9, v9 row_bcast:31 row_mask:0xf bank_mask:0xf
	v_cndmask_b32_e64 v9, 0, v9, s[8:9]
	v_add_u16_e32 v0, v0, v9
	s_and_saveexec_b64 s[16:17], s[10:11]
	s_cbranch_execz .LBB19_1
; %bb.3:                                ;   in Loop: Header=BB19_2 Depth=1
	ds_write_b8 v7, v0
	s_branch .LBB19_1
.LBB19_4:
	v_mov_b32_e32 v0, s15
	v_add_co_u32_e32 v7, vcc, s14, v5
	v_addc_co_u32_e32 v8, vcc, 0, v0, vcc
	v_add_co_u32_e32 v5, vcc, s14, v3
	global_store_byte v[7:8], v6, off
	v_addc_co_u32_e32 v6, vcc, 0, v0, vcc
	v_add_co_u32_e32 v2, vcc, s14, v2
	v_addc_co_u32_e32 v3, vcc, 0, v0, vcc
	global_store_byte v[5:6], v4, off
	global_store_byte v[2:3], v1, off
	s_endpgm
	.section	.rodata,"a",@progbits
	.p2align	6, 0x0
	.amdhsa_kernel _Z6kernelI14inclusive_scanILN6hipcub18BlockScanAlgorithmE1EEhLj64ELj3ELj100EEvPKT0_PS4_S4_
		.amdhsa_group_segment_fixed_size 1
		.amdhsa_private_segment_fixed_size 0
		.amdhsa_kernarg_size 280
		.amdhsa_user_sgpr_count 6
		.amdhsa_user_sgpr_private_segment_buffer 1
		.amdhsa_user_sgpr_dispatch_ptr 0
		.amdhsa_user_sgpr_queue_ptr 0
		.amdhsa_user_sgpr_kernarg_segment_ptr 1
		.amdhsa_user_sgpr_dispatch_id 0
		.amdhsa_user_sgpr_flat_scratch_init 0
		.amdhsa_user_sgpr_private_segment_size 0
		.amdhsa_uses_dynamic_stack 0
		.amdhsa_system_sgpr_private_segment_wavefront_offset 0
		.amdhsa_system_sgpr_workgroup_id_x 1
		.amdhsa_system_sgpr_workgroup_id_y 0
		.amdhsa_system_sgpr_workgroup_id_z 0
		.amdhsa_system_sgpr_workgroup_info 0
		.amdhsa_system_vgpr_workitem_id 0
		.amdhsa_next_free_vgpr 11
		.amdhsa_next_free_sgpr 19
		.amdhsa_reserve_vcc 1
		.amdhsa_reserve_flat_scratch 0
		.amdhsa_float_round_mode_32 0
		.amdhsa_float_round_mode_16_64 0
		.amdhsa_float_denorm_mode_32 3
		.amdhsa_float_denorm_mode_16_64 3
		.amdhsa_dx10_clamp 1
		.amdhsa_ieee_mode 1
		.amdhsa_fp16_overflow 0
		.amdhsa_exception_fp_ieee_invalid_op 0
		.amdhsa_exception_fp_denorm_src 0
		.amdhsa_exception_fp_ieee_div_zero 0
		.amdhsa_exception_fp_ieee_overflow 0
		.amdhsa_exception_fp_ieee_underflow 0
		.amdhsa_exception_fp_ieee_inexact 0
		.amdhsa_exception_int_div_zero 0
	.end_amdhsa_kernel
	.section	.text._Z6kernelI14inclusive_scanILN6hipcub18BlockScanAlgorithmE1EEhLj64ELj3ELj100EEvPKT0_PS4_S4_,"axG",@progbits,_Z6kernelI14inclusive_scanILN6hipcub18BlockScanAlgorithmE1EEhLj64ELj3ELj100EEvPKT0_PS4_S4_,comdat
.Lfunc_end19:
	.size	_Z6kernelI14inclusive_scanILN6hipcub18BlockScanAlgorithmE1EEhLj64ELj3ELj100EEvPKT0_PS4_S4_, .Lfunc_end19-_Z6kernelI14inclusive_scanILN6hipcub18BlockScanAlgorithmE1EEhLj64ELj3ELj100EEvPKT0_PS4_S4_
                                        ; -- End function
	.set _Z6kernelI14inclusive_scanILN6hipcub18BlockScanAlgorithmE1EEhLj64ELj3ELj100EEvPKT0_PS4_S4_.num_vgpr, 11
	.set _Z6kernelI14inclusive_scanILN6hipcub18BlockScanAlgorithmE1EEhLj64ELj3ELj100EEvPKT0_PS4_S4_.num_agpr, 0
	.set _Z6kernelI14inclusive_scanILN6hipcub18BlockScanAlgorithmE1EEhLj64ELj3ELj100EEvPKT0_PS4_S4_.numbered_sgpr, 19
	.set _Z6kernelI14inclusive_scanILN6hipcub18BlockScanAlgorithmE1EEhLj64ELj3ELj100EEvPKT0_PS4_S4_.num_named_barrier, 0
	.set _Z6kernelI14inclusive_scanILN6hipcub18BlockScanAlgorithmE1EEhLj64ELj3ELj100EEvPKT0_PS4_S4_.private_seg_size, 0
	.set _Z6kernelI14inclusive_scanILN6hipcub18BlockScanAlgorithmE1EEhLj64ELj3ELj100EEvPKT0_PS4_S4_.uses_vcc, 1
	.set _Z6kernelI14inclusive_scanILN6hipcub18BlockScanAlgorithmE1EEhLj64ELj3ELj100EEvPKT0_PS4_S4_.uses_flat_scratch, 0
	.set _Z6kernelI14inclusive_scanILN6hipcub18BlockScanAlgorithmE1EEhLj64ELj3ELj100EEvPKT0_PS4_S4_.has_dyn_sized_stack, 0
	.set _Z6kernelI14inclusive_scanILN6hipcub18BlockScanAlgorithmE1EEhLj64ELj3ELj100EEvPKT0_PS4_S4_.has_recursion, 0
	.set _Z6kernelI14inclusive_scanILN6hipcub18BlockScanAlgorithmE1EEhLj64ELj3ELj100EEvPKT0_PS4_S4_.has_indirect_call, 0
	.section	.AMDGPU.csdata,"",@progbits
; Kernel info:
; codeLenInByte = 536
; TotalNumSgprs: 23
; NumVgprs: 11
; ScratchSize: 0
; MemoryBound: 0
; FloatMode: 240
; IeeeMode: 1
; LDSByteSize: 1 bytes/workgroup (compile time only)
; SGPRBlocks: 2
; VGPRBlocks: 2
; NumSGPRsForWavesPerEU: 23
; NumVGPRsForWavesPerEU: 11
; Occupancy: 10
; WaveLimiterHint : 0
; COMPUTE_PGM_RSRC2:SCRATCH_EN: 0
; COMPUTE_PGM_RSRC2:USER_SGPR: 6
; COMPUTE_PGM_RSRC2:TRAP_HANDLER: 0
; COMPUTE_PGM_RSRC2:TGID_X_EN: 1
; COMPUTE_PGM_RSRC2:TGID_Y_EN: 0
; COMPUTE_PGM_RSRC2:TGID_Z_EN: 0
; COMPUTE_PGM_RSRC2:TIDIG_COMP_CNT: 0
	.section	.text._Z6kernelI14inclusive_scanILN6hipcub18BlockScanAlgorithmE1EEhLj64ELj4ELj100EEvPKT0_PS4_S4_,"axG",@progbits,_Z6kernelI14inclusive_scanILN6hipcub18BlockScanAlgorithmE1EEhLj64ELj4ELj100EEvPKT0_PS4_S4_,comdat
	.protected	_Z6kernelI14inclusive_scanILN6hipcub18BlockScanAlgorithmE1EEhLj64ELj4ELj100EEvPKT0_PS4_S4_ ; -- Begin function _Z6kernelI14inclusive_scanILN6hipcub18BlockScanAlgorithmE1EEhLj64ELj4ELj100EEvPKT0_PS4_S4_
	.globl	_Z6kernelI14inclusive_scanILN6hipcub18BlockScanAlgorithmE1EEhLj64ELj4ELj100EEvPKT0_PS4_S4_
	.p2align	8
	.type	_Z6kernelI14inclusive_scanILN6hipcub18BlockScanAlgorithmE1EEhLj64ELj4ELj100EEvPKT0_PS4_S4_,@function
_Z6kernelI14inclusive_scanILN6hipcub18BlockScanAlgorithmE1EEhLj64ELj4ELj100EEvPKT0_PS4_S4_: ; @_Z6kernelI14inclusive_scanILN6hipcub18BlockScanAlgorithmE1EEhLj64ELj4ELj100EEvPKT0_PS4_S4_
; %bb.0:
	s_load_dword s0, s[4:5], 0x24
	s_load_dwordx4 s[16:19], s[4:5], 0x0
	v_mbcnt_lo_u32_b32 v4, -1, 0
	v_mbcnt_hi_u32_b32 v4, -1, v4
	v_add_u32_e32 v6, -1, v4
	s_waitcnt lgkmcnt(0)
	s_and_b32 s0, s0, 0xffff
	s_mul_i32 s6, s6, s0
	v_add_lshl_u32 v1, s6, v0, 2
	global_load_dword v2, v1, s[16:17]
	v_and_b32_e32 v7, 64, v4
	v_cmp_eq_u32_e32 vcc, 63, v0
	v_cmp_eq_u32_e64 s[0:1], 0, v0
	v_and_b32_e32 v0, 15, v4
	v_cmp_lt_i32_e64 s[14:15], v6, v7
	v_and_b32_e32 v5, 16, v4
	v_cmp_eq_u32_e64 s[4:5], 0, v0
	v_cmp_lt_u32_e64 s[6:7], 1, v0
	v_cmp_lt_u32_e64 s[8:9], 3, v0
	;; [unrolled: 1-line block ×3, first 2 shown]
	v_cndmask_b32_e64 v0, v6, v4, s[14:15]
	v_mov_b32_e32 v3, 0
	v_cmp_lt_u32_e64 s[2:3], 31, v4
	v_cmp_eq_u32_e64 s[12:13], 0, v5
	v_lshlrev_b32_e32 v5, 2, v0
	s_movk_i32 s16, 0x64
	s_waitcnt vmcnt(0)
	v_lshrrev_b32_e32 v4, 24, v2
	v_lshrrev_b32_e32 v0, 16, v2
	;; [unrolled: 1-line block ×3, first 2 shown]
	s_branch .LBB20_2
.LBB20_1:                               ;   in Loop: Header=BB20_2 Depth=1
	s_or_b64 exec, exec, s[14:15]
	v_and_b32_e32 v7, 0xff, v7
	ds_bpermute_b32 v7, v5, v7
	s_add_i32 s16, s16, -1
	s_cmp_lg_u32 s16, 0
	s_waitcnt lgkmcnt(0)
	; wave barrier
	v_cndmask_b32_e64 v7, v7, 0, s[0:1]
	v_add_u16_e32 v2, v7, v2
	v_add_u16_e32 v6, v2, v6
	;; [unrolled: 1-line block ×4, first 2 shown]
	s_cbranch_scc0 .LBB20_4
.LBB20_2:                               ; =>This Inner Loop Header: Depth=1
	v_add_u16_e32 v7, v6, v2
	v_add_u16_e32 v7, v7, v0
	;; [unrolled: 1-line block ×3, first 2 shown]
	v_and_b32_e32 v8, 0xff, v7
	s_nop 1
	v_mov_b32_dpp v8, v8 row_shr:1 row_mask:0xf bank_mask:0xf
	v_cndmask_b32_e64 v8, v8, 0, s[4:5]
	v_add_u16_e32 v7, v7, v8
	v_and_b32_e32 v8, 0xff, v7
	s_nop 1
	v_mov_b32_dpp v8, v8 row_shr:2 row_mask:0xf bank_mask:0xf
	v_cndmask_b32_e64 v8, 0, v8, s[6:7]
	v_add_u16_e32 v7, v7, v8
	;; [unrolled: 5-line block ×4, first 2 shown]
	v_and_b32_e32 v8, 0xff, v7
	s_nop 1
	v_mov_b32_dpp v8, v8 row_bcast:15 row_mask:0xf bank_mask:0xf
	v_cndmask_b32_e64 v8, v8, 0, s[12:13]
	v_add_u16_e32 v7, v7, v8
	v_and_b32_e32 v8, 0xff, v7
	s_nop 1
	v_mov_b32_dpp v8, v8 row_bcast:31 row_mask:0xf bank_mask:0xf
	v_cndmask_b32_e64 v8, 0, v8, s[2:3]
	v_add_u16_e32 v7, v7, v8
	s_and_saveexec_b64 s[14:15], vcc
	s_cbranch_execz .LBB20_1
; %bb.3:                                ;   in Loop: Header=BB20_2 Depth=1
	ds_write_b8 v3, v7
	s_branch .LBB20_1
.LBB20_4:
	v_lshlrev_b16_e32 v3, 8, v6
	v_or_b32_sdwa v2, v2, v3 dst_sel:DWORD dst_unused:UNUSED_PAD src0_sel:BYTE_0 src1_sel:DWORD
	v_lshlrev_b16_e32 v3, 8, v4
	v_or_b32_sdwa v0, v0, v3 dst_sel:WORD_1 dst_unused:UNUSED_PAD src0_sel:BYTE_0 src1_sel:DWORD
	v_or_b32_sdwa v2, v2, v0 dst_sel:DWORD dst_unused:UNUSED_PAD src0_sel:WORD_0 src1_sel:DWORD
	v_mov_b32_e32 v3, s19
	v_add_co_u32_e32 v0, vcc, s18, v1
	v_addc_co_u32_e32 v1, vcc, 0, v3, vcc
	global_store_dword v[0:1], v2, off
	s_endpgm
	.section	.rodata,"a",@progbits
	.p2align	6, 0x0
	.amdhsa_kernel _Z6kernelI14inclusive_scanILN6hipcub18BlockScanAlgorithmE1EEhLj64ELj4ELj100EEvPKT0_PS4_S4_
		.amdhsa_group_segment_fixed_size 1
		.amdhsa_private_segment_fixed_size 0
		.amdhsa_kernarg_size 280
		.amdhsa_user_sgpr_count 6
		.amdhsa_user_sgpr_private_segment_buffer 1
		.amdhsa_user_sgpr_dispatch_ptr 0
		.amdhsa_user_sgpr_queue_ptr 0
		.amdhsa_user_sgpr_kernarg_segment_ptr 1
		.amdhsa_user_sgpr_dispatch_id 0
		.amdhsa_user_sgpr_flat_scratch_init 0
		.amdhsa_user_sgpr_private_segment_size 0
		.amdhsa_uses_dynamic_stack 0
		.amdhsa_system_sgpr_private_segment_wavefront_offset 0
		.amdhsa_system_sgpr_workgroup_id_x 1
		.amdhsa_system_sgpr_workgroup_id_y 0
		.amdhsa_system_sgpr_workgroup_id_z 0
		.amdhsa_system_sgpr_workgroup_info 0
		.amdhsa_system_vgpr_workitem_id 0
		.amdhsa_next_free_vgpr 9
		.amdhsa_next_free_sgpr 20
		.amdhsa_reserve_vcc 1
		.amdhsa_reserve_flat_scratch 0
		.amdhsa_float_round_mode_32 0
		.amdhsa_float_round_mode_16_64 0
		.amdhsa_float_denorm_mode_32 3
		.amdhsa_float_denorm_mode_16_64 3
		.amdhsa_dx10_clamp 1
		.amdhsa_ieee_mode 1
		.amdhsa_fp16_overflow 0
		.amdhsa_exception_fp_ieee_invalid_op 0
		.amdhsa_exception_fp_denorm_src 0
		.amdhsa_exception_fp_ieee_div_zero 0
		.amdhsa_exception_fp_ieee_overflow 0
		.amdhsa_exception_fp_ieee_underflow 0
		.amdhsa_exception_fp_ieee_inexact 0
		.amdhsa_exception_int_div_zero 0
	.end_amdhsa_kernel
	.section	.text._Z6kernelI14inclusive_scanILN6hipcub18BlockScanAlgorithmE1EEhLj64ELj4ELj100EEvPKT0_PS4_S4_,"axG",@progbits,_Z6kernelI14inclusive_scanILN6hipcub18BlockScanAlgorithmE1EEhLj64ELj4ELj100EEvPKT0_PS4_S4_,comdat
.Lfunc_end20:
	.size	_Z6kernelI14inclusive_scanILN6hipcub18BlockScanAlgorithmE1EEhLj64ELj4ELj100EEvPKT0_PS4_S4_, .Lfunc_end20-_Z6kernelI14inclusive_scanILN6hipcub18BlockScanAlgorithmE1EEhLj64ELj4ELj100EEvPKT0_PS4_S4_
                                        ; -- End function
	.set _Z6kernelI14inclusive_scanILN6hipcub18BlockScanAlgorithmE1EEhLj64ELj4ELj100EEvPKT0_PS4_S4_.num_vgpr, 9
	.set _Z6kernelI14inclusive_scanILN6hipcub18BlockScanAlgorithmE1EEhLj64ELj4ELj100EEvPKT0_PS4_S4_.num_agpr, 0
	.set _Z6kernelI14inclusive_scanILN6hipcub18BlockScanAlgorithmE1EEhLj64ELj4ELj100EEvPKT0_PS4_S4_.numbered_sgpr, 20
	.set _Z6kernelI14inclusive_scanILN6hipcub18BlockScanAlgorithmE1EEhLj64ELj4ELj100EEvPKT0_PS4_S4_.num_named_barrier, 0
	.set _Z6kernelI14inclusive_scanILN6hipcub18BlockScanAlgorithmE1EEhLj64ELj4ELj100EEvPKT0_PS4_S4_.private_seg_size, 0
	.set _Z6kernelI14inclusive_scanILN6hipcub18BlockScanAlgorithmE1EEhLj64ELj4ELj100EEvPKT0_PS4_S4_.uses_vcc, 1
	.set _Z6kernelI14inclusive_scanILN6hipcub18BlockScanAlgorithmE1EEhLj64ELj4ELj100EEvPKT0_PS4_S4_.uses_flat_scratch, 0
	.set _Z6kernelI14inclusive_scanILN6hipcub18BlockScanAlgorithmE1EEhLj64ELj4ELj100EEvPKT0_PS4_S4_.has_dyn_sized_stack, 0
	.set _Z6kernelI14inclusive_scanILN6hipcub18BlockScanAlgorithmE1EEhLj64ELj4ELj100EEvPKT0_PS4_S4_.has_recursion, 0
	.set _Z6kernelI14inclusive_scanILN6hipcub18BlockScanAlgorithmE1EEhLj64ELj4ELj100EEvPKT0_PS4_S4_.has_indirect_call, 0
	.section	.AMDGPU.csdata,"",@progbits
; Kernel info:
; codeLenInByte = 528
; TotalNumSgprs: 24
; NumVgprs: 9
; ScratchSize: 0
; MemoryBound: 0
; FloatMode: 240
; IeeeMode: 1
; LDSByteSize: 1 bytes/workgroup (compile time only)
; SGPRBlocks: 2
; VGPRBlocks: 2
; NumSGPRsForWavesPerEU: 24
; NumVGPRsForWavesPerEU: 9
; Occupancy: 10
; WaveLimiterHint : 0
; COMPUTE_PGM_RSRC2:SCRATCH_EN: 0
; COMPUTE_PGM_RSRC2:USER_SGPR: 6
; COMPUTE_PGM_RSRC2:TRAP_HANDLER: 0
; COMPUTE_PGM_RSRC2:TGID_X_EN: 1
; COMPUTE_PGM_RSRC2:TGID_Y_EN: 0
; COMPUTE_PGM_RSRC2:TGID_Z_EN: 0
; COMPUTE_PGM_RSRC2:TIDIG_COMP_CNT: 0
	.section	.text._Z6kernelI14inclusive_scanILN6hipcub18BlockScanAlgorithmE1EEhLj64ELj8ELj100EEvPKT0_PS4_S4_,"axG",@progbits,_Z6kernelI14inclusive_scanILN6hipcub18BlockScanAlgorithmE1EEhLj64ELj8ELj100EEvPKT0_PS4_S4_,comdat
	.protected	_Z6kernelI14inclusive_scanILN6hipcub18BlockScanAlgorithmE1EEhLj64ELj8ELj100EEvPKT0_PS4_S4_ ; -- Begin function _Z6kernelI14inclusive_scanILN6hipcub18BlockScanAlgorithmE1EEhLj64ELj8ELj100EEvPKT0_PS4_S4_
	.globl	_Z6kernelI14inclusive_scanILN6hipcub18BlockScanAlgorithmE1EEhLj64ELj8ELj100EEvPKT0_PS4_S4_
	.p2align	8
	.type	_Z6kernelI14inclusive_scanILN6hipcub18BlockScanAlgorithmE1EEhLj64ELj8ELj100EEvPKT0_PS4_S4_,@function
_Z6kernelI14inclusive_scanILN6hipcub18BlockScanAlgorithmE1EEhLj64ELj8ELj100EEvPKT0_PS4_S4_: ; @_Z6kernelI14inclusive_scanILN6hipcub18BlockScanAlgorithmE1EEhLj64ELj8ELj100EEvPKT0_PS4_S4_
; %bb.0:
	s_load_dword s0, s[4:5], 0x24
	s_load_dwordx4 s[12:15], s[4:5], 0x0
	v_mbcnt_lo_u32_b32 v5, -1, 0
	v_mbcnt_hi_u32_b32 v5, -1, v5
	v_and_b32_e32 v6, 15, v5
	s_waitcnt lgkmcnt(0)
	s_and_b32 s0, s0, 0xffff
	s_mul_i32 s6, s6, s0
	v_add_lshl_u32 v3, s6, v0, 3
	global_load_dwordx2 v[1:2], v3, s[12:13]
	v_cmp_eq_u32_e32 vcc, 0, v6
	v_cmp_lt_u32_e64 s[0:1], 1, v6
	v_cmp_lt_u32_e64 s[2:3], 3, v6
	;; [unrolled: 1-line block ×3, first 2 shown]
	v_and_b32_e32 v6, 16, v5
	v_cmp_eq_u32_e64 s[6:7], 0, v6
	v_add_u32_e32 v6, -1, v5
	v_and_b32_e32 v7, 64, v5
	v_cmp_lt_i32_e64 s[12:13], v6, v7
	v_cmp_lt_u32_e64 s[8:9], 31, v5
	v_cndmask_b32_e64 v5, v6, v5, s[12:13]
	v_mov_b32_e32 v4, 0
	v_cmp_eq_u32_e64 s[10:11], 63, v0
	v_lshlrev_b32_e32 v5, 2, v5
	v_cmp_eq_u32_e64 s[12:13], 0, v0
	s_movk_i32 s18, 0x64
	s_branch .LBB21_2
.LBB21_1:                               ;   in Loop: Header=BB21_2 Depth=1
	s_or_b64 exec, exec, s[16:17]
	v_and_b32_e32 v7, 0xff, v7
	ds_bpermute_b32 v7, v5, v7
	s_add_i32 s18, s18, -1
	s_cmp_lg_u32 s18, 0
	s_waitcnt lgkmcnt(0)
	; wave barrier
	v_cndmask_b32_e64 v7, v7, 0, s[12:13]
	v_add_u16_e32 v7, v7, v1
	v_add_u16_e32 v6, v7, v6
	v_add_u16_sdwa v8, v6, v1 dst_sel:DWORD dst_unused:UNUSED_PAD src0_sel:DWORD src1_sel:WORD_1
	v_lshlrev_b16_e32 v10, 8, v6
	v_add_u16_sdwa v9, v8, v1 dst_sel:DWORD dst_unused:UNUSED_PAD src0_sel:DWORD src1_sel:BYTE_3
	v_or_b32_sdwa v1, v7, v10 dst_sel:DWORD dst_unused:UNUSED_PAD src0_sel:BYTE_0 src1_sel:DWORD
	v_add_u16_e32 v10, v9, v2
	v_add_u16_e32 v0, v10, v0
	v_add_u16_sdwa v11, v0, v2 dst_sel:DWORD dst_unused:UNUSED_PAD src0_sel:DWORD src1_sel:WORD_1
	v_add_u16_sdwa v12, v11, v2 dst_sel:DWORD dst_unused:UNUSED_PAD src0_sel:DWORD src1_sel:BYTE_3
	v_lshlrev_b16_e32 v2, 8, v9
	v_or_b32_sdwa v2, v8, v2 dst_sel:WORD_1 dst_unused:UNUSED_PAD src0_sel:BYTE_0 src1_sel:DWORD
	v_or_b32_sdwa v1, v1, v2 dst_sel:DWORD dst_unused:UNUSED_PAD src0_sel:WORD_0 src1_sel:DWORD
	v_lshlrev_b16_e32 v2, 8, v0
	v_lshlrev_b16_e32 v13, 8, v12
	v_or_b32_sdwa v2, v10, v2 dst_sel:DWORD dst_unused:UNUSED_PAD src0_sel:BYTE_0 src1_sel:DWORD
	v_or_b32_sdwa v13, v11, v13 dst_sel:WORD_1 dst_unused:UNUSED_PAD src0_sel:BYTE_0 src1_sel:DWORD
	v_or_b32_sdwa v2, v2, v13 dst_sel:DWORD dst_unused:UNUSED_PAD src0_sel:WORD_0 src1_sel:DWORD
	s_cbranch_scc0 .LBB21_4
.LBB21_2:                               ; =>This Inner Loop Header: Depth=1
	s_waitcnt vmcnt(0)
	v_lshrrev_b32_e32 v6, 8, v1
	v_add_u16_e32 v7, v6, v1
	v_add_u16_sdwa v7, v7, v1 dst_sel:DWORD dst_unused:UNUSED_PAD src0_sel:DWORD src1_sel:WORD_1
	v_add_u16_sdwa v7, v7, v1 dst_sel:DWORD dst_unused:UNUSED_PAD src0_sel:DWORD src1_sel:BYTE_3
	v_lshrrev_b32_e32 v0, 8, v2
	v_add_u16_e32 v7, v7, v2
	v_add_u16_e32 v7, v7, v0
	v_add_u16_sdwa v7, v7, v2 dst_sel:DWORD dst_unused:UNUSED_PAD src0_sel:DWORD src1_sel:WORD_1
	v_add_u16_sdwa v7, v7, v2 dst_sel:DWORD dst_unused:UNUSED_PAD src0_sel:DWORD src1_sel:BYTE_3
	v_and_b32_e32 v8, 0xff, v7
	s_nop 1
	v_mov_b32_dpp v8, v8 row_shr:1 row_mask:0xf bank_mask:0xf
	v_cndmask_b32_e64 v8, v8, 0, vcc
	v_add_u16_e32 v7, v7, v8
	v_and_b32_e32 v8, 0xff, v7
	s_nop 1
	v_mov_b32_dpp v8, v8 row_shr:2 row_mask:0xf bank_mask:0xf
	v_cndmask_b32_e64 v8, 0, v8, s[0:1]
	v_add_u16_e32 v7, v7, v8
	v_and_b32_e32 v8, 0xff, v7
	s_nop 1
	v_mov_b32_dpp v8, v8 row_shr:4 row_mask:0xf bank_mask:0xf
	v_cndmask_b32_e64 v8, 0, v8, s[2:3]
	;; [unrolled: 5-line block ×3, first 2 shown]
	v_add_u16_e32 v7, v7, v8
	v_and_b32_e32 v8, 0xff, v7
	s_nop 1
	v_mov_b32_dpp v8, v8 row_bcast:15 row_mask:0xf bank_mask:0xf
	v_cndmask_b32_e64 v8, v8, 0, s[6:7]
	v_add_u16_e32 v7, v7, v8
	v_and_b32_e32 v8, 0xff, v7
	s_nop 1
	v_mov_b32_dpp v8, v8 row_bcast:31 row_mask:0xf bank_mask:0xf
	v_cndmask_b32_e64 v8, 0, v8, s[8:9]
	v_add_u16_e32 v7, v7, v8
	s_and_saveexec_b64 s[16:17], s[10:11]
	s_cbranch_execz .LBB21_1
; %bb.3:                                ;   in Loop: Header=BB21_2 Depth=1
	ds_write_b8 v4, v7
	s_branch .LBB21_1
.LBB21_4:
	s_mov_b32 s0, 0xc0c0004
	v_add_co_u32_e32 v1, vcc, s14, v3
	v_perm_b32 v0, v10, v0, s0
	v_perm_b32 v3, v11, v12, s0
	v_mov_b32_e32 v2, s15
	v_lshl_or_b32 v4, v3, 16, v0
	v_perm_b32 v0, v7, v6, s0
	v_perm_b32 v3, v8, v9, s0
	v_addc_co_u32_e32 v2, vcc, 0, v2, vcc
	v_lshl_or_b32 v3, v3, 16, v0
	global_store_dwordx2 v[1:2], v[3:4], off
	s_endpgm
	.section	.rodata,"a",@progbits
	.p2align	6, 0x0
	.amdhsa_kernel _Z6kernelI14inclusive_scanILN6hipcub18BlockScanAlgorithmE1EEhLj64ELj8ELj100EEvPKT0_PS4_S4_
		.amdhsa_group_segment_fixed_size 1
		.amdhsa_private_segment_fixed_size 0
		.amdhsa_kernarg_size 280
		.amdhsa_user_sgpr_count 6
		.amdhsa_user_sgpr_private_segment_buffer 1
		.amdhsa_user_sgpr_dispatch_ptr 0
		.amdhsa_user_sgpr_queue_ptr 0
		.amdhsa_user_sgpr_kernarg_segment_ptr 1
		.amdhsa_user_sgpr_dispatch_id 0
		.amdhsa_user_sgpr_flat_scratch_init 0
		.amdhsa_user_sgpr_private_segment_size 0
		.amdhsa_uses_dynamic_stack 0
		.amdhsa_system_sgpr_private_segment_wavefront_offset 0
		.amdhsa_system_sgpr_workgroup_id_x 1
		.amdhsa_system_sgpr_workgroup_id_y 0
		.amdhsa_system_sgpr_workgroup_id_z 0
		.amdhsa_system_sgpr_workgroup_info 0
		.amdhsa_system_vgpr_workitem_id 0
		.amdhsa_next_free_vgpr 14
		.amdhsa_next_free_sgpr 19
		.amdhsa_reserve_vcc 1
		.amdhsa_reserve_flat_scratch 0
		.amdhsa_float_round_mode_32 0
		.amdhsa_float_round_mode_16_64 0
		.amdhsa_float_denorm_mode_32 3
		.amdhsa_float_denorm_mode_16_64 3
		.amdhsa_dx10_clamp 1
		.amdhsa_ieee_mode 1
		.amdhsa_fp16_overflow 0
		.amdhsa_exception_fp_ieee_invalid_op 0
		.amdhsa_exception_fp_denorm_src 0
		.amdhsa_exception_fp_ieee_div_zero 0
		.amdhsa_exception_fp_ieee_overflow 0
		.amdhsa_exception_fp_ieee_underflow 0
		.amdhsa_exception_fp_ieee_inexact 0
		.amdhsa_exception_int_div_zero 0
	.end_amdhsa_kernel
	.section	.text._Z6kernelI14inclusive_scanILN6hipcub18BlockScanAlgorithmE1EEhLj64ELj8ELj100EEvPKT0_PS4_S4_,"axG",@progbits,_Z6kernelI14inclusive_scanILN6hipcub18BlockScanAlgorithmE1EEhLj64ELj8ELj100EEvPKT0_PS4_S4_,comdat
.Lfunc_end21:
	.size	_Z6kernelI14inclusive_scanILN6hipcub18BlockScanAlgorithmE1EEhLj64ELj8ELj100EEvPKT0_PS4_S4_, .Lfunc_end21-_Z6kernelI14inclusive_scanILN6hipcub18BlockScanAlgorithmE1EEhLj64ELj8ELj100EEvPKT0_PS4_S4_
                                        ; -- End function
	.set _Z6kernelI14inclusive_scanILN6hipcub18BlockScanAlgorithmE1EEhLj64ELj8ELj100EEvPKT0_PS4_S4_.num_vgpr, 14
	.set _Z6kernelI14inclusive_scanILN6hipcub18BlockScanAlgorithmE1EEhLj64ELj8ELj100EEvPKT0_PS4_S4_.num_agpr, 0
	.set _Z6kernelI14inclusive_scanILN6hipcub18BlockScanAlgorithmE1EEhLj64ELj8ELj100EEvPKT0_PS4_S4_.numbered_sgpr, 19
	.set _Z6kernelI14inclusive_scanILN6hipcub18BlockScanAlgorithmE1EEhLj64ELj8ELj100EEvPKT0_PS4_S4_.num_named_barrier, 0
	.set _Z6kernelI14inclusive_scanILN6hipcub18BlockScanAlgorithmE1EEhLj64ELj8ELj100EEvPKT0_PS4_S4_.private_seg_size, 0
	.set _Z6kernelI14inclusive_scanILN6hipcub18BlockScanAlgorithmE1EEhLj64ELj8ELj100EEvPKT0_PS4_S4_.uses_vcc, 1
	.set _Z6kernelI14inclusive_scanILN6hipcub18BlockScanAlgorithmE1EEhLj64ELj8ELj100EEvPKT0_PS4_S4_.uses_flat_scratch, 0
	.set _Z6kernelI14inclusive_scanILN6hipcub18BlockScanAlgorithmE1EEhLj64ELj8ELj100EEvPKT0_PS4_S4_.has_dyn_sized_stack, 0
	.set _Z6kernelI14inclusive_scanILN6hipcub18BlockScanAlgorithmE1EEhLj64ELj8ELj100EEvPKT0_PS4_S4_.has_recursion, 0
	.set _Z6kernelI14inclusive_scanILN6hipcub18BlockScanAlgorithmE1EEhLj64ELj8ELj100EEvPKT0_PS4_S4_.has_indirect_call, 0
	.section	.AMDGPU.csdata,"",@progbits
; Kernel info:
; codeLenInByte = 676
; TotalNumSgprs: 23
; NumVgprs: 14
; ScratchSize: 0
; MemoryBound: 0
; FloatMode: 240
; IeeeMode: 1
; LDSByteSize: 1 bytes/workgroup (compile time only)
; SGPRBlocks: 2
; VGPRBlocks: 3
; NumSGPRsForWavesPerEU: 23
; NumVGPRsForWavesPerEU: 14
; Occupancy: 10
; WaveLimiterHint : 0
; COMPUTE_PGM_RSRC2:SCRATCH_EN: 0
; COMPUTE_PGM_RSRC2:USER_SGPR: 6
; COMPUTE_PGM_RSRC2:TRAP_HANDLER: 0
; COMPUTE_PGM_RSRC2:TGID_X_EN: 1
; COMPUTE_PGM_RSRC2:TGID_Y_EN: 0
; COMPUTE_PGM_RSRC2:TGID_Z_EN: 0
; COMPUTE_PGM_RSRC2:TIDIG_COMP_CNT: 0
	.section	.text._Z6kernelI14inclusive_scanILN6hipcub18BlockScanAlgorithmE1EEhLj64ELj11ELj100EEvPKT0_PS4_S4_,"axG",@progbits,_Z6kernelI14inclusive_scanILN6hipcub18BlockScanAlgorithmE1EEhLj64ELj11ELj100EEvPKT0_PS4_S4_,comdat
	.protected	_Z6kernelI14inclusive_scanILN6hipcub18BlockScanAlgorithmE1EEhLj64ELj11ELj100EEvPKT0_PS4_S4_ ; -- Begin function _Z6kernelI14inclusive_scanILN6hipcub18BlockScanAlgorithmE1EEhLj64ELj11ELj100EEvPKT0_PS4_S4_
	.globl	_Z6kernelI14inclusive_scanILN6hipcub18BlockScanAlgorithmE1EEhLj64ELj11ELj100EEvPKT0_PS4_S4_
	.p2align	8
	.type	_Z6kernelI14inclusive_scanILN6hipcub18BlockScanAlgorithmE1EEhLj64ELj11ELj100EEvPKT0_PS4_S4_,@function
_Z6kernelI14inclusive_scanILN6hipcub18BlockScanAlgorithmE1EEhLj64ELj11ELj100EEvPKT0_PS4_S4_: ; @_Z6kernelI14inclusive_scanILN6hipcub18BlockScanAlgorithmE1EEhLj64ELj11ELj100EEvPKT0_PS4_S4_
; %bb.0:
	s_load_dword s0, s[4:5], 0x24
	s_load_dwordx4 s[16:19], s[4:5], 0x0
	v_mbcnt_lo_u32_b32 v7, -1, 0
	v_mbcnt_hi_u32_b32 v14, -1, v7
	v_cmp_eq_u32_e32 vcc, 63, v0
	s_waitcnt lgkmcnt(0)
	s_and_b32 s0, s0, 0xffff
	s_mul_i32 s6, s6, s0
	v_add_u32_e32 v1, s6, v0
	v_mul_lo_u32 v6, v1, 11
	v_cmp_eq_u32_e64 s[0:1], 0, v0
	v_and_b32_e32 v0, 15, v14
	v_and_b32_e32 v7, 16, v14
	v_add_u32_e32 v3, 3, v6
	v_add_u32_e32 v5, 1, v6
	;; [unrolled: 1-line block ×5, first 2 shown]
	global_load_ubyte v16, v6, s[16:17]
	global_load_ubyte v17, v5, s[16:17]
	;; [unrolled: 1-line block ×3, first 2 shown]
	v_add_u32_e32 v15, -1, v14
	v_and_b32_e32 v8, 64, v14
	v_add_u32_e32 v13, 6, v6
	v_add_u32_e32 v11, 7, v6
	;; [unrolled: 1-line block ×3, first 2 shown]
	global_load_ubyte v19, v3, s[16:17]
	global_load_ubyte v20, v1, s[16:17]
	;; [unrolled: 1-line block ×5, first 2 shown]
	v_cmp_eq_u32_e64 s[2:3], 0, v0
	v_cmp_lt_u32_e64 s[4:5], 1, v0
	v_cmp_lt_u32_e64 s[6:7], 3, v0
	;; [unrolled: 1-line block ×3, first 2 shown]
	v_cmp_eq_u32_e64 s[10:11], 0, v7
	v_cmp_lt_i32_e64 s[14:15], v15, v8
	v_add_u32_e32 v0, 9, v6
	v_add_u32_e32 v7, 10, v6
	global_load_ubyte v12, v9, s[16:17]
	global_load_ubyte v10, v0, s[16:17]
	;; [unrolled: 1-line block ×3, first 2 shown]
	s_mov_b32 s16, 0xc0c0004
	v_cndmask_b32_e64 v15, v15, v14, s[14:15]
	v_cmp_lt_u32_e64 s[12:13], 31, v14
	v_mov_b32_e32 v14, 0
	v_lshlrev_b32_e32 v15, 2, v15
	s_waitcnt vmcnt(9)
	v_perm_b32 v16, v16, v17, s16
	s_waitcnt vmcnt(7)
	v_perm_b32 v17, v18, v19, s16
	v_lshl_or_b32 v17, v17, 16, v16
	s_waitcnt vmcnt(5)
	v_perm_b32 v18, v21, v20, s16
	s_waitcnt vmcnt(3)
	v_perm_b32 v19, v23, v22, s16
	v_lshl_or_b32 v16, v19, 16, v18
	s_movk_i32 s16, 0x64
	s_branch .LBB22_2
.LBB22_1:                               ;   in Loop: Header=BB22_2 Depth=1
	s_or_b64 exec, exec, s[14:15]
	v_and_b32_e32 v20, 0xff, v20
	ds_bpermute_b32 v20, v15, v20
	s_add_i32 s16, s16, -1
	s_cmp_lg_u32 s16, 0
	s_waitcnt lgkmcnt(0)
	; wave barrier
	v_cndmask_b32_e64 v20, v20, 0, s[0:1]
	v_add_u16_e32 v25, v20, v17
	v_add_u16_e32 v24, v25, v19
	v_add_u16_sdwa v22, v24, v17 dst_sel:DWORD dst_unused:UNUSED_PAD src0_sel:DWORD src1_sel:WORD_1
	v_add_u16_sdwa v23, v22, v17 dst_sel:DWORD dst_unused:UNUSED_PAD src0_sel:DWORD src1_sel:BYTE_3
	v_lshlrev_b16_e32 v19, 8, v24
	v_add_u16_e32 v20, v23, v16
	v_or_b32_sdwa v17, v25, v19 dst_sel:DWORD dst_unused:UNUSED_PAD src0_sel:BYTE_0 src1_sel:DWORD
	v_lshlrev_b16_e32 v19, 8, v23
	v_add_u16_e32 v21, v20, v18
	v_or_b32_sdwa v18, v22, v19 dst_sel:WORD_1 dst_unused:UNUSED_PAD src0_sel:BYTE_0 src1_sel:DWORD
	v_add_u16_sdwa v19, v21, v16 dst_sel:DWORD dst_unused:UNUSED_PAD src0_sel:DWORD src1_sel:WORD_1
	v_or_b32_sdwa v17, v17, v18 dst_sel:DWORD dst_unused:UNUSED_PAD src0_sel:WORD_0 src1_sel:DWORD
	v_add_u16_sdwa v18, v19, v16 dst_sel:DWORD dst_unused:UNUSED_PAD src0_sel:DWORD src1_sel:BYTE_3
	v_lshlrev_b16_e32 v16, 8, v21
	v_lshlrev_b16_e32 v26, 8, v18
	v_add_u16_e32 v12, v18, v12
	v_or_b32_sdwa v16, v20, v16 dst_sel:DWORD dst_unused:UNUSED_PAD src0_sel:BYTE_0 src1_sel:DWORD
	v_or_b32_sdwa v26, v19, v26 dst_sel:WORD_1 dst_unused:UNUSED_PAD src0_sel:BYTE_0 src1_sel:DWORD
	v_add_u16_e32 v10, v12, v10
	v_or_b32_sdwa v16, v16, v26 dst_sel:DWORD dst_unused:UNUSED_PAD src0_sel:WORD_0 src1_sel:DWORD
	v_add_u16_e32 v8, v10, v8
	s_cbranch_scc0 .LBB22_4
.LBB22_2:                               ; =>This Inner Loop Header: Depth=1
	v_lshrrev_b32_e32 v19, 8, v17
	v_add_u16_e32 v20, v19, v17
	v_add_u16_sdwa v20, v20, v17 dst_sel:DWORD dst_unused:UNUSED_PAD src0_sel:DWORD src1_sel:WORD_1
	v_add_u16_sdwa v20, v20, v17 dst_sel:DWORD dst_unused:UNUSED_PAD src0_sel:DWORD src1_sel:BYTE_3
	v_lshrrev_b32_e32 v18, 8, v16
	v_add_u16_e32 v20, v20, v16
	v_add_u16_e32 v20, v20, v18
	v_add_u16_sdwa v20, v20, v16 dst_sel:DWORD dst_unused:UNUSED_PAD src0_sel:DWORD src1_sel:WORD_1
	v_add_u16_sdwa v20, v20, v16 dst_sel:DWORD dst_unused:UNUSED_PAD src0_sel:DWORD src1_sel:BYTE_3
	s_waitcnt vmcnt(2)
	v_add_u16_e32 v20, v20, v12
	s_waitcnt vmcnt(1)
	v_add_u16_e32 v20, v20, v10
	;; [unrolled: 2-line block ×3, first 2 shown]
	v_and_b32_e32 v21, 0xff, v20
	s_nop 1
	v_mov_b32_dpp v21, v21 row_shr:1 row_mask:0xf bank_mask:0xf
	v_cndmask_b32_e64 v21, v21, 0, s[2:3]
	v_add_u16_e32 v20, v20, v21
	v_and_b32_e32 v21, 0xff, v20
	s_nop 1
	v_mov_b32_dpp v21, v21 row_shr:2 row_mask:0xf bank_mask:0xf
	v_cndmask_b32_e64 v21, 0, v21, s[4:5]
	v_add_u16_e32 v20, v20, v21
	;; [unrolled: 5-line block ×4, first 2 shown]
	v_and_b32_e32 v21, 0xff, v20
	s_nop 1
	v_mov_b32_dpp v21, v21 row_bcast:15 row_mask:0xf bank_mask:0xf
	v_cndmask_b32_e64 v21, v21, 0, s[10:11]
	v_add_u16_e32 v20, v20, v21
	v_and_b32_e32 v21, 0xff, v20
	s_nop 1
	v_mov_b32_dpp v21, v21 row_bcast:31 row_mask:0xf bank_mask:0xf
	v_cndmask_b32_e64 v21, 0, v21, s[12:13]
	v_add_u16_e32 v20, v20, v21
	s_and_saveexec_b64 s[14:15], vcc
	s_cbranch_execz .LBB22_1
; %bb.3:                                ;   in Loop: Header=BB22_2 Depth=1
	ds_write_b8 v14, v20
	s_branch .LBB22_1
.LBB22_4:
	v_mov_b32_e32 v15, s19
	v_add_co_u32_e32 v14, vcc, s18, v6
	v_addc_co_u32_e32 v15, vcc, 0, v15, vcc
	v_mov_b32_e32 v6, s19
	v_add_co_u32_e32 v5, vcc, s18, v5
	v_addc_co_u32_e32 v6, vcc, 0, v6, vcc
	global_store_byte v[5:6], v24, off
	v_mov_b32_e32 v5, s19
	v_add_co_u32_e32 v4, vcc, s18, v4
	v_addc_co_u32_e32 v5, vcc, 0, v5, vcc
	global_store_byte v[4:5], v22, off
	;; [unrolled: 4-line block ×10, first 2 shown]
	global_store_byte v[0:1], v8, off
	s_endpgm
	.section	.rodata,"a",@progbits
	.p2align	6, 0x0
	.amdhsa_kernel _Z6kernelI14inclusive_scanILN6hipcub18BlockScanAlgorithmE1EEhLj64ELj11ELj100EEvPKT0_PS4_S4_
		.amdhsa_group_segment_fixed_size 1
		.amdhsa_private_segment_fixed_size 0
		.amdhsa_kernarg_size 280
		.amdhsa_user_sgpr_count 6
		.amdhsa_user_sgpr_private_segment_buffer 1
		.amdhsa_user_sgpr_dispatch_ptr 0
		.amdhsa_user_sgpr_queue_ptr 0
		.amdhsa_user_sgpr_kernarg_segment_ptr 1
		.amdhsa_user_sgpr_dispatch_id 0
		.amdhsa_user_sgpr_flat_scratch_init 0
		.amdhsa_user_sgpr_private_segment_size 0
		.amdhsa_uses_dynamic_stack 0
		.amdhsa_system_sgpr_private_segment_wavefront_offset 0
		.amdhsa_system_sgpr_workgroup_id_x 1
		.amdhsa_system_sgpr_workgroup_id_y 0
		.amdhsa_system_sgpr_workgroup_id_z 0
		.amdhsa_system_sgpr_workgroup_info 0
		.amdhsa_system_vgpr_workitem_id 0
		.amdhsa_next_free_vgpr 27
		.amdhsa_next_free_sgpr 20
		.amdhsa_reserve_vcc 1
		.amdhsa_reserve_flat_scratch 0
		.amdhsa_float_round_mode_32 0
		.amdhsa_float_round_mode_16_64 0
		.amdhsa_float_denorm_mode_32 3
		.amdhsa_float_denorm_mode_16_64 3
		.amdhsa_dx10_clamp 1
		.amdhsa_ieee_mode 1
		.amdhsa_fp16_overflow 0
		.amdhsa_exception_fp_ieee_invalid_op 0
		.amdhsa_exception_fp_denorm_src 0
		.amdhsa_exception_fp_ieee_div_zero 0
		.amdhsa_exception_fp_ieee_overflow 0
		.amdhsa_exception_fp_ieee_underflow 0
		.amdhsa_exception_fp_ieee_inexact 0
		.amdhsa_exception_int_div_zero 0
	.end_amdhsa_kernel
	.section	.text._Z6kernelI14inclusive_scanILN6hipcub18BlockScanAlgorithmE1EEhLj64ELj11ELj100EEvPKT0_PS4_S4_,"axG",@progbits,_Z6kernelI14inclusive_scanILN6hipcub18BlockScanAlgorithmE1EEhLj64ELj11ELj100EEvPKT0_PS4_S4_,comdat
.Lfunc_end22:
	.size	_Z6kernelI14inclusive_scanILN6hipcub18BlockScanAlgorithmE1EEhLj64ELj11ELj100EEvPKT0_PS4_S4_, .Lfunc_end22-_Z6kernelI14inclusive_scanILN6hipcub18BlockScanAlgorithmE1EEhLj64ELj11ELj100EEvPKT0_PS4_S4_
                                        ; -- End function
	.set _Z6kernelI14inclusive_scanILN6hipcub18BlockScanAlgorithmE1EEhLj64ELj11ELj100EEvPKT0_PS4_S4_.num_vgpr, 27
	.set _Z6kernelI14inclusive_scanILN6hipcub18BlockScanAlgorithmE1EEhLj64ELj11ELj100EEvPKT0_PS4_S4_.num_agpr, 0
	.set _Z6kernelI14inclusive_scanILN6hipcub18BlockScanAlgorithmE1EEhLj64ELj11ELj100EEvPKT0_PS4_S4_.numbered_sgpr, 20
	.set _Z6kernelI14inclusive_scanILN6hipcub18BlockScanAlgorithmE1EEhLj64ELj11ELj100EEvPKT0_PS4_S4_.num_named_barrier, 0
	.set _Z6kernelI14inclusive_scanILN6hipcub18BlockScanAlgorithmE1EEhLj64ELj11ELj100EEvPKT0_PS4_S4_.private_seg_size, 0
	.set _Z6kernelI14inclusive_scanILN6hipcub18BlockScanAlgorithmE1EEhLj64ELj11ELj100EEvPKT0_PS4_S4_.uses_vcc, 1
	.set _Z6kernelI14inclusive_scanILN6hipcub18BlockScanAlgorithmE1EEhLj64ELj11ELj100EEvPKT0_PS4_S4_.uses_flat_scratch, 0
	.set _Z6kernelI14inclusive_scanILN6hipcub18BlockScanAlgorithmE1EEhLj64ELj11ELj100EEvPKT0_PS4_S4_.has_dyn_sized_stack, 0
	.set _Z6kernelI14inclusive_scanILN6hipcub18BlockScanAlgorithmE1EEhLj64ELj11ELj100EEvPKT0_PS4_S4_.has_recursion, 0
	.set _Z6kernelI14inclusive_scanILN6hipcub18BlockScanAlgorithmE1EEhLj64ELj11ELj100EEvPKT0_PS4_S4_.has_indirect_call, 0
	.section	.AMDGPU.csdata,"",@progbits
; Kernel info:
; codeLenInByte = 1048
; TotalNumSgprs: 24
; NumVgprs: 27
; ScratchSize: 0
; MemoryBound: 0
; FloatMode: 240
; IeeeMode: 1
; LDSByteSize: 1 bytes/workgroup (compile time only)
; SGPRBlocks: 2
; VGPRBlocks: 6
; NumSGPRsForWavesPerEU: 24
; NumVGPRsForWavesPerEU: 27
; Occupancy: 9
; WaveLimiterHint : 0
; COMPUTE_PGM_RSRC2:SCRATCH_EN: 0
; COMPUTE_PGM_RSRC2:USER_SGPR: 6
; COMPUTE_PGM_RSRC2:TRAP_HANDLER: 0
; COMPUTE_PGM_RSRC2:TGID_X_EN: 1
; COMPUTE_PGM_RSRC2:TGID_Y_EN: 0
; COMPUTE_PGM_RSRC2:TGID_Z_EN: 0
; COMPUTE_PGM_RSRC2:TIDIG_COMP_CNT: 0
	.section	.text._Z6kernelI14inclusive_scanILN6hipcub18BlockScanAlgorithmE1EEhLj64ELj16ELj100EEvPKT0_PS4_S4_,"axG",@progbits,_Z6kernelI14inclusive_scanILN6hipcub18BlockScanAlgorithmE1EEhLj64ELj16ELj100EEvPKT0_PS4_S4_,comdat
	.protected	_Z6kernelI14inclusive_scanILN6hipcub18BlockScanAlgorithmE1EEhLj64ELj16ELj100EEvPKT0_PS4_S4_ ; -- Begin function _Z6kernelI14inclusive_scanILN6hipcub18BlockScanAlgorithmE1EEhLj64ELj16ELj100EEvPKT0_PS4_S4_
	.globl	_Z6kernelI14inclusive_scanILN6hipcub18BlockScanAlgorithmE1EEhLj64ELj16ELj100EEvPKT0_PS4_S4_
	.p2align	8
	.type	_Z6kernelI14inclusive_scanILN6hipcub18BlockScanAlgorithmE1EEhLj64ELj16ELj100EEvPKT0_PS4_S4_,@function
_Z6kernelI14inclusive_scanILN6hipcub18BlockScanAlgorithmE1EEhLj64ELj16ELj100EEvPKT0_PS4_S4_: ; @_Z6kernelI14inclusive_scanILN6hipcub18BlockScanAlgorithmE1EEhLj64ELj16ELj100EEvPKT0_PS4_S4_
; %bb.0:
	s_load_dword s0, s[4:5], 0x24
	s_load_dwordx4 s[12:15], s[4:5], 0x0
	v_mbcnt_lo_u32_b32 v6, -1, 0
	v_mbcnt_hi_u32_b32 v6, -1, v6
	v_and_b32_e32 v7, 15, v6
	s_waitcnt lgkmcnt(0)
	s_and_b32 s0, s0, 0xffff
	s_mul_i32 s6, s6, s0
	v_add_lshl_u32 v5, s6, v0, 4
	global_load_dwordx4 v[1:4], v5, s[12:13]
	v_cmp_eq_u32_e32 vcc, 0, v7
	v_cmp_lt_u32_e64 s[0:1], 1, v7
	v_cmp_lt_u32_e64 s[2:3], 3, v7
	;; [unrolled: 1-line block ×3, first 2 shown]
	v_and_b32_e32 v7, 16, v6
	v_cmp_eq_u32_e64 s[6:7], 0, v7
	v_add_u32_e32 v7, -1, v6
	v_and_b32_e32 v8, 64, v6
	v_cmp_lt_i32_e64 s[12:13], v7, v8
	v_cmp_lt_u32_e64 s[8:9], 31, v6
	v_cndmask_b32_e64 v6, v7, v6, s[12:13]
	v_cmp_eq_u32_e64 s[10:11], 63, v0
	v_lshlrev_b32_e32 v6, 2, v6
	v_cmp_eq_u32_e64 s[12:13], 0, v0
	s_movk_i32 s18, 0x64
	s_branch .LBB23_2
.LBB23_1:                               ;   in Loop: Header=BB23_2 Depth=1
	s_or_b64 exec, exec, s[16:17]
	v_and_b32_e32 v9, 0xff, v9
	ds_bpermute_b32 v9, v6, v9
	s_add_i32 s18, s18, -1
	s_cmp_lg_u32 s18, 0
	s_waitcnt lgkmcnt(0)
	; wave barrier
	v_cndmask_b32_e64 v9, v9, 0, s[12:13]
	v_add_u16_e32 v9, v9, v1
	v_add_u16_e32 v10, v9, v10
	v_add_u16_sdwa v11, v10, v1 dst_sel:DWORD dst_unused:UNUSED_PAD src0_sel:DWORD src1_sel:WORD_1
	v_lshlrev_b16_e32 v13, 8, v10
	v_add_u16_sdwa v12, v11, v1 dst_sel:DWORD dst_unused:UNUSED_PAD src0_sel:DWORD src1_sel:BYTE_3
	v_or_b32_sdwa v1, v9, v13 dst_sel:DWORD dst_unused:UNUSED_PAD src0_sel:BYTE_0 src1_sel:DWORD
	v_lshlrev_b16_e32 v14, 8, v12
	v_add_u16_e32 v13, v12, v2
	v_or_b32_sdwa v14, v11, v14 dst_sel:WORD_1 dst_unused:UNUSED_PAD src0_sel:BYTE_0 src1_sel:DWORD
	v_add_u16_e32 v8, v13, v8
	v_or_b32_sdwa v1, v1, v14 dst_sel:DWORD dst_unused:UNUSED_PAD src0_sel:WORD_0 src1_sel:DWORD
	v_lshlrev_b16_e32 v14, 8, v8
	v_or_b32_sdwa v16, v13, v14 dst_sel:DWORD dst_unused:UNUSED_PAD src0_sel:BYTE_0 src1_sel:DWORD
	v_add_u16_sdwa v14, v8, v2 dst_sel:DWORD dst_unused:UNUSED_PAD src0_sel:DWORD src1_sel:WORD_1
	v_add_u16_sdwa v15, v14, v2 dst_sel:DWORD dst_unused:UNUSED_PAD src0_sel:DWORD src1_sel:BYTE_3
	v_lshlrev_b16_e32 v2, 8, v15
	v_or_b32_sdwa v2, v14, v2 dst_sel:WORD_1 dst_unused:UNUSED_PAD src0_sel:BYTE_0 src1_sel:DWORD
	v_or_b32_sdwa v2, v16, v2 dst_sel:DWORD dst_unused:UNUSED_PAD src0_sel:WORD_0 src1_sel:DWORD
	v_add_u16_e32 v16, v15, v3
	v_add_u16_e32 v7, v16, v7
	v_lshlrev_b16_e32 v17, 8, v7
	v_or_b32_sdwa v19, v16, v17 dst_sel:DWORD dst_unused:UNUSED_PAD src0_sel:BYTE_0 src1_sel:DWORD
	v_add_u16_sdwa v17, v7, v3 dst_sel:DWORD dst_unused:UNUSED_PAD src0_sel:DWORD src1_sel:WORD_1
	v_add_u16_sdwa v18, v17, v3 dst_sel:DWORD dst_unused:UNUSED_PAD src0_sel:DWORD src1_sel:BYTE_3
	v_lshlrev_b16_e32 v3, 8, v18
	v_or_b32_sdwa v3, v17, v3 dst_sel:WORD_1 dst_unused:UNUSED_PAD src0_sel:BYTE_0 src1_sel:DWORD
	v_or_b32_sdwa v3, v19, v3 dst_sel:DWORD dst_unused:UNUSED_PAD src0_sel:WORD_0 src1_sel:DWORD
	v_add_u16_e32 v19, v18, v4
	v_add_u16_e32 v0, v19, v0
	v_lshlrev_b16_e32 v20, 8, v0
	v_or_b32_sdwa v22, v19, v20 dst_sel:DWORD dst_unused:UNUSED_PAD src0_sel:BYTE_0 src1_sel:DWORD
	v_add_u16_sdwa v20, v0, v4 dst_sel:DWORD dst_unused:UNUSED_PAD src0_sel:DWORD src1_sel:WORD_1
	v_add_u16_sdwa v21, v20, v4 dst_sel:DWORD dst_unused:UNUSED_PAD src0_sel:DWORD src1_sel:BYTE_3
	v_lshlrev_b16_e32 v4, 8, v21
	v_or_b32_sdwa v4, v20, v4 dst_sel:WORD_1 dst_unused:UNUSED_PAD src0_sel:BYTE_0 src1_sel:DWORD
	v_or_b32_sdwa v4, v22, v4 dst_sel:DWORD dst_unused:UNUSED_PAD src0_sel:WORD_0 src1_sel:DWORD
	s_cbranch_scc0 .LBB23_4
.LBB23_2:                               ; =>This Inner Loop Header: Depth=1
	s_waitcnt vmcnt(0)
	v_lshrrev_b32_e32 v10, 8, v1
	v_add_u16_e32 v9, v10, v1
	v_add_u16_sdwa v9, v9, v1 dst_sel:DWORD dst_unused:UNUSED_PAD src0_sel:DWORD src1_sel:WORD_1
	v_add_u16_sdwa v9, v9, v1 dst_sel:DWORD dst_unused:UNUSED_PAD src0_sel:DWORD src1_sel:BYTE_3
	v_lshrrev_b32_e32 v8, 8, v2
	v_add_u16_e32 v9, v9, v2
	v_add_u16_e32 v9, v9, v8
	v_add_u16_sdwa v9, v9, v2 dst_sel:DWORD dst_unused:UNUSED_PAD src0_sel:DWORD src1_sel:WORD_1
	v_add_u16_sdwa v9, v9, v2 dst_sel:DWORD dst_unused:UNUSED_PAD src0_sel:DWORD src1_sel:BYTE_3
	v_lshrrev_b32_e32 v7, 8, v3
	v_add_u16_e32 v9, v9, v3
	v_add_u16_e32 v9, v9, v7
	v_add_u16_sdwa v9, v9, v3 dst_sel:DWORD dst_unused:UNUSED_PAD src0_sel:DWORD src1_sel:WORD_1
	v_add_u16_sdwa v9, v9, v3 dst_sel:DWORD dst_unused:UNUSED_PAD src0_sel:DWORD src1_sel:BYTE_3
	v_lshrrev_b32_e32 v0, 8, v4
	v_add_u16_e32 v9, v9, v4
	v_add_u16_e32 v9, v9, v0
	v_add_u16_sdwa v9, v9, v4 dst_sel:DWORD dst_unused:UNUSED_PAD src0_sel:DWORD src1_sel:WORD_1
	v_add_u16_sdwa v9, v9, v4 dst_sel:DWORD dst_unused:UNUSED_PAD src0_sel:DWORD src1_sel:BYTE_3
	v_and_b32_e32 v11, 0xff, v9
	s_nop 1
	v_mov_b32_dpp v11, v11 row_shr:1 row_mask:0xf bank_mask:0xf
	v_cndmask_b32_e64 v11, v11, 0, vcc
	v_add_u16_e32 v9, v9, v11
	v_and_b32_e32 v11, 0xff, v9
	s_nop 1
	v_mov_b32_dpp v11, v11 row_shr:2 row_mask:0xf bank_mask:0xf
	v_cndmask_b32_e64 v11, 0, v11, s[0:1]
	v_add_u16_e32 v9, v9, v11
	v_and_b32_e32 v11, 0xff, v9
	s_nop 1
	v_mov_b32_dpp v11, v11 row_shr:4 row_mask:0xf bank_mask:0xf
	v_cndmask_b32_e64 v11, 0, v11, s[2:3]
	;; [unrolled: 5-line block ×3, first 2 shown]
	v_add_u16_e32 v9, v9, v11
	v_and_b32_e32 v11, 0xff, v9
	s_nop 1
	v_mov_b32_dpp v11, v11 row_bcast:15 row_mask:0xf bank_mask:0xf
	v_cndmask_b32_e64 v11, v11, 0, s[6:7]
	v_add_u16_e32 v9, v9, v11
	v_and_b32_e32 v11, 0xff, v9
	s_nop 1
	v_mov_b32_dpp v11, v11 row_bcast:31 row_mask:0xf bank_mask:0xf
	v_cndmask_b32_e64 v11, 0, v11, s[8:9]
	v_add_u16_e32 v9, v9, v11
	s_and_saveexec_b64 s[16:17], s[10:11]
	s_cbranch_execz .LBB23_1
; %bb.3:                                ;   in Loop: Header=BB23_2 Depth=1
	v_mov_b32_e32 v11, 0
	ds_write_b8 v11, v9
	s_branch .LBB23_1
.LBB23_4:
	v_mov_b32_e32 v1, s15
	v_add_co_u32_e32 v4, vcc, s14, v5
	s_mov_b32 s0, 0xc0c0004
	v_addc_co_u32_e32 v5, vcc, 0, v1, vcc
	v_perm_b32 v0, v19, v0, s0
	v_perm_b32 v1, v20, v21, s0
	v_lshl_or_b32 v3, v1, 16, v0
	v_perm_b32 v0, v16, v7, s0
	v_perm_b32 v1, v17, v18, s0
	v_lshl_or_b32 v2, v1, 16, v0
	;; [unrolled: 3-line block ×4, first 2 shown]
	global_store_dwordx4 v[4:5], v[0:3], off
	s_endpgm
	.section	.rodata,"a",@progbits
	.p2align	6, 0x0
	.amdhsa_kernel _Z6kernelI14inclusive_scanILN6hipcub18BlockScanAlgorithmE1EEhLj64ELj16ELj100EEvPKT0_PS4_S4_
		.amdhsa_group_segment_fixed_size 1
		.amdhsa_private_segment_fixed_size 0
		.amdhsa_kernarg_size 280
		.amdhsa_user_sgpr_count 6
		.amdhsa_user_sgpr_private_segment_buffer 1
		.amdhsa_user_sgpr_dispatch_ptr 0
		.amdhsa_user_sgpr_queue_ptr 0
		.amdhsa_user_sgpr_kernarg_segment_ptr 1
		.amdhsa_user_sgpr_dispatch_id 0
		.amdhsa_user_sgpr_flat_scratch_init 0
		.amdhsa_user_sgpr_private_segment_size 0
		.amdhsa_uses_dynamic_stack 0
		.amdhsa_system_sgpr_private_segment_wavefront_offset 0
		.amdhsa_system_sgpr_workgroup_id_x 1
		.amdhsa_system_sgpr_workgroup_id_y 0
		.amdhsa_system_sgpr_workgroup_id_z 0
		.amdhsa_system_sgpr_workgroup_info 0
		.amdhsa_system_vgpr_workitem_id 0
		.amdhsa_next_free_vgpr 23
		.amdhsa_next_free_sgpr 19
		.amdhsa_reserve_vcc 1
		.amdhsa_reserve_flat_scratch 0
		.amdhsa_float_round_mode_32 0
		.amdhsa_float_round_mode_16_64 0
		.amdhsa_float_denorm_mode_32 3
		.amdhsa_float_denorm_mode_16_64 3
		.amdhsa_dx10_clamp 1
		.amdhsa_ieee_mode 1
		.amdhsa_fp16_overflow 0
		.amdhsa_exception_fp_ieee_invalid_op 0
		.amdhsa_exception_fp_denorm_src 0
		.amdhsa_exception_fp_ieee_div_zero 0
		.amdhsa_exception_fp_ieee_overflow 0
		.amdhsa_exception_fp_ieee_underflow 0
		.amdhsa_exception_fp_ieee_inexact 0
		.amdhsa_exception_int_div_zero 0
	.end_amdhsa_kernel
	.section	.text._Z6kernelI14inclusive_scanILN6hipcub18BlockScanAlgorithmE1EEhLj64ELj16ELj100EEvPKT0_PS4_S4_,"axG",@progbits,_Z6kernelI14inclusive_scanILN6hipcub18BlockScanAlgorithmE1EEhLj64ELj16ELj100EEvPKT0_PS4_S4_,comdat
.Lfunc_end23:
	.size	_Z6kernelI14inclusive_scanILN6hipcub18BlockScanAlgorithmE1EEhLj64ELj16ELj100EEvPKT0_PS4_S4_, .Lfunc_end23-_Z6kernelI14inclusive_scanILN6hipcub18BlockScanAlgorithmE1EEhLj64ELj16ELj100EEvPKT0_PS4_S4_
                                        ; -- End function
	.set _Z6kernelI14inclusive_scanILN6hipcub18BlockScanAlgorithmE1EEhLj64ELj16ELj100EEvPKT0_PS4_S4_.num_vgpr, 23
	.set _Z6kernelI14inclusive_scanILN6hipcub18BlockScanAlgorithmE1EEhLj64ELj16ELj100EEvPKT0_PS4_S4_.num_agpr, 0
	.set _Z6kernelI14inclusive_scanILN6hipcub18BlockScanAlgorithmE1EEhLj64ELj16ELj100EEvPKT0_PS4_S4_.numbered_sgpr, 19
	.set _Z6kernelI14inclusive_scanILN6hipcub18BlockScanAlgorithmE1EEhLj64ELj16ELj100EEvPKT0_PS4_S4_.num_named_barrier, 0
	.set _Z6kernelI14inclusive_scanILN6hipcub18BlockScanAlgorithmE1EEhLj64ELj16ELj100EEvPKT0_PS4_S4_.private_seg_size, 0
	.set _Z6kernelI14inclusive_scanILN6hipcub18BlockScanAlgorithmE1EEhLj64ELj16ELj100EEvPKT0_PS4_S4_.uses_vcc, 1
	.set _Z6kernelI14inclusive_scanILN6hipcub18BlockScanAlgorithmE1EEhLj64ELj16ELj100EEvPKT0_PS4_S4_.uses_flat_scratch, 0
	.set _Z6kernelI14inclusive_scanILN6hipcub18BlockScanAlgorithmE1EEhLj64ELj16ELj100EEvPKT0_PS4_S4_.has_dyn_sized_stack, 0
	.set _Z6kernelI14inclusive_scanILN6hipcub18BlockScanAlgorithmE1EEhLj64ELj16ELj100EEvPKT0_PS4_S4_.has_recursion, 0
	.set _Z6kernelI14inclusive_scanILN6hipcub18BlockScanAlgorithmE1EEhLj64ELj16ELj100EEvPKT0_PS4_S4_.has_indirect_call, 0
	.section	.AMDGPU.csdata,"",@progbits
; Kernel info:
; codeLenInByte = 892
; TotalNumSgprs: 23
; NumVgprs: 23
; ScratchSize: 0
; MemoryBound: 0
; FloatMode: 240
; IeeeMode: 1
; LDSByteSize: 1 bytes/workgroup (compile time only)
; SGPRBlocks: 2
; VGPRBlocks: 5
; NumSGPRsForWavesPerEU: 23
; NumVGPRsForWavesPerEU: 23
; Occupancy: 10
; WaveLimiterHint : 0
; COMPUTE_PGM_RSRC2:SCRATCH_EN: 0
; COMPUTE_PGM_RSRC2:USER_SGPR: 6
; COMPUTE_PGM_RSRC2:TRAP_HANDLER: 0
; COMPUTE_PGM_RSRC2:TGID_X_EN: 1
; COMPUTE_PGM_RSRC2:TGID_Y_EN: 0
; COMPUTE_PGM_RSRC2:TGID_Z_EN: 0
; COMPUTE_PGM_RSRC2:TIDIG_COMP_CNT: 0
	.section	.text._Z6kernelI14inclusive_scanILN6hipcub18BlockScanAlgorithmE1EEiLj256ELj1ELj100EEvPKT0_PS4_S4_,"axG",@progbits,_Z6kernelI14inclusive_scanILN6hipcub18BlockScanAlgorithmE1EEiLj256ELj1ELj100EEvPKT0_PS4_S4_,comdat
	.protected	_Z6kernelI14inclusive_scanILN6hipcub18BlockScanAlgorithmE1EEiLj256ELj1ELj100EEvPKT0_PS4_S4_ ; -- Begin function _Z6kernelI14inclusive_scanILN6hipcub18BlockScanAlgorithmE1EEiLj256ELj1ELj100EEvPKT0_PS4_S4_
	.globl	_Z6kernelI14inclusive_scanILN6hipcub18BlockScanAlgorithmE1EEiLj256ELj1ELj100EEvPKT0_PS4_S4_
	.p2align	8
	.type	_Z6kernelI14inclusive_scanILN6hipcub18BlockScanAlgorithmE1EEiLj256ELj1ELj100EEvPKT0_PS4_S4_,@function
_Z6kernelI14inclusive_scanILN6hipcub18BlockScanAlgorithmE1EEiLj256ELj1ELj100EEvPKT0_PS4_S4_: ; @_Z6kernelI14inclusive_scanILN6hipcub18BlockScanAlgorithmE1EEiLj256ELj1ELj100EEvPKT0_PS4_S4_
; %bb.0:
	s_load_dword s0, s[4:5], 0x24
	s_load_dwordx4 s[8:11], s[4:5], 0x0
	v_mov_b32_e32 v2, 0
	v_lshrrev_b32_e32 v5, 1, v0
	v_and_b32_e32 v5, 0x7c, v5
	s_waitcnt lgkmcnt(0)
	s_and_b32 s0, s0, 0xffff
	s_mul_i32 s6, s6, s0
	v_add_u32_e32 v1, s6, v0
	v_lshlrev_b64 v[1:2], 2, v[1:2]
	v_mov_b32_e32 v4, s9
	v_add_co_u32_e32 v3, vcc, s8, v1
	v_addc_co_u32_e32 v4, vcc, v4, v2, vcc
	global_load_dword v4, v[3:4], off
	v_lshrrev_b32_e32 v3, 3, v0
	v_and_b32_e32 v3, 28, v3
	v_lshlrev_b32_e32 v6, 4, v0
	v_lshl_add_u32 v3, v0, 2, v3
	v_cmp_gt_u32_e32 vcc, 64, v0
	v_cmp_eq_u32_e64 s[0:1], 0, v0
	v_add_u32_e32 v0, v5, v6
	v_mbcnt_lo_u32_b32 v5, -1, 0
	v_mbcnt_hi_u32_b32 v5, -1, v5
	s_movk_i32 s6, 0x64
	v_and_b32_e32 v6, 15, v5
	v_bfe_i32 v7, v5, 4, 1
	v_add_u32_e32 v8, -1, v5
	v_and_b32_e32 v9, 64, v5
	s_branch .LBB24_2
.LBB24_1:                               ;   in Loop: Header=BB24_2 Depth=1
	s_or_b64 exec, exec, s[4:5]
	s_waitcnt lgkmcnt(0)
	s_barrier
	ds_read_b32 v4, v3
	s_add_i32 s6, s6, -1
	s_cmp_lg_u32 s6, 0
	s_cbranch_scc0 .LBB24_4
.LBB24_2:                               ; =>This Inner Loop Header: Depth=1
	s_waitcnt vmcnt(0) lgkmcnt(0)
	ds_write_b32 v3, v4
	s_waitcnt lgkmcnt(0)
	s_barrier
	s_and_saveexec_b64 s[4:5], vcc
	s_cbranch_execz .LBB24_1
; %bb.3:                                ;   in Loop: Header=BB24_2 Depth=1
	ds_read2_b32 v[10:11], v0 offset1:1
	ds_read2_b32 v[12:13], v0 offset0:2 offset1:3
	v_cmp_ne_u32_e64 s[2:3], 0, v6
	s_waitcnt lgkmcnt(1)
	v_add_u32_e32 v14, v11, v10
	s_waitcnt lgkmcnt(0)
	v_add3_u32 v14, v14, v12, v13
	s_nop 1
	v_mov_b32_dpp v15, v14 row_shr:1 row_mask:0xf bank_mask:0xf
	v_cndmask_b32_e64 v15, 0, v15, s[2:3]
	v_add_u32_e32 v14, v15, v14
	v_cmp_lt_u32_e64 s[2:3], 1, v6
	s_nop 0
	v_mov_b32_dpp v15, v14 row_shr:2 row_mask:0xf bank_mask:0xf
	v_cndmask_b32_e64 v15, 0, v15, s[2:3]
	v_add_u32_e32 v14, v14, v15
	v_cmp_lt_u32_e64 s[2:3], 3, v6
	;; [unrolled: 5-line block ×4, first 2 shown]
	s_nop 0
	v_mov_b32_dpp v15, v14 row_bcast:15 row_mask:0xf bank_mask:0xf
	v_and_b32_e32 v15, v7, v15
	v_add_u32_e32 v14, v14, v15
	s_nop 1
	v_mov_b32_dpp v15, v14 row_bcast:31 row_mask:0xf bank_mask:0xf
	v_cndmask_b32_e64 v15, 0, v15, s[2:3]
	v_cmp_lt_i32_e64 s[2:3], v8, v9
	v_add_u32_e32 v14, v14, v15
	v_cndmask_b32_e64 v15, v8, v5, s[2:3]
	v_lshlrev_b32_e32 v15, 2, v15
	ds_bpermute_b32 v14, v15, v14
	s_waitcnt lgkmcnt(0)
	v_add_u32_e32 v10, v14, v10
	v_cndmask_b32_e64 v4, v10, v4, s[0:1]
	v_add_u32_e32 v10, v4, v11
	ds_write2_b32 v0, v4, v10 offset1:1
	v_add_u32_e32 v4, v10, v12
	v_add_u32_e32 v10, v4, v13
	ds_write2_b32 v0, v4, v10 offset0:2 offset1:3
	s_branch .LBB24_1
.LBB24_4:
	v_mov_b32_e32 v3, s11
	v_add_co_u32_e32 v0, vcc, s10, v1
	v_addc_co_u32_e32 v1, vcc, v3, v2, vcc
	s_waitcnt lgkmcnt(0)
	global_store_dword v[0:1], v4, off
	s_endpgm
	.section	.rodata,"a",@progbits
	.p2align	6, 0x0
	.amdhsa_kernel _Z6kernelI14inclusive_scanILN6hipcub18BlockScanAlgorithmE1EEiLj256ELj1ELj100EEvPKT0_PS4_S4_
		.amdhsa_group_segment_fixed_size 1056
		.amdhsa_private_segment_fixed_size 0
		.amdhsa_kernarg_size 280
		.amdhsa_user_sgpr_count 6
		.amdhsa_user_sgpr_private_segment_buffer 1
		.amdhsa_user_sgpr_dispatch_ptr 0
		.amdhsa_user_sgpr_queue_ptr 0
		.amdhsa_user_sgpr_kernarg_segment_ptr 1
		.amdhsa_user_sgpr_dispatch_id 0
		.amdhsa_user_sgpr_flat_scratch_init 0
		.amdhsa_user_sgpr_private_segment_size 0
		.amdhsa_uses_dynamic_stack 0
		.amdhsa_system_sgpr_private_segment_wavefront_offset 0
		.amdhsa_system_sgpr_workgroup_id_x 1
		.amdhsa_system_sgpr_workgroup_id_y 0
		.amdhsa_system_sgpr_workgroup_id_z 0
		.amdhsa_system_sgpr_workgroup_info 0
		.amdhsa_system_vgpr_workitem_id 0
		.amdhsa_next_free_vgpr 16
		.amdhsa_next_free_sgpr 12
		.amdhsa_reserve_vcc 1
		.amdhsa_reserve_flat_scratch 0
		.amdhsa_float_round_mode_32 0
		.amdhsa_float_round_mode_16_64 0
		.amdhsa_float_denorm_mode_32 3
		.amdhsa_float_denorm_mode_16_64 3
		.amdhsa_dx10_clamp 1
		.amdhsa_ieee_mode 1
		.amdhsa_fp16_overflow 0
		.amdhsa_exception_fp_ieee_invalid_op 0
		.amdhsa_exception_fp_denorm_src 0
		.amdhsa_exception_fp_ieee_div_zero 0
		.amdhsa_exception_fp_ieee_overflow 0
		.amdhsa_exception_fp_ieee_underflow 0
		.amdhsa_exception_fp_ieee_inexact 0
		.amdhsa_exception_int_div_zero 0
	.end_amdhsa_kernel
	.section	.text._Z6kernelI14inclusive_scanILN6hipcub18BlockScanAlgorithmE1EEiLj256ELj1ELj100EEvPKT0_PS4_S4_,"axG",@progbits,_Z6kernelI14inclusive_scanILN6hipcub18BlockScanAlgorithmE1EEiLj256ELj1ELj100EEvPKT0_PS4_S4_,comdat
.Lfunc_end24:
	.size	_Z6kernelI14inclusive_scanILN6hipcub18BlockScanAlgorithmE1EEiLj256ELj1ELj100EEvPKT0_PS4_S4_, .Lfunc_end24-_Z6kernelI14inclusive_scanILN6hipcub18BlockScanAlgorithmE1EEiLj256ELj1ELj100EEvPKT0_PS4_S4_
                                        ; -- End function
	.set _Z6kernelI14inclusive_scanILN6hipcub18BlockScanAlgorithmE1EEiLj256ELj1ELj100EEvPKT0_PS4_S4_.num_vgpr, 16
	.set _Z6kernelI14inclusive_scanILN6hipcub18BlockScanAlgorithmE1EEiLj256ELj1ELj100EEvPKT0_PS4_S4_.num_agpr, 0
	.set _Z6kernelI14inclusive_scanILN6hipcub18BlockScanAlgorithmE1EEiLj256ELj1ELj100EEvPKT0_PS4_S4_.numbered_sgpr, 12
	.set _Z6kernelI14inclusive_scanILN6hipcub18BlockScanAlgorithmE1EEiLj256ELj1ELj100EEvPKT0_PS4_S4_.num_named_barrier, 0
	.set _Z6kernelI14inclusive_scanILN6hipcub18BlockScanAlgorithmE1EEiLj256ELj1ELj100EEvPKT0_PS4_S4_.private_seg_size, 0
	.set _Z6kernelI14inclusive_scanILN6hipcub18BlockScanAlgorithmE1EEiLj256ELj1ELj100EEvPKT0_PS4_S4_.uses_vcc, 1
	.set _Z6kernelI14inclusive_scanILN6hipcub18BlockScanAlgorithmE1EEiLj256ELj1ELj100EEvPKT0_PS4_S4_.uses_flat_scratch, 0
	.set _Z6kernelI14inclusive_scanILN6hipcub18BlockScanAlgorithmE1EEiLj256ELj1ELj100EEvPKT0_PS4_S4_.has_dyn_sized_stack, 0
	.set _Z6kernelI14inclusive_scanILN6hipcub18BlockScanAlgorithmE1EEiLj256ELj1ELj100EEvPKT0_PS4_S4_.has_recursion, 0
	.set _Z6kernelI14inclusive_scanILN6hipcub18BlockScanAlgorithmE1EEiLj256ELj1ELj100EEvPKT0_PS4_S4_.has_indirect_call, 0
	.section	.AMDGPU.csdata,"",@progbits
; Kernel info:
; codeLenInByte = 540
; TotalNumSgprs: 16
; NumVgprs: 16
; ScratchSize: 0
; MemoryBound: 0
; FloatMode: 240
; IeeeMode: 1
; LDSByteSize: 1056 bytes/workgroup (compile time only)
; SGPRBlocks: 1
; VGPRBlocks: 3
; NumSGPRsForWavesPerEU: 16
; NumVGPRsForWavesPerEU: 16
; Occupancy: 10
; WaveLimiterHint : 0
; COMPUTE_PGM_RSRC2:SCRATCH_EN: 0
; COMPUTE_PGM_RSRC2:USER_SGPR: 6
; COMPUTE_PGM_RSRC2:TRAP_HANDLER: 0
; COMPUTE_PGM_RSRC2:TGID_X_EN: 1
; COMPUTE_PGM_RSRC2:TGID_Y_EN: 0
; COMPUTE_PGM_RSRC2:TGID_Z_EN: 0
; COMPUTE_PGM_RSRC2:TIDIG_COMP_CNT: 0
	.section	.text._Z6kernelI14inclusive_scanILN6hipcub18BlockScanAlgorithmE1EEiLj256ELj3ELj100EEvPKT0_PS4_S4_,"axG",@progbits,_Z6kernelI14inclusive_scanILN6hipcub18BlockScanAlgorithmE1EEiLj256ELj3ELj100EEvPKT0_PS4_S4_,comdat
	.protected	_Z6kernelI14inclusive_scanILN6hipcub18BlockScanAlgorithmE1EEiLj256ELj3ELj100EEvPKT0_PS4_S4_ ; -- Begin function _Z6kernelI14inclusive_scanILN6hipcub18BlockScanAlgorithmE1EEiLj256ELj3ELj100EEvPKT0_PS4_S4_
	.globl	_Z6kernelI14inclusive_scanILN6hipcub18BlockScanAlgorithmE1EEiLj256ELj3ELj100EEvPKT0_PS4_S4_
	.p2align	8
	.type	_Z6kernelI14inclusive_scanILN6hipcub18BlockScanAlgorithmE1EEiLj256ELj3ELj100EEvPKT0_PS4_S4_,@function
_Z6kernelI14inclusive_scanILN6hipcub18BlockScanAlgorithmE1EEiLj256ELj3ELj100EEvPKT0_PS4_S4_: ; @_Z6kernelI14inclusive_scanILN6hipcub18BlockScanAlgorithmE1EEiLj256ELj3ELj100EEvPKT0_PS4_S4_
; %bb.0:
	s_load_dword s0, s[4:5], 0x24
	s_load_dwordx4 s[8:11], s[4:5], 0x0
	v_mov_b32_e32 v6, 0
	v_mov_b32_e32 v4, v6
	v_lshrrev_b32_e32 v8, 3, v0
	s_waitcnt lgkmcnt(0)
	s_and_b32 s0, s0, 0xffff
	s_mul_i32 s6, s6, s0
	v_add_u32_e32 v1, s6, v0
	v_lshl_add_u32 v5, v1, 1, v1
	v_lshlrev_b64 v[1:2], 2, v[5:6]
	v_mov_b32_e32 v3, s9
	v_add_co_u32_e32 v12, vcc, s8, v1
	v_addc_co_u32_e32 v13, vcc, v3, v2, vcc
	v_add_u32_e32 v3, 1, v5
	v_lshlrev_b64 v[3:4], 2, v[3:4]
	v_add_u32_e32 v5, 2, v5
	v_mov_b32_e32 v7, s9
	v_add_co_u32_e32 v14, vcc, s8, v3
	v_lshlrev_b64 v[5:6], 2, v[5:6]
	v_addc_co_u32_e32 v15, vcc, v7, v4, vcc
	v_add_co_u32_e32 v16, vcc, s8, v5
	v_addc_co_u32_e32 v17, vcc, v7, v6, vcc
	global_load_dword v7, v[12:13], off
	global_load_dword v9, v[14:15], off
	;; [unrolled: 1-line block ×3, first 2 shown]
	v_and_b32_e32 v8, 28, v8
	v_subrev_co_u32_e64 v10, s[0:1], 1, v0
	v_lshrrev_b32_e32 v12, 1, v0
	v_lshl_add_u32 v8, v0, 2, v8
	v_cmp_gt_u32_e32 vcc, 64, v0
	v_and_b32_e32 v12, 0x7c, v12
	v_lshlrev_b32_e32 v0, 4, v0
	v_lshrrev_b32_e32 v13, 3, v10
	v_and_b32_e32 v13, 0x1ffffffc, v13
	v_add_u32_e32 v12, v12, v0
	v_mbcnt_lo_u32_b32 v0, -1, 0
	s_xor_b64 s[4:5], s[0:1], -1
	v_lshl_add_u32 v10, v10, 2, v13
	s_movk_i32 s8, 0x64
	v_mbcnt_hi_u32_b32 v13, -1, v0
.LBB25_1:                               ; =>This Inner Loop Header: Depth=1
	s_waitcnt vmcnt(1)
	v_add_u32_e32 v14, v9, v7
	s_waitcnt vmcnt(0)
	v_add_u32_e32 v0, v14, v11
	ds_write_b32 v8, v0
	s_waitcnt lgkmcnt(0)
	s_barrier
	s_and_saveexec_b64 s[6:7], vcc
	s_cbranch_execz .LBB25_3
; %bb.2:                                ;   in Loop: Header=BB25_1 Depth=1
	ds_read2_b32 v[15:16], v12 offset1:1
	ds_read2_b32 v[17:18], v12 offset0:2 offset1:3
	v_and_b32_e32 v19, 15, v13
	v_cmp_ne_u32_e64 s[2:3], 0, v19
	s_waitcnt lgkmcnt(1)
	v_add_u32_e32 v20, v16, v15
	s_waitcnt lgkmcnt(0)
	v_add3_u32 v20, v20, v17, v18
	s_nop 1
	v_mov_b32_dpp v21, v20 row_shr:1 row_mask:0xf bank_mask:0xf
	v_cndmask_b32_e64 v21, 0, v21, s[2:3]
	v_add_u32_e32 v20, v21, v20
	v_cmp_lt_u32_e64 s[2:3], 1, v19
	s_nop 0
	v_mov_b32_dpp v21, v20 row_shr:2 row_mask:0xf bank_mask:0xf
	v_cndmask_b32_e64 v21, 0, v21, s[2:3]
	v_add_u32_e32 v20, v20, v21
	v_cmp_lt_u32_e64 s[2:3], 3, v19
	;; [unrolled: 5-line block ×3, first 2 shown]
	s_nop 0
	v_mov_b32_dpp v21, v20 row_shr:8 row_mask:0xf bank_mask:0xf
	v_cndmask_b32_e64 v19, 0, v21, s[2:3]
	v_add_u32_e32 v19, v20, v19
	v_bfe_i32 v21, v13, 4, 1
	v_cmp_lt_u32_e64 s[2:3], 31, v13
	v_mov_b32_dpp v20, v19 row_bcast:15 row_mask:0xf bank_mask:0xf
	v_and_b32_e32 v20, v21, v20
	v_add_u32_e32 v19, v19, v20
	v_and_b32_e32 v21, 64, v13
	s_nop 0
	v_mov_b32_dpp v20, v19 row_bcast:31 row_mask:0xf bank_mask:0xf
	v_cndmask_b32_e64 v20, 0, v20, s[2:3]
	v_add_u32_e32 v19, v19, v20
	v_add_u32_e32 v20, -1, v13
	v_cmp_lt_i32_e64 s[2:3], v20, v21
	v_cndmask_b32_e64 v20, v20, v13, s[2:3]
	v_lshlrev_b32_e32 v20, 2, v20
	ds_bpermute_b32 v19, v20, v19
	s_waitcnt lgkmcnt(0)
	v_add_u32_e32 v15, v19, v15
	v_cndmask_b32_e64 v15, v15, v0, s[0:1]
	v_add_u32_e32 v16, v15, v16
	ds_write2_b32 v12, v15, v16 offset1:1
	v_add_u32_e32 v15, v16, v17
	v_add_u32_e32 v16, v15, v18
	ds_write2_b32 v12, v15, v16 offset0:2 offset1:3
.LBB25_3:                               ;   in Loop: Header=BB25_1 Depth=1
	s_or_b64 exec, exec, s[6:7]
	s_waitcnt lgkmcnt(0)
	s_barrier
	s_and_saveexec_b64 s[2:3], s[4:5]
	s_cbranch_execz .LBB25_5
; %bb.4:                                ;   in Loop: Header=BB25_1 Depth=1
	ds_read_b32 v0, v10
	s_waitcnt lgkmcnt(0)
	v_add_u32_e32 v7, v0, v7
	v_add_u32_e32 v14, v7, v9
	;; [unrolled: 1-line block ×3, first 2 shown]
.LBB25_5:                               ;   in Loop: Header=BB25_1 Depth=1
	s_or_b64 exec, exec, s[2:3]
	s_add_i32 s8, s8, -1
	s_cmp_lg_u32 s8, 0
	s_cbranch_scc0 .LBB25_7
; %bb.6:                                ;   in Loop: Header=BB25_1 Depth=1
	v_mov_b32_e32 v9, v14
	v_mov_b32_e32 v11, v0
	s_branch .LBB25_1
.LBB25_7:
	v_mov_b32_e32 v8, s11
	v_add_co_u32_e32 v1, vcc, s10, v1
	v_addc_co_u32_e32 v2, vcc, v8, v2, vcc
	global_store_dword v[1:2], v7, off
	v_mov_b32_e32 v2, s11
	v_add_co_u32_e32 v1, vcc, s10, v3
	v_addc_co_u32_e32 v2, vcc, v2, v4, vcc
	global_store_dword v[1:2], v14, off
	;; [unrolled: 4-line block ×3, first 2 shown]
	s_endpgm
	.section	.rodata,"a",@progbits
	.p2align	6, 0x0
	.amdhsa_kernel _Z6kernelI14inclusive_scanILN6hipcub18BlockScanAlgorithmE1EEiLj256ELj3ELj100EEvPKT0_PS4_S4_
		.amdhsa_group_segment_fixed_size 1056
		.amdhsa_private_segment_fixed_size 0
		.amdhsa_kernarg_size 280
		.amdhsa_user_sgpr_count 6
		.amdhsa_user_sgpr_private_segment_buffer 1
		.amdhsa_user_sgpr_dispatch_ptr 0
		.amdhsa_user_sgpr_queue_ptr 0
		.amdhsa_user_sgpr_kernarg_segment_ptr 1
		.amdhsa_user_sgpr_dispatch_id 0
		.amdhsa_user_sgpr_flat_scratch_init 0
		.amdhsa_user_sgpr_private_segment_size 0
		.amdhsa_uses_dynamic_stack 0
		.amdhsa_system_sgpr_private_segment_wavefront_offset 0
		.amdhsa_system_sgpr_workgroup_id_x 1
		.amdhsa_system_sgpr_workgroup_id_y 0
		.amdhsa_system_sgpr_workgroup_id_z 0
		.amdhsa_system_sgpr_workgroup_info 0
		.amdhsa_system_vgpr_workitem_id 0
		.amdhsa_next_free_vgpr 22
		.amdhsa_next_free_sgpr 12
		.amdhsa_reserve_vcc 1
		.amdhsa_reserve_flat_scratch 0
		.amdhsa_float_round_mode_32 0
		.amdhsa_float_round_mode_16_64 0
		.amdhsa_float_denorm_mode_32 3
		.amdhsa_float_denorm_mode_16_64 3
		.amdhsa_dx10_clamp 1
		.amdhsa_ieee_mode 1
		.amdhsa_fp16_overflow 0
		.amdhsa_exception_fp_ieee_invalid_op 0
		.amdhsa_exception_fp_denorm_src 0
		.amdhsa_exception_fp_ieee_div_zero 0
		.amdhsa_exception_fp_ieee_overflow 0
		.amdhsa_exception_fp_ieee_underflow 0
		.amdhsa_exception_fp_ieee_inexact 0
		.amdhsa_exception_int_div_zero 0
	.end_amdhsa_kernel
	.section	.text._Z6kernelI14inclusive_scanILN6hipcub18BlockScanAlgorithmE1EEiLj256ELj3ELj100EEvPKT0_PS4_S4_,"axG",@progbits,_Z6kernelI14inclusive_scanILN6hipcub18BlockScanAlgorithmE1EEiLj256ELj3ELj100EEvPKT0_PS4_S4_,comdat
.Lfunc_end25:
	.size	_Z6kernelI14inclusive_scanILN6hipcub18BlockScanAlgorithmE1EEiLj256ELj3ELj100EEvPKT0_PS4_S4_, .Lfunc_end25-_Z6kernelI14inclusive_scanILN6hipcub18BlockScanAlgorithmE1EEiLj256ELj3ELj100EEvPKT0_PS4_S4_
                                        ; -- End function
	.set _Z6kernelI14inclusive_scanILN6hipcub18BlockScanAlgorithmE1EEiLj256ELj3ELj100EEvPKT0_PS4_S4_.num_vgpr, 22
	.set _Z6kernelI14inclusive_scanILN6hipcub18BlockScanAlgorithmE1EEiLj256ELj3ELj100EEvPKT0_PS4_S4_.num_agpr, 0
	.set _Z6kernelI14inclusive_scanILN6hipcub18BlockScanAlgorithmE1EEiLj256ELj3ELj100EEvPKT0_PS4_S4_.numbered_sgpr, 12
	.set _Z6kernelI14inclusive_scanILN6hipcub18BlockScanAlgorithmE1EEiLj256ELj3ELj100EEvPKT0_PS4_S4_.num_named_barrier, 0
	.set _Z6kernelI14inclusive_scanILN6hipcub18BlockScanAlgorithmE1EEiLj256ELj3ELj100EEvPKT0_PS4_S4_.private_seg_size, 0
	.set _Z6kernelI14inclusive_scanILN6hipcub18BlockScanAlgorithmE1EEiLj256ELj3ELj100EEvPKT0_PS4_S4_.uses_vcc, 1
	.set _Z6kernelI14inclusive_scanILN6hipcub18BlockScanAlgorithmE1EEiLj256ELj3ELj100EEvPKT0_PS4_S4_.uses_flat_scratch, 0
	.set _Z6kernelI14inclusive_scanILN6hipcub18BlockScanAlgorithmE1EEiLj256ELj3ELj100EEvPKT0_PS4_S4_.has_dyn_sized_stack, 0
	.set _Z6kernelI14inclusive_scanILN6hipcub18BlockScanAlgorithmE1EEiLj256ELj3ELj100EEvPKT0_PS4_S4_.has_recursion, 0
	.set _Z6kernelI14inclusive_scanILN6hipcub18BlockScanAlgorithmE1EEiLj256ELj3ELj100EEvPKT0_PS4_S4_.has_indirect_call, 0
	.section	.AMDGPU.csdata,"",@progbits
; Kernel info:
; codeLenInByte = 712
; TotalNumSgprs: 16
; NumVgprs: 22
; ScratchSize: 0
; MemoryBound: 0
; FloatMode: 240
; IeeeMode: 1
; LDSByteSize: 1056 bytes/workgroup (compile time only)
; SGPRBlocks: 1
; VGPRBlocks: 5
; NumSGPRsForWavesPerEU: 16
; NumVGPRsForWavesPerEU: 22
; Occupancy: 10
; WaveLimiterHint : 0
; COMPUTE_PGM_RSRC2:SCRATCH_EN: 0
; COMPUTE_PGM_RSRC2:USER_SGPR: 6
; COMPUTE_PGM_RSRC2:TRAP_HANDLER: 0
; COMPUTE_PGM_RSRC2:TGID_X_EN: 1
; COMPUTE_PGM_RSRC2:TGID_Y_EN: 0
; COMPUTE_PGM_RSRC2:TGID_Z_EN: 0
; COMPUTE_PGM_RSRC2:TIDIG_COMP_CNT: 0
	.section	.text._Z6kernelI14inclusive_scanILN6hipcub18BlockScanAlgorithmE1EEiLj256ELj4ELj100EEvPKT0_PS4_S4_,"axG",@progbits,_Z6kernelI14inclusive_scanILN6hipcub18BlockScanAlgorithmE1EEiLj256ELj4ELj100EEvPKT0_PS4_S4_,comdat
	.protected	_Z6kernelI14inclusive_scanILN6hipcub18BlockScanAlgorithmE1EEiLj256ELj4ELj100EEvPKT0_PS4_S4_ ; -- Begin function _Z6kernelI14inclusive_scanILN6hipcub18BlockScanAlgorithmE1EEiLj256ELj4ELj100EEvPKT0_PS4_S4_
	.globl	_Z6kernelI14inclusive_scanILN6hipcub18BlockScanAlgorithmE1EEiLj256ELj4ELj100EEvPKT0_PS4_S4_
	.p2align	8
	.type	_Z6kernelI14inclusive_scanILN6hipcub18BlockScanAlgorithmE1EEiLj256ELj4ELj100EEvPKT0_PS4_S4_,@function
_Z6kernelI14inclusive_scanILN6hipcub18BlockScanAlgorithmE1EEiLj256ELj4ELj100EEvPKT0_PS4_S4_: ; @_Z6kernelI14inclusive_scanILN6hipcub18BlockScanAlgorithmE1EEiLj256ELj4ELj100EEvPKT0_PS4_S4_
; %bb.0:
	s_load_dword s0, s[4:5], 0x24
	s_load_dwordx4 s[8:11], s[4:5], 0x0
	v_mov_b32_e32 v2, 0
	v_lshrrev_b32_e32 v7, 3, v0
	v_and_b32_e32 v7, 28, v7
	s_waitcnt lgkmcnt(0)
	s_and_b32 s0, s0, 0xffff
	s_mul_i32 s6, s6, s0
	v_add_lshl_u32 v1, s6, v0, 2
	v_lshlrev_b64 v[5:6], 2, v[1:2]
	v_mov_b32_e32 v2, s9
	v_add_co_u32_e32 v1, vcc, s8, v5
	v_addc_co_u32_e32 v2, vcc, v2, v6, vcc
	global_load_dwordx4 v[1:4], v[1:2], off
	v_subrev_co_u32_e64 v8, s[0:1], 1, v0
	v_lshl_add_u32 v7, v0, 2, v7
	v_cmp_gt_u32_e32 vcc, 64, v0
	v_lshrrev_b32_e32 v9, 1, v0
	v_lshlrev_b32_e32 v10, 4, v0
	v_lshrrev_b32_e32 v0, 3, v8
	v_and_b32_e32 v9, 0x7c, v9
	v_and_b32_e32 v0, 0x1ffffffc, v0
	v_lshl_add_u32 v0, v8, 2, v0
	v_add_u32_e32 v8, v9, v10
	v_mbcnt_lo_u32_b32 v9, -1, 0
	s_xor_b64 s[4:5], s[0:1], -1
	s_movk_i32 s8, 0x64
	v_mbcnt_hi_u32_b32 v9, -1, v9
.LBB26_1:                               ; =>This Inner Loop Header: Depth=1
	s_waitcnt vmcnt(0)
	v_add_u32_e32 v11, v2, v1
	v_add_u32_e32 v10, v11, v3
	;; [unrolled: 1-line block ×3, first 2 shown]
	ds_write_b32 v7, v12
	s_waitcnt lgkmcnt(0)
	s_barrier
	s_and_saveexec_b64 s[6:7], vcc
	s_cbranch_execz .LBB26_3
; %bb.2:                                ;   in Loop: Header=BB26_1 Depth=1
	ds_read2_b32 v[13:14], v8 offset1:1
	ds_read2_b32 v[15:16], v8 offset0:2 offset1:3
	v_and_b32_e32 v17, 15, v9
	v_cmp_ne_u32_e64 s[2:3], 0, v17
	s_waitcnt lgkmcnt(1)
	v_add_u32_e32 v18, v14, v13
	s_waitcnt lgkmcnt(0)
	v_add3_u32 v18, v18, v15, v16
	s_nop 1
	v_mov_b32_dpp v19, v18 row_shr:1 row_mask:0xf bank_mask:0xf
	v_cndmask_b32_e64 v19, 0, v19, s[2:3]
	v_add_u32_e32 v18, v19, v18
	v_cmp_lt_u32_e64 s[2:3], 1, v17
	s_nop 0
	v_mov_b32_dpp v19, v18 row_shr:2 row_mask:0xf bank_mask:0xf
	v_cndmask_b32_e64 v19, 0, v19, s[2:3]
	v_add_u32_e32 v18, v18, v19
	v_cmp_lt_u32_e64 s[2:3], 3, v17
	;; [unrolled: 5-line block ×3, first 2 shown]
	s_nop 0
	v_mov_b32_dpp v19, v18 row_shr:8 row_mask:0xf bank_mask:0xf
	v_cndmask_b32_e64 v17, 0, v19, s[2:3]
	v_add_u32_e32 v17, v18, v17
	v_bfe_i32 v19, v9, 4, 1
	v_cmp_lt_u32_e64 s[2:3], 31, v9
	v_mov_b32_dpp v18, v17 row_bcast:15 row_mask:0xf bank_mask:0xf
	v_and_b32_e32 v18, v19, v18
	v_add_u32_e32 v17, v17, v18
	v_and_b32_e32 v19, 64, v9
	s_nop 0
	v_mov_b32_dpp v18, v17 row_bcast:31 row_mask:0xf bank_mask:0xf
	v_cndmask_b32_e64 v18, 0, v18, s[2:3]
	v_add_u32_e32 v17, v17, v18
	v_add_u32_e32 v18, -1, v9
	v_cmp_lt_i32_e64 s[2:3], v18, v19
	v_cndmask_b32_e64 v18, v18, v9, s[2:3]
	v_lshlrev_b32_e32 v18, 2, v18
	ds_bpermute_b32 v17, v18, v17
	s_waitcnt lgkmcnt(0)
	v_add_u32_e32 v13, v17, v13
	v_cndmask_b32_e64 v13, v13, v12, s[0:1]
	v_add_u32_e32 v14, v13, v14
	ds_write2_b32 v8, v13, v14 offset1:1
	v_add_u32_e32 v13, v14, v15
	v_add_u32_e32 v14, v13, v16
	ds_write2_b32 v8, v13, v14 offset0:2 offset1:3
.LBB26_3:                               ;   in Loop: Header=BB26_1 Depth=1
	s_or_b64 exec, exec, s[6:7]
	s_waitcnt lgkmcnt(0)
	s_barrier
	s_and_saveexec_b64 s[2:3], s[4:5]
	s_cbranch_execz .LBB26_5
; %bb.4:                                ;   in Loop: Header=BB26_1 Depth=1
	ds_read_b32 v10, v0
	s_waitcnt lgkmcnt(0)
	v_add_u32_e32 v1, v10, v1
	v_add_u32_e32 v11, v1, v2
	;; [unrolled: 1-line block ×4, first 2 shown]
.LBB26_5:                               ;   in Loop: Header=BB26_1 Depth=1
	s_or_b64 exec, exec, s[2:3]
	s_add_i32 s8, s8, -1
	s_cmp_lg_u32 s8, 0
	s_cbranch_scc0 .LBB26_7
; %bb.6:                                ;   in Loop: Header=BB26_1 Depth=1
	v_mov_b32_e32 v2, v11
	v_mov_b32_e32 v3, v10
	;; [unrolled: 1-line block ×3, first 2 shown]
	s_branch .LBB26_1
.LBB26_7:
	v_mov_b32_e32 v0, s11
	v_add_co_u32_e32 v5, vcc, s10, v5
	v_addc_co_u32_e32 v6, vcc, v0, v6, vcc
	v_mov_b32_e32 v2, v11
	v_mov_b32_e32 v3, v10
	;; [unrolled: 1-line block ×3, first 2 shown]
	global_store_dwordx4 v[5:6], v[1:4], off
	s_endpgm
	.section	.rodata,"a",@progbits
	.p2align	6, 0x0
	.amdhsa_kernel _Z6kernelI14inclusive_scanILN6hipcub18BlockScanAlgorithmE1EEiLj256ELj4ELj100EEvPKT0_PS4_S4_
		.amdhsa_group_segment_fixed_size 1056
		.amdhsa_private_segment_fixed_size 0
		.amdhsa_kernarg_size 280
		.amdhsa_user_sgpr_count 6
		.amdhsa_user_sgpr_private_segment_buffer 1
		.amdhsa_user_sgpr_dispatch_ptr 0
		.amdhsa_user_sgpr_queue_ptr 0
		.amdhsa_user_sgpr_kernarg_segment_ptr 1
		.amdhsa_user_sgpr_dispatch_id 0
		.amdhsa_user_sgpr_flat_scratch_init 0
		.amdhsa_user_sgpr_private_segment_size 0
		.amdhsa_uses_dynamic_stack 0
		.amdhsa_system_sgpr_private_segment_wavefront_offset 0
		.amdhsa_system_sgpr_workgroup_id_x 1
		.amdhsa_system_sgpr_workgroup_id_y 0
		.amdhsa_system_sgpr_workgroup_id_z 0
		.amdhsa_system_sgpr_workgroup_info 0
		.amdhsa_system_vgpr_workitem_id 0
		.amdhsa_next_free_vgpr 20
		.amdhsa_next_free_sgpr 12
		.amdhsa_reserve_vcc 1
		.amdhsa_reserve_flat_scratch 0
		.amdhsa_float_round_mode_32 0
		.amdhsa_float_round_mode_16_64 0
		.amdhsa_float_denorm_mode_32 3
		.amdhsa_float_denorm_mode_16_64 3
		.amdhsa_dx10_clamp 1
		.amdhsa_ieee_mode 1
		.amdhsa_fp16_overflow 0
		.amdhsa_exception_fp_ieee_invalid_op 0
		.amdhsa_exception_fp_denorm_src 0
		.amdhsa_exception_fp_ieee_div_zero 0
		.amdhsa_exception_fp_ieee_overflow 0
		.amdhsa_exception_fp_ieee_underflow 0
		.amdhsa_exception_fp_ieee_inexact 0
		.amdhsa_exception_int_div_zero 0
	.end_amdhsa_kernel
	.section	.text._Z6kernelI14inclusive_scanILN6hipcub18BlockScanAlgorithmE1EEiLj256ELj4ELj100EEvPKT0_PS4_S4_,"axG",@progbits,_Z6kernelI14inclusive_scanILN6hipcub18BlockScanAlgorithmE1EEiLj256ELj4ELj100EEvPKT0_PS4_S4_,comdat
.Lfunc_end26:
	.size	_Z6kernelI14inclusive_scanILN6hipcub18BlockScanAlgorithmE1EEiLj256ELj4ELj100EEvPKT0_PS4_S4_, .Lfunc_end26-_Z6kernelI14inclusive_scanILN6hipcub18BlockScanAlgorithmE1EEiLj256ELj4ELj100EEvPKT0_PS4_S4_
                                        ; -- End function
	.set _Z6kernelI14inclusive_scanILN6hipcub18BlockScanAlgorithmE1EEiLj256ELj4ELj100EEvPKT0_PS4_S4_.num_vgpr, 20
	.set _Z6kernelI14inclusive_scanILN6hipcub18BlockScanAlgorithmE1EEiLj256ELj4ELj100EEvPKT0_PS4_S4_.num_agpr, 0
	.set _Z6kernelI14inclusive_scanILN6hipcub18BlockScanAlgorithmE1EEiLj256ELj4ELj100EEvPKT0_PS4_S4_.numbered_sgpr, 12
	.set _Z6kernelI14inclusive_scanILN6hipcub18BlockScanAlgorithmE1EEiLj256ELj4ELj100EEvPKT0_PS4_S4_.num_named_barrier, 0
	.set _Z6kernelI14inclusive_scanILN6hipcub18BlockScanAlgorithmE1EEiLj256ELj4ELj100EEvPKT0_PS4_S4_.private_seg_size, 0
	.set _Z6kernelI14inclusive_scanILN6hipcub18BlockScanAlgorithmE1EEiLj256ELj4ELj100EEvPKT0_PS4_S4_.uses_vcc, 1
	.set _Z6kernelI14inclusive_scanILN6hipcub18BlockScanAlgorithmE1EEiLj256ELj4ELj100EEvPKT0_PS4_S4_.uses_flat_scratch, 0
	.set _Z6kernelI14inclusive_scanILN6hipcub18BlockScanAlgorithmE1EEiLj256ELj4ELj100EEvPKT0_PS4_S4_.has_dyn_sized_stack, 0
	.set _Z6kernelI14inclusive_scanILN6hipcub18BlockScanAlgorithmE1EEiLj256ELj4ELj100EEvPKT0_PS4_S4_.has_recursion, 0
	.set _Z6kernelI14inclusive_scanILN6hipcub18BlockScanAlgorithmE1EEiLj256ELj4ELj100EEvPKT0_PS4_S4_.has_indirect_call, 0
	.section	.AMDGPU.csdata,"",@progbits
; Kernel info:
; codeLenInByte = 624
; TotalNumSgprs: 16
; NumVgprs: 20
; ScratchSize: 0
; MemoryBound: 0
; FloatMode: 240
; IeeeMode: 1
; LDSByteSize: 1056 bytes/workgroup (compile time only)
; SGPRBlocks: 1
; VGPRBlocks: 4
; NumSGPRsForWavesPerEU: 16
; NumVGPRsForWavesPerEU: 20
; Occupancy: 10
; WaveLimiterHint : 0
; COMPUTE_PGM_RSRC2:SCRATCH_EN: 0
; COMPUTE_PGM_RSRC2:USER_SGPR: 6
; COMPUTE_PGM_RSRC2:TRAP_HANDLER: 0
; COMPUTE_PGM_RSRC2:TGID_X_EN: 1
; COMPUTE_PGM_RSRC2:TGID_Y_EN: 0
; COMPUTE_PGM_RSRC2:TGID_Z_EN: 0
; COMPUTE_PGM_RSRC2:TIDIG_COMP_CNT: 0
	.section	.text._Z6kernelI14inclusive_scanILN6hipcub18BlockScanAlgorithmE1EEiLj256ELj8ELj100EEvPKT0_PS4_S4_,"axG",@progbits,_Z6kernelI14inclusive_scanILN6hipcub18BlockScanAlgorithmE1EEiLj256ELj8ELj100EEvPKT0_PS4_S4_,comdat
	.protected	_Z6kernelI14inclusive_scanILN6hipcub18BlockScanAlgorithmE1EEiLj256ELj8ELj100EEvPKT0_PS4_S4_ ; -- Begin function _Z6kernelI14inclusive_scanILN6hipcub18BlockScanAlgorithmE1EEiLj256ELj8ELj100EEvPKT0_PS4_S4_
	.globl	_Z6kernelI14inclusive_scanILN6hipcub18BlockScanAlgorithmE1EEiLj256ELj8ELj100EEvPKT0_PS4_S4_
	.p2align	8
	.type	_Z6kernelI14inclusive_scanILN6hipcub18BlockScanAlgorithmE1EEiLj256ELj8ELj100EEvPKT0_PS4_S4_,@function
_Z6kernelI14inclusive_scanILN6hipcub18BlockScanAlgorithmE1EEiLj256ELj8ELj100EEvPKT0_PS4_S4_: ; @_Z6kernelI14inclusive_scanILN6hipcub18BlockScanAlgorithmE1EEiLj256ELj8ELj100EEvPKT0_PS4_S4_
; %bb.0:
	s_load_dword s0, s[4:5], 0x24
	s_load_dwordx4 s[8:11], s[4:5], 0x0
	v_mov_b32_e32 v2, 0
	v_lshlrev_b32_e32 v11, 4, v0
	s_waitcnt lgkmcnt(0)
	s_and_b32 s0, s0, 0xffff
	s_mul_i32 s6, s6, s0
	v_add_lshl_u32 v1, s6, v0, 3
	v_lshlrev_b64 v[13:14], 2, v[1:2]
	v_mov_b32_e32 v1, s9
	v_add_co_u32_e32 v9, vcc, s8, v13
	v_addc_co_u32_e32 v10, vcc, v1, v14, vcc
	global_load_dwordx4 v[1:4], v[9:10], off
	global_load_dwordx4 v[5:8], v[9:10], off offset:16
	v_lshrrev_b32_e32 v9, 3, v0
	v_and_b32_e32 v9, 28, v9
	v_lshl_add_u32 v15, v0, 2, v9
	v_subrev_co_u32_e64 v9, s[0:1], 1, v0
	v_cmp_gt_u32_e32 vcc, 64, v0
	v_lshrrev_b32_e32 v10, 1, v0
	v_lshrrev_b32_e32 v0, 3, v9
	v_and_b32_e32 v0, 0x1ffffffc, v0
	v_and_b32_e32 v10, 0x7c, v10
	v_lshl_add_u32 v0, v9, 2, v0
	v_mbcnt_lo_u32_b32 v9, -1, 0
	s_xor_b64 s[4:5], s[0:1], -1
	s_movk_i32 s8, 0x64
	v_add_u32_e32 v16, v10, v11
	v_mbcnt_hi_u32_b32 v17, -1, v9
.LBB27_1:                               ; =>This Inner Loop Header: Depth=1
	s_waitcnt vmcnt(1)
	v_add_u32_e32 v20, v2, v1
	v_add_u32_e32 v19, v20, v3
	;; [unrolled: 1-line block ×3, first 2 shown]
	s_waitcnt vmcnt(0)
	v_add_u32_e32 v9, v18, v5
	v_add_u32_e32 v10, v9, v6
	;; [unrolled: 1-line block ×4, first 2 shown]
	ds_write_b32 v15, v12
	s_waitcnt lgkmcnt(0)
	s_barrier
	s_and_saveexec_b64 s[6:7], vcc
	s_cbranch_execz .LBB27_3
; %bb.2:                                ;   in Loop: Header=BB27_1 Depth=1
	ds_read2_b32 v[21:22], v16 offset1:1
	ds_read2_b32 v[23:24], v16 offset0:2 offset1:3
	v_and_b32_e32 v25, 15, v17
	v_cmp_ne_u32_e64 s[2:3], 0, v25
	s_waitcnt lgkmcnt(1)
	v_add_u32_e32 v26, v22, v21
	s_waitcnt lgkmcnt(0)
	v_add3_u32 v26, v26, v23, v24
	s_nop 1
	v_mov_b32_dpp v27, v26 row_shr:1 row_mask:0xf bank_mask:0xf
	v_cndmask_b32_e64 v27, 0, v27, s[2:3]
	v_add_u32_e32 v26, v27, v26
	v_cmp_lt_u32_e64 s[2:3], 1, v25
	s_nop 0
	v_mov_b32_dpp v27, v26 row_shr:2 row_mask:0xf bank_mask:0xf
	v_cndmask_b32_e64 v27, 0, v27, s[2:3]
	v_add_u32_e32 v26, v26, v27
	v_cmp_lt_u32_e64 s[2:3], 3, v25
	;; [unrolled: 5-line block ×3, first 2 shown]
	s_nop 0
	v_mov_b32_dpp v27, v26 row_shr:8 row_mask:0xf bank_mask:0xf
	v_cndmask_b32_e64 v25, 0, v27, s[2:3]
	v_add_u32_e32 v25, v26, v25
	v_bfe_i32 v27, v17, 4, 1
	v_cmp_lt_u32_e64 s[2:3], 31, v17
	v_mov_b32_dpp v26, v25 row_bcast:15 row_mask:0xf bank_mask:0xf
	v_and_b32_e32 v26, v27, v26
	v_add_u32_e32 v25, v25, v26
	v_and_b32_e32 v27, 64, v17
	s_nop 0
	v_mov_b32_dpp v26, v25 row_bcast:31 row_mask:0xf bank_mask:0xf
	v_cndmask_b32_e64 v26, 0, v26, s[2:3]
	v_add_u32_e32 v25, v25, v26
	v_add_u32_e32 v26, -1, v17
	v_cmp_lt_i32_e64 s[2:3], v26, v27
	v_cndmask_b32_e64 v26, v26, v17, s[2:3]
	v_lshlrev_b32_e32 v26, 2, v26
	ds_bpermute_b32 v25, v26, v25
	s_waitcnt lgkmcnt(0)
	v_add_u32_e32 v21, v25, v21
	v_cndmask_b32_e64 v21, v21, v12, s[0:1]
	v_add_u32_e32 v22, v21, v22
	ds_write2_b32 v16, v21, v22 offset1:1
	v_add_u32_e32 v21, v22, v23
	v_add_u32_e32 v22, v21, v24
	ds_write2_b32 v16, v21, v22 offset0:2 offset1:3
.LBB27_3:                               ;   in Loop: Header=BB27_1 Depth=1
	s_or_b64 exec, exec, s[6:7]
	s_waitcnt lgkmcnt(0)
	s_barrier
	s_and_saveexec_b64 s[2:3], s[4:5]
	s_cbranch_execz .LBB27_5
; %bb.4:                                ;   in Loop: Header=BB27_1 Depth=1
	ds_read_b32 v9, v0
	s_waitcnt lgkmcnt(0)
	v_add_u32_e32 v1, v9, v1
	v_add_u32_e32 v20, v1, v2
	;; [unrolled: 1-line block ×8, first 2 shown]
.LBB27_5:                               ;   in Loop: Header=BB27_1 Depth=1
	s_or_b64 exec, exec, s[2:3]
	s_add_i32 s8, s8, -1
	s_cmp_lg_u32 s8, 0
	s_cbranch_scc0 .LBB27_7
; %bb.6:                                ;   in Loop: Header=BB27_1 Depth=1
	v_mov_b32_e32 v2, v20
	v_mov_b32_e32 v3, v19
	;; [unrolled: 1-line block ×7, first 2 shown]
	s_branch .LBB27_1
.LBB27_7:
	v_mov_b32_e32 v0, s11
	v_add_co_u32_e32 v5, vcc, s10, v13
	v_addc_co_u32_e32 v6, vcc, v0, v14, vcc
	v_mov_b32_e32 v2, v20
	v_mov_b32_e32 v3, v19
	;; [unrolled: 1-line block ×3, first 2 shown]
	global_store_dwordx4 v[5:6], v[1:4], off
	global_store_dwordx4 v[5:6], v[9:12], off offset:16
	s_endpgm
	.section	.rodata,"a",@progbits
	.p2align	6, 0x0
	.amdhsa_kernel _Z6kernelI14inclusive_scanILN6hipcub18BlockScanAlgorithmE1EEiLj256ELj8ELj100EEvPKT0_PS4_S4_
		.amdhsa_group_segment_fixed_size 1056
		.amdhsa_private_segment_fixed_size 0
		.amdhsa_kernarg_size 280
		.amdhsa_user_sgpr_count 6
		.amdhsa_user_sgpr_private_segment_buffer 1
		.amdhsa_user_sgpr_dispatch_ptr 0
		.amdhsa_user_sgpr_queue_ptr 0
		.amdhsa_user_sgpr_kernarg_segment_ptr 1
		.amdhsa_user_sgpr_dispatch_id 0
		.amdhsa_user_sgpr_flat_scratch_init 0
		.amdhsa_user_sgpr_private_segment_size 0
		.amdhsa_uses_dynamic_stack 0
		.amdhsa_system_sgpr_private_segment_wavefront_offset 0
		.amdhsa_system_sgpr_workgroup_id_x 1
		.amdhsa_system_sgpr_workgroup_id_y 0
		.amdhsa_system_sgpr_workgroup_id_z 0
		.amdhsa_system_sgpr_workgroup_info 0
		.amdhsa_system_vgpr_workitem_id 0
		.amdhsa_next_free_vgpr 28
		.amdhsa_next_free_sgpr 12
		.amdhsa_reserve_vcc 1
		.amdhsa_reserve_flat_scratch 0
		.amdhsa_float_round_mode_32 0
		.amdhsa_float_round_mode_16_64 0
		.amdhsa_float_denorm_mode_32 3
		.amdhsa_float_denorm_mode_16_64 3
		.amdhsa_dx10_clamp 1
		.amdhsa_ieee_mode 1
		.amdhsa_fp16_overflow 0
		.amdhsa_exception_fp_ieee_invalid_op 0
		.amdhsa_exception_fp_denorm_src 0
		.amdhsa_exception_fp_ieee_div_zero 0
		.amdhsa_exception_fp_ieee_overflow 0
		.amdhsa_exception_fp_ieee_underflow 0
		.amdhsa_exception_fp_ieee_inexact 0
		.amdhsa_exception_int_div_zero 0
	.end_amdhsa_kernel
	.section	.text._Z6kernelI14inclusive_scanILN6hipcub18BlockScanAlgorithmE1EEiLj256ELj8ELj100EEvPKT0_PS4_S4_,"axG",@progbits,_Z6kernelI14inclusive_scanILN6hipcub18BlockScanAlgorithmE1EEiLj256ELj8ELj100EEvPKT0_PS4_S4_,comdat
.Lfunc_end27:
	.size	_Z6kernelI14inclusive_scanILN6hipcub18BlockScanAlgorithmE1EEiLj256ELj8ELj100EEvPKT0_PS4_S4_, .Lfunc_end27-_Z6kernelI14inclusive_scanILN6hipcub18BlockScanAlgorithmE1EEiLj256ELj8ELj100EEvPKT0_PS4_S4_
                                        ; -- End function
	.set _Z6kernelI14inclusive_scanILN6hipcub18BlockScanAlgorithmE1EEiLj256ELj8ELj100EEvPKT0_PS4_S4_.num_vgpr, 28
	.set _Z6kernelI14inclusive_scanILN6hipcub18BlockScanAlgorithmE1EEiLj256ELj8ELj100EEvPKT0_PS4_S4_.num_agpr, 0
	.set _Z6kernelI14inclusive_scanILN6hipcub18BlockScanAlgorithmE1EEiLj256ELj8ELj100EEvPKT0_PS4_S4_.numbered_sgpr, 12
	.set _Z6kernelI14inclusive_scanILN6hipcub18BlockScanAlgorithmE1EEiLj256ELj8ELj100EEvPKT0_PS4_S4_.num_named_barrier, 0
	.set _Z6kernelI14inclusive_scanILN6hipcub18BlockScanAlgorithmE1EEiLj256ELj8ELj100EEvPKT0_PS4_S4_.private_seg_size, 0
	.set _Z6kernelI14inclusive_scanILN6hipcub18BlockScanAlgorithmE1EEiLj256ELj8ELj100EEvPKT0_PS4_S4_.uses_vcc, 1
	.set _Z6kernelI14inclusive_scanILN6hipcub18BlockScanAlgorithmE1EEiLj256ELj8ELj100EEvPKT0_PS4_S4_.uses_flat_scratch, 0
	.set _Z6kernelI14inclusive_scanILN6hipcub18BlockScanAlgorithmE1EEiLj256ELj8ELj100EEvPKT0_PS4_S4_.has_dyn_sized_stack, 0
	.set _Z6kernelI14inclusive_scanILN6hipcub18BlockScanAlgorithmE1EEiLj256ELj8ELj100EEvPKT0_PS4_S4_.has_recursion, 0
	.set _Z6kernelI14inclusive_scanILN6hipcub18BlockScanAlgorithmE1EEiLj256ELj8ELj100EEvPKT0_PS4_S4_.has_indirect_call, 0
	.section	.AMDGPU.csdata,"",@progbits
; Kernel info:
; codeLenInByte = 692
; TotalNumSgprs: 16
; NumVgprs: 28
; ScratchSize: 0
; MemoryBound: 0
; FloatMode: 240
; IeeeMode: 1
; LDSByteSize: 1056 bytes/workgroup (compile time only)
; SGPRBlocks: 1
; VGPRBlocks: 6
; NumSGPRsForWavesPerEU: 16
; NumVGPRsForWavesPerEU: 28
; Occupancy: 9
; WaveLimiterHint : 0
; COMPUTE_PGM_RSRC2:SCRATCH_EN: 0
; COMPUTE_PGM_RSRC2:USER_SGPR: 6
; COMPUTE_PGM_RSRC2:TRAP_HANDLER: 0
; COMPUTE_PGM_RSRC2:TGID_X_EN: 1
; COMPUTE_PGM_RSRC2:TGID_Y_EN: 0
; COMPUTE_PGM_RSRC2:TGID_Z_EN: 0
; COMPUTE_PGM_RSRC2:TIDIG_COMP_CNT: 0
	.section	.text._Z6kernelI14inclusive_scanILN6hipcub18BlockScanAlgorithmE1EEiLj256ELj11ELj100EEvPKT0_PS4_S4_,"axG",@progbits,_Z6kernelI14inclusive_scanILN6hipcub18BlockScanAlgorithmE1EEiLj256ELj11ELj100EEvPKT0_PS4_S4_,comdat
	.protected	_Z6kernelI14inclusive_scanILN6hipcub18BlockScanAlgorithmE1EEiLj256ELj11ELj100EEvPKT0_PS4_S4_ ; -- Begin function _Z6kernelI14inclusive_scanILN6hipcub18BlockScanAlgorithmE1EEiLj256ELj11ELj100EEvPKT0_PS4_S4_
	.globl	_Z6kernelI14inclusive_scanILN6hipcub18BlockScanAlgorithmE1EEiLj256ELj11ELj100EEvPKT0_PS4_S4_
	.p2align	8
	.type	_Z6kernelI14inclusive_scanILN6hipcub18BlockScanAlgorithmE1EEiLj256ELj11ELj100EEvPKT0_PS4_S4_,@function
_Z6kernelI14inclusive_scanILN6hipcub18BlockScanAlgorithmE1EEiLj256ELj11ELj100EEvPKT0_PS4_S4_: ; @_Z6kernelI14inclusive_scanILN6hipcub18BlockScanAlgorithmE1EEiLj256ELj11ELj100EEvPKT0_PS4_S4_
; %bb.0:
	s_load_dword s0, s[4:5], 0x24
	s_load_dwordx4 s[8:11], s[4:5], 0x0
	v_mov_b32_e32 v22, 0
	v_mov_b32_e32 v4, v22
	;; [unrolled: 1-line block ×3, first 2 shown]
	s_waitcnt lgkmcnt(0)
	s_and_b32 s0, s0, 0xffff
	s_mul_i32 s6, s6, s0
	v_add_u32_e32 v1, s6, v0
	v_mul_lo_u32 v21, v1, 11
	v_mov_b32_e32 v3, s9
	v_mov_b32_e32 v5, s9
	;; [unrolled: 1-line block ×3, first 2 shown]
	v_lshlrev_b64 v[1:2], 2, v[21:22]
	v_mov_b32_e32 v8, v22
	v_add_co_u32_e32 v17, vcc, s8, v1
	v_addc_co_u32_e32 v18, vcc, v3, v2, vcc
	v_add_u32_e32 v3, 1, v21
	v_lshlrev_b64 v[3:4], 2, v[3:4]
	v_mov_b32_e32 v9, s9
	v_add_co_u32_e32 v19, vcc, s8, v3
	v_addc_co_u32_e32 v20, vcc, v5, v4, vcc
	v_add_u32_e32 v5, 2, v21
	;; [unrolled: 5-line block ×6, first 2 shown]
	v_mov_b32_e32 v14, v22
	v_lshlrev_b64 v[13:14], 2, v[13:14]
	v_mov_b32_e32 v15, s9
	v_add_co_u32_e32 v39, vcc, s8, v13
	v_addc_co_u32_e32 v40, vcc, v15, v14, vcc
	v_add_u32_e32 v15, 7, v21
	v_mov_b32_e32 v16, v22
	v_lshlrev_b64 v[15:16], 2, v[15:16]
	v_mov_b32_e32 v23, s9
	v_add_co_u32_e32 v41, vcc, s8, v15
	v_addc_co_u32_e32 v42, vcc, v23, v16, vcc
	global_load_dword v23, v[17:18], off
	global_load_dword v30, v[19:20], off
	;; [unrolled: 1-line block ×8, first 2 shown]
	v_add_u32_e32 v17, 8, v21
	v_mov_b32_e32 v18, v22
	v_lshlrev_b64 v[17:18], 2, v[17:18]
	v_mov_b32_e32 v19, s9
	v_add_co_u32_e32 v31, vcc, s8, v17
	v_addc_co_u32_e32 v32, vcc, v19, v18, vcc
	v_add_u32_e32 v19, 9, v21
	v_mov_b32_e32 v20, v22
	v_lshlrev_b64 v[19:20], 2, v[19:20]
	v_add_u32_e32 v21, 10, v21
	v_mov_b32_e32 v34, s9
	v_add_co_u32_e32 v33, vcc, s8, v19
	v_lshlrev_b64 v[21:22], 2, v[21:22]
	v_addc_co_u32_e32 v34, vcc, v34, v20, vcc
	v_mov_b32_e32 v36, s9
	v_add_co_u32_e32 v35, vcc, s8, v21
	v_addc_co_u32_e32 v36, vcc, v36, v22, vcc
	global_load_dword v42, v[31:32], off
	global_load_dword v39, v[33:34], off
	;; [unrolled: 1-line block ×3, first 2 shown]
	v_subrev_co_u32_e32 v31, vcc, 1, v0
	v_lshrrev_b32_e32 v32, 3, v31
	v_and_b32_e32 v32, 0x1ffffffc, v32
	v_lshl_add_u32 v32, v31, 2, v32
	v_lshrrev_b32_e32 v31, 3, v0
	v_and_b32_e32 v31, 28, v31
	v_lshl_add_u32 v34, v0, 2, v31
	v_lshrrev_b32_e32 v31, 1, v0
	v_cmp_gt_u32_e64 s[0:1], 64, v0
	v_and_b32_e32 v31, 0x7c, v31
	v_lshlrev_b32_e32 v0, 4, v0
	v_add_u32_e32 v36, v31, v0
	v_mbcnt_lo_u32_b32 v0, -1, 0
	s_xor_b64 s[6:7], vcc, -1
	s_movk_i32 s12, 0x64
	v_mbcnt_hi_u32_b32 v38, -1, v0
.LBB28_1:                               ; =>This Inner Loop Header: Depth=1
	s_waitcnt vmcnt(9)
	v_add_u32_e32 v46, v23, v30
	s_waitcnt vmcnt(8)
	v_add_u32_e32 v45, v46, v29
	;; [unrolled: 2-line block ×10, first 2 shown]
	ds_write_b32 v34, v0
	s_waitcnt lgkmcnt(0)
	s_barrier
	s_and_saveexec_b64 s[8:9], s[0:1]
	s_cbranch_execz .LBB28_3
; %bb.2:                                ;   in Loop: Header=BB28_1 Depth=1
	ds_read2_b32 v[47:48], v36 offset1:1
	ds_read2_b32 v[49:50], v36 offset0:2 offset1:3
	v_and_b32_e32 v51, 15, v38
	v_cmp_ne_u32_e64 s[2:3], 0, v51
	v_cmp_lt_u32_e64 s[4:5], 1, v51
	s_waitcnt lgkmcnt(1)
	v_add_u32_e32 v52, v48, v47
	s_waitcnt lgkmcnt(0)
	v_add3_u32 v52, v52, v49, v50
	s_nop 1
	v_mov_b32_dpp v53, v52 row_shr:1 row_mask:0xf bank_mask:0xf
	v_cndmask_b32_e64 v53, 0, v53, s[2:3]
	v_add_u32_e32 v52, v53, v52
	v_cmp_lt_u32_e64 s[2:3], 3, v51
	s_nop 0
	v_mov_b32_dpp v53, v52 row_shr:2 row_mask:0xf bank_mask:0xf
	v_cndmask_b32_e64 v53, 0, v53, s[4:5]
	v_add_u32_e32 v52, v52, v53
	s_nop 1
	v_mov_b32_dpp v53, v52 row_shr:4 row_mask:0xf bank_mask:0xf
	v_cndmask_b32_e64 v53, 0, v53, s[2:3]
	v_add_u32_e32 v52, v52, v53
	v_cmp_lt_u32_e64 s[2:3], 7, v51
	s_nop 0
	v_mov_b32_dpp v53, v52 row_shr:8 row_mask:0xf bank_mask:0xf
	v_cndmask_b32_e64 v51, 0, v53, s[2:3]
	v_add_u32_e32 v51, v52, v51
	v_bfe_i32 v53, v38, 4, 1
	v_cmp_lt_u32_e64 s[2:3], 31, v38
	v_mov_b32_dpp v52, v51 row_bcast:15 row_mask:0xf bank_mask:0xf
	v_and_b32_e32 v52, v53, v52
	v_add_u32_e32 v51, v51, v52
	v_and_b32_e32 v53, 64, v38
	s_nop 0
	v_mov_b32_dpp v52, v51 row_bcast:31 row_mask:0xf bank_mask:0xf
	v_cndmask_b32_e64 v52, 0, v52, s[2:3]
	v_add_u32_e32 v51, v51, v52
	v_add_u32_e32 v52, -1, v38
	v_cmp_lt_i32_e64 s[2:3], v52, v53
	v_cndmask_b32_e64 v52, v52, v38, s[2:3]
	v_lshlrev_b32_e32 v52, 2, v52
	ds_bpermute_b32 v51, v52, v51
	s_waitcnt lgkmcnt(0)
	v_add_u32_e32 v47, v51, v47
	v_cndmask_b32_e32 v47, v47, v0, vcc
	v_add_u32_e32 v48, v47, v48
	ds_write2_b32 v36, v47, v48 offset1:1
	v_add_u32_e32 v47, v48, v49
	v_add_u32_e32 v48, v47, v50
	ds_write2_b32 v36, v47, v48 offset0:2 offset1:3
.LBB28_3:                               ;   in Loop: Header=BB28_1 Depth=1
	s_or_b64 exec, exec, s[8:9]
	s_waitcnt lgkmcnt(0)
	s_barrier
	s_and_saveexec_b64 s[2:3], s[6:7]
	s_cbranch_execz .LBB28_5
; %bb.4:                                ;   in Loop: Header=BB28_1 Depth=1
	ds_read_b32 v0, v32
	s_waitcnt lgkmcnt(0)
	v_add_u32_e32 v23, v0, v23
	v_add_u32_e32 v46, v23, v30
	;; [unrolled: 1-line block ×11, first 2 shown]
.LBB28_5:                               ;   in Loop: Header=BB28_1 Depth=1
	s_or_b64 exec, exec, s[2:3]
	s_add_i32 s12, s12, -1
	s_cmp_lg_u32 s12, 0
	s_cbranch_scc0 .LBB28_7
; %bb.6:                                ;   in Loop: Header=BB28_1 Depth=1
	v_mov_b32_e32 v41, v0
	v_mov_b32_e32 v39, v31
	;; [unrolled: 1-line block ×10, first 2 shown]
	s_branch .LBB28_1
.LBB28_7:
	v_mov_b32_e32 v24, s11
	v_add_co_u32_e32 v1, vcc, s10, v1
	v_addc_co_u32_e32 v2, vcc, v24, v2, vcc
	global_store_dword v[1:2], v23, off
	v_mov_b32_e32 v2, s11
	v_add_co_u32_e32 v1, vcc, s10, v3
	v_addc_co_u32_e32 v2, vcc, v2, v4, vcc
	global_store_dword v[1:2], v46, off
	;; [unrolled: 4-line block ×11, first 2 shown]
	s_endpgm
	.section	.rodata,"a",@progbits
	.p2align	6, 0x0
	.amdhsa_kernel _Z6kernelI14inclusive_scanILN6hipcub18BlockScanAlgorithmE1EEiLj256ELj11ELj100EEvPKT0_PS4_S4_
		.amdhsa_group_segment_fixed_size 1056
		.amdhsa_private_segment_fixed_size 0
		.amdhsa_kernarg_size 280
		.amdhsa_user_sgpr_count 6
		.amdhsa_user_sgpr_private_segment_buffer 1
		.amdhsa_user_sgpr_dispatch_ptr 0
		.amdhsa_user_sgpr_queue_ptr 0
		.amdhsa_user_sgpr_kernarg_segment_ptr 1
		.amdhsa_user_sgpr_dispatch_id 0
		.amdhsa_user_sgpr_flat_scratch_init 0
		.amdhsa_user_sgpr_private_segment_size 0
		.amdhsa_uses_dynamic_stack 0
		.amdhsa_system_sgpr_private_segment_wavefront_offset 0
		.amdhsa_system_sgpr_workgroup_id_x 1
		.amdhsa_system_sgpr_workgroup_id_y 0
		.amdhsa_system_sgpr_workgroup_id_z 0
		.amdhsa_system_sgpr_workgroup_info 0
		.amdhsa_system_vgpr_workitem_id 0
		.amdhsa_next_free_vgpr 54
		.amdhsa_next_free_sgpr 13
		.amdhsa_reserve_vcc 1
		.amdhsa_reserve_flat_scratch 0
		.amdhsa_float_round_mode_32 0
		.amdhsa_float_round_mode_16_64 0
		.amdhsa_float_denorm_mode_32 3
		.amdhsa_float_denorm_mode_16_64 3
		.amdhsa_dx10_clamp 1
		.amdhsa_ieee_mode 1
		.amdhsa_fp16_overflow 0
		.amdhsa_exception_fp_ieee_invalid_op 0
		.amdhsa_exception_fp_denorm_src 0
		.amdhsa_exception_fp_ieee_div_zero 0
		.amdhsa_exception_fp_ieee_overflow 0
		.amdhsa_exception_fp_ieee_underflow 0
		.amdhsa_exception_fp_ieee_inexact 0
		.amdhsa_exception_int_div_zero 0
	.end_amdhsa_kernel
	.section	.text._Z6kernelI14inclusive_scanILN6hipcub18BlockScanAlgorithmE1EEiLj256ELj11ELj100EEvPKT0_PS4_S4_,"axG",@progbits,_Z6kernelI14inclusive_scanILN6hipcub18BlockScanAlgorithmE1EEiLj256ELj11ELj100EEvPKT0_PS4_S4_,comdat
.Lfunc_end28:
	.size	_Z6kernelI14inclusive_scanILN6hipcub18BlockScanAlgorithmE1EEiLj256ELj11ELj100EEvPKT0_PS4_S4_, .Lfunc_end28-_Z6kernelI14inclusive_scanILN6hipcub18BlockScanAlgorithmE1EEiLj256ELj11ELj100EEvPKT0_PS4_S4_
                                        ; -- End function
	.set _Z6kernelI14inclusive_scanILN6hipcub18BlockScanAlgorithmE1EEiLj256ELj11ELj100EEvPKT0_PS4_S4_.num_vgpr, 54
	.set _Z6kernelI14inclusive_scanILN6hipcub18BlockScanAlgorithmE1EEiLj256ELj11ELj100EEvPKT0_PS4_S4_.num_agpr, 0
	.set _Z6kernelI14inclusive_scanILN6hipcub18BlockScanAlgorithmE1EEiLj256ELj11ELj100EEvPKT0_PS4_S4_.numbered_sgpr, 13
	.set _Z6kernelI14inclusive_scanILN6hipcub18BlockScanAlgorithmE1EEiLj256ELj11ELj100EEvPKT0_PS4_S4_.num_named_barrier, 0
	.set _Z6kernelI14inclusive_scanILN6hipcub18BlockScanAlgorithmE1EEiLj256ELj11ELj100EEvPKT0_PS4_S4_.private_seg_size, 0
	.set _Z6kernelI14inclusive_scanILN6hipcub18BlockScanAlgorithmE1EEiLj256ELj11ELj100EEvPKT0_PS4_S4_.uses_vcc, 1
	.set _Z6kernelI14inclusive_scanILN6hipcub18BlockScanAlgorithmE1EEiLj256ELj11ELj100EEvPKT0_PS4_S4_.uses_flat_scratch, 0
	.set _Z6kernelI14inclusive_scanILN6hipcub18BlockScanAlgorithmE1EEiLj256ELj11ELj100EEvPKT0_PS4_S4_.has_dyn_sized_stack, 0
	.set _Z6kernelI14inclusive_scanILN6hipcub18BlockScanAlgorithmE1EEiLj256ELj11ELj100EEvPKT0_PS4_S4_.has_recursion, 0
	.set _Z6kernelI14inclusive_scanILN6hipcub18BlockScanAlgorithmE1EEiLj256ELj11ELj100EEvPKT0_PS4_S4_.has_indirect_call, 0
	.section	.AMDGPU.csdata,"",@progbits
; Kernel info:
; codeLenInByte = 1288
; TotalNumSgprs: 17
; NumVgprs: 54
; ScratchSize: 0
; MemoryBound: 0
; FloatMode: 240
; IeeeMode: 1
; LDSByteSize: 1056 bytes/workgroup (compile time only)
; SGPRBlocks: 2
; VGPRBlocks: 13
; NumSGPRsForWavesPerEU: 17
; NumVGPRsForWavesPerEU: 54
; Occupancy: 4
; WaveLimiterHint : 0
; COMPUTE_PGM_RSRC2:SCRATCH_EN: 0
; COMPUTE_PGM_RSRC2:USER_SGPR: 6
; COMPUTE_PGM_RSRC2:TRAP_HANDLER: 0
; COMPUTE_PGM_RSRC2:TGID_X_EN: 1
; COMPUTE_PGM_RSRC2:TGID_Y_EN: 0
; COMPUTE_PGM_RSRC2:TGID_Z_EN: 0
; COMPUTE_PGM_RSRC2:TIDIG_COMP_CNT: 0
	.section	.text._Z6kernelI14inclusive_scanILN6hipcub18BlockScanAlgorithmE1EEiLj256ELj16ELj100EEvPKT0_PS4_S4_,"axG",@progbits,_Z6kernelI14inclusive_scanILN6hipcub18BlockScanAlgorithmE1EEiLj256ELj16ELj100EEvPKT0_PS4_S4_,comdat
	.protected	_Z6kernelI14inclusive_scanILN6hipcub18BlockScanAlgorithmE1EEiLj256ELj16ELj100EEvPKT0_PS4_S4_ ; -- Begin function _Z6kernelI14inclusive_scanILN6hipcub18BlockScanAlgorithmE1EEiLj256ELj16ELj100EEvPKT0_PS4_S4_
	.globl	_Z6kernelI14inclusive_scanILN6hipcub18BlockScanAlgorithmE1EEiLj256ELj16ELj100EEvPKT0_PS4_S4_
	.p2align	8
	.type	_Z6kernelI14inclusive_scanILN6hipcub18BlockScanAlgorithmE1EEiLj256ELj16ELj100EEvPKT0_PS4_S4_,@function
_Z6kernelI14inclusive_scanILN6hipcub18BlockScanAlgorithmE1EEiLj256ELj16ELj100EEvPKT0_PS4_S4_: ; @_Z6kernelI14inclusive_scanILN6hipcub18BlockScanAlgorithmE1EEiLj256ELj16ELj100EEvPKT0_PS4_S4_
; %bb.0:
	s_load_dword s0, s[4:5], 0x24
	s_load_dwordx4 s[8:11], s[4:5], 0x0
	v_mov_b32_e32 v2, 0
	v_lshlrev_b32_e32 v19, 4, v0
	s_movk_i32 s12, 0x64
	s_waitcnt lgkmcnt(0)
	s_and_b32 s0, s0, 0xffff
	s_mul_i32 s6, s6, s0
	v_add_lshl_u32 v1, s6, v0, 4
	v_lshlrev_b64 v[29:30], 2, v[1:2]
	v_mov_b32_e32 v1, s9
	v_add_co_u32_e32 v17, vcc, s8, v29
	v_addc_co_u32_e32 v18, vcc, v1, v30, vcc
	global_load_dwordx4 v[1:4], v[17:18], off
	global_load_dwordx4 v[5:8], v[17:18], off offset:16
	global_load_dwordx4 v[13:16], v[17:18], off offset:32
	;; [unrolled: 1-line block ×3, first 2 shown]
	v_lshrrev_b32_e32 v17, 3, v0
	v_and_b32_e32 v17, 28, v17
	v_lshl_add_u32 v31, v0, 2, v17
	v_subrev_co_u32_e64 v17, s[0:1], 1, v0
	v_cmp_gt_u32_e32 vcc, 64, v0
	v_lshrrev_b32_e32 v18, 1, v0
	v_lshrrev_b32_e32 v0, 3, v17
	v_and_b32_e32 v0, 0x1ffffffc, v0
	v_and_b32_e32 v18, 0x7c, v18
	v_lshl_add_u32 v0, v17, 2, v0
	v_mbcnt_lo_u32_b32 v17, -1, 0
	s_xor_b64 s[6:7], s[0:1], -1
	v_add_u32_e32 v32, v18, v19
	v_mbcnt_hi_u32_b32 v33, -1, v17
.LBB29_1:                               ; =>This Inner Loop Header: Depth=1
	s_waitcnt vmcnt(3)
	v_add_u32_e32 v34, v1, v2
	v_add_u32_e32 v35, v34, v3
	v_add_u32_e32 v36, v35, v4
	s_waitcnt vmcnt(2)
	v_add_u32_e32 v17, v36, v5
	v_add_u32_e32 v18, v17, v6
	v_add_u32_e32 v19, v18, v7
	v_add_u32_e32 v20, v19, v8
	s_waitcnt vmcnt(1)
	v_add_u32_e32 v21, v20, v13
	;; [unrolled: 5-line block ×3, first 2 shown]
	v_add_u32_e32 v26, v25, v10
	v_add_u32_e32 v27, v26, v11
	v_add_u32_e32 v28, v27, v12
	ds_write_b32 v31, v28
	s_waitcnt lgkmcnt(0)
	s_barrier
	s_and_saveexec_b64 s[8:9], vcc
	s_cbranch_execz .LBB29_3
; %bb.2:                                ;   in Loop: Header=BB29_1 Depth=1
	ds_read2_b32 v[37:38], v32 offset1:1
	ds_read2_b32 v[39:40], v32 offset0:2 offset1:3
	v_and_b32_e32 v41, 15, v33
	v_cmp_ne_u32_e64 s[2:3], 0, v41
	v_cmp_lt_u32_e64 s[4:5], 1, v41
	s_waitcnt lgkmcnt(1)
	v_add_u32_e32 v42, v38, v37
	s_waitcnt lgkmcnt(0)
	v_add3_u32 v42, v42, v39, v40
	s_nop 1
	v_mov_b32_dpp v43, v42 row_shr:1 row_mask:0xf bank_mask:0xf
	v_cndmask_b32_e64 v43, 0, v43, s[2:3]
	v_add_u32_e32 v42, v43, v42
	v_cmp_lt_u32_e64 s[2:3], 3, v41
	s_nop 0
	v_mov_b32_dpp v43, v42 row_shr:2 row_mask:0xf bank_mask:0xf
	v_cndmask_b32_e64 v43, 0, v43, s[4:5]
	v_add_u32_e32 v42, v42, v43
	s_nop 1
	v_mov_b32_dpp v43, v42 row_shr:4 row_mask:0xf bank_mask:0xf
	v_cndmask_b32_e64 v43, 0, v43, s[2:3]
	v_add_u32_e32 v42, v42, v43
	v_cmp_lt_u32_e64 s[2:3], 7, v41
	s_nop 0
	v_mov_b32_dpp v43, v42 row_shr:8 row_mask:0xf bank_mask:0xf
	v_cndmask_b32_e64 v41, 0, v43, s[2:3]
	v_add_u32_e32 v41, v42, v41
	v_bfe_i32 v43, v33, 4, 1
	v_cmp_lt_u32_e64 s[2:3], 31, v33
	v_mov_b32_dpp v42, v41 row_bcast:15 row_mask:0xf bank_mask:0xf
	v_and_b32_e32 v42, v43, v42
	v_add_u32_e32 v41, v41, v42
	v_and_b32_e32 v43, 64, v33
	s_nop 0
	v_mov_b32_dpp v42, v41 row_bcast:31 row_mask:0xf bank_mask:0xf
	v_cndmask_b32_e64 v42, 0, v42, s[2:3]
	v_add_u32_e32 v41, v41, v42
	v_add_u32_e32 v42, -1, v33
	v_cmp_lt_i32_e64 s[2:3], v42, v43
	v_cndmask_b32_e64 v42, v42, v33, s[2:3]
	v_lshlrev_b32_e32 v42, 2, v42
	ds_bpermute_b32 v41, v42, v41
	s_waitcnt lgkmcnt(0)
	v_add_u32_e32 v37, v41, v37
	v_cndmask_b32_e64 v37, v37, v28, s[0:1]
	v_add_u32_e32 v38, v37, v38
	ds_write2_b32 v32, v37, v38 offset1:1
	v_add_u32_e32 v37, v38, v39
	v_add_u32_e32 v38, v37, v40
	ds_write2_b32 v32, v37, v38 offset0:2 offset1:3
.LBB29_3:                               ;   in Loop: Header=BB29_1 Depth=1
	s_or_b64 exec, exec, s[8:9]
	s_waitcnt lgkmcnt(0)
	s_barrier
	s_and_saveexec_b64 s[2:3], s[6:7]
	s_cbranch_execz .LBB29_5
; %bb.4:                                ;   in Loop: Header=BB29_1 Depth=1
	ds_read_b32 v17, v0
	s_waitcnt lgkmcnt(0)
	v_add_u32_e32 v1, v17, v1
	v_add_u32_e32 v34, v1, v2
	;; [unrolled: 1-line block ×16, first 2 shown]
.LBB29_5:                               ;   in Loop: Header=BB29_1 Depth=1
	s_or_b64 exec, exec, s[2:3]
	s_add_i32 s12, s12, -1
	s_cmp_lg_u32 s12, 0
	s_cbranch_scc0 .LBB29_7
; %bb.6:                                ;   in Loop: Header=BB29_1 Depth=1
	v_mov_b32_e32 v12, v28
	v_mov_b32_e32 v11, v27
	;; [unrolled: 1-line block ×15, first 2 shown]
	s_branch .LBB29_1
.LBB29_7:
	v_mov_b32_e32 v0, s11
	v_add_co_u32_e32 v5, vcc, s10, v29
	v_addc_co_u32_e32 v6, vcc, v0, v30, vcc
	v_mov_b32_e32 v2, v34
	v_mov_b32_e32 v3, v35
	;; [unrolled: 1-line block ×3, first 2 shown]
	global_store_dwordx4 v[5:6], v[1:4], off
	global_store_dwordx4 v[5:6], v[17:20], off offset:16
	global_store_dwordx4 v[5:6], v[21:24], off offset:32
	;; [unrolled: 1-line block ×3, first 2 shown]
	s_endpgm
	.section	.rodata,"a",@progbits
	.p2align	6, 0x0
	.amdhsa_kernel _Z6kernelI14inclusive_scanILN6hipcub18BlockScanAlgorithmE1EEiLj256ELj16ELj100EEvPKT0_PS4_S4_
		.amdhsa_group_segment_fixed_size 1056
		.amdhsa_private_segment_fixed_size 0
		.amdhsa_kernarg_size 280
		.amdhsa_user_sgpr_count 6
		.amdhsa_user_sgpr_private_segment_buffer 1
		.amdhsa_user_sgpr_dispatch_ptr 0
		.amdhsa_user_sgpr_queue_ptr 0
		.amdhsa_user_sgpr_kernarg_segment_ptr 1
		.amdhsa_user_sgpr_dispatch_id 0
		.amdhsa_user_sgpr_flat_scratch_init 0
		.amdhsa_user_sgpr_private_segment_size 0
		.amdhsa_uses_dynamic_stack 0
		.amdhsa_system_sgpr_private_segment_wavefront_offset 0
		.amdhsa_system_sgpr_workgroup_id_x 1
		.amdhsa_system_sgpr_workgroup_id_y 0
		.amdhsa_system_sgpr_workgroup_id_z 0
		.amdhsa_system_sgpr_workgroup_info 0
		.amdhsa_system_vgpr_workitem_id 0
		.amdhsa_next_free_vgpr 44
		.amdhsa_next_free_sgpr 13
		.amdhsa_reserve_vcc 1
		.amdhsa_reserve_flat_scratch 0
		.amdhsa_float_round_mode_32 0
		.amdhsa_float_round_mode_16_64 0
		.amdhsa_float_denorm_mode_32 3
		.amdhsa_float_denorm_mode_16_64 3
		.amdhsa_dx10_clamp 1
		.amdhsa_ieee_mode 1
		.amdhsa_fp16_overflow 0
		.amdhsa_exception_fp_ieee_invalid_op 0
		.amdhsa_exception_fp_denorm_src 0
		.amdhsa_exception_fp_ieee_div_zero 0
		.amdhsa_exception_fp_ieee_overflow 0
		.amdhsa_exception_fp_ieee_underflow 0
		.amdhsa_exception_fp_ieee_inexact 0
		.amdhsa_exception_int_div_zero 0
	.end_amdhsa_kernel
	.section	.text._Z6kernelI14inclusive_scanILN6hipcub18BlockScanAlgorithmE1EEiLj256ELj16ELj100EEvPKT0_PS4_S4_,"axG",@progbits,_Z6kernelI14inclusive_scanILN6hipcub18BlockScanAlgorithmE1EEiLj256ELj16ELj100EEvPKT0_PS4_S4_,comdat
.Lfunc_end29:
	.size	_Z6kernelI14inclusive_scanILN6hipcub18BlockScanAlgorithmE1EEiLj256ELj16ELj100EEvPKT0_PS4_S4_, .Lfunc_end29-_Z6kernelI14inclusive_scanILN6hipcub18BlockScanAlgorithmE1EEiLj256ELj16ELj100EEvPKT0_PS4_S4_
                                        ; -- End function
	.set _Z6kernelI14inclusive_scanILN6hipcub18BlockScanAlgorithmE1EEiLj256ELj16ELj100EEvPKT0_PS4_S4_.num_vgpr, 44
	.set _Z6kernelI14inclusive_scanILN6hipcub18BlockScanAlgorithmE1EEiLj256ELj16ELj100EEvPKT0_PS4_S4_.num_agpr, 0
	.set _Z6kernelI14inclusive_scanILN6hipcub18BlockScanAlgorithmE1EEiLj256ELj16ELj100EEvPKT0_PS4_S4_.numbered_sgpr, 13
	.set _Z6kernelI14inclusive_scanILN6hipcub18BlockScanAlgorithmE1EEiLj256ELj16ELj100EEvPKT0_PS4_S4_.num_named_barrier, 0
	.set _Z6kernelI14inclusive_scanILN6hipcub18BlockScanAlgorithmE1EEiLj256ELj16ELj100EEvPKT0_PS4_S4_.private_seg_size, 0
	.set _Z6kernelI14inclusive_scanILN6hipcub18BlockScanAlgorithmE1EEiLj256ELj16ELj100EEvPKT0_PS4_S4_.uses_vcc, 1
	.set _Z6kernelI14inclusive_scanILN6hipcub18BlockScanAlgorithmE1EEiLj256ELj16ELj100EEvPKT0_PS4_S4_.uses_flat_scratch, 0
	.set _Z6kernelI14inclusive_scanILN6hipcub18BlockScanAlgorithmE1EEiLj256ELj16ELj100EEvPKT0_PS4_S4_.has_dyn_sized_stack, 0
	.set _Z6kernelI14inclusive_scanILN6hipcub18BlockScanAlgorithmE1EEiLj256ELj16ELj100EEvPKT0_PS4_S4_.has_recursion, 0
	.set _Z6kernelI14inclusive_scanILN6hipcub18BlockScanAlgorithmE1EEiLj256ELj16ELj100EEvPKT0_PS4_S4_.has_indirect_call, 0
	.section	.AMDGPU.csdata,"",@progbits
; Kernel info:
; codeLenInByte = 828
; TotalNumSgprs: 17
; NumVgprs: 44
; ScratchSize: 0
; MemoryBound: 0
; FloatMode: 240
; IeeeMode: 1
; LDSByteSize: 1056 bytes/workgroup (compile time only)
; SGPRBlocks: 2
; VGPRBlocks: 10
; NumSGPRsForWavesPerEU: 17
; NumVGPRsForWavesPerEU: 44
; Occupancy: 5
; WaveLimiterHint : 0
; COMPUTE_PGM_RSRC2:SCRATCH_EN: 0
; COMPUTE_PGM_RSRC2:USER_SGPR: 6
; COMPUTE_PGM_RSRC2:TRAP_HANDLER: 0
; COMPUTE_PGM_RSRC2:TGID_X_EN: 1
; COMPUTE_PGM_RSRC2:TGID_Y_EN: 0
; COMPUTE_PGM_RSRC2:TGID_Z_EN: 0
; COMPUTE_PGM_RSRC2:TIDIG_COMP_CNT: 0
	.section	.text._Z6kernelI14inclusive_scanILN6hipcub18BlockScanAlgorithmE1EEfLj256ELj1ELj100EEvPKT0_PS4_S4_,"axG",@progbits,_Z6kernelI14inclusive_scanILN6hipcub18BlockScanAlgorithmE1EEfLj256ELj1ELj100EEvPKT0_PS4_S4_,comdat
	.protected	_Z6kernelI14inclusive_scanILN6hipcub18BlockScanAlgorithmE1EEfLj256ELj1ELj100EEvPKT0_PS4_S4_ ; -- Begin function _Z6kernelI14inclusive_scanILN6hipcub18BlockScanAlgorithmE1EEfLj256ELj1ELj100EEvPKT0_PS4_S4_
	.globl	_Z6kernelI14inclusive_scanILN6hipcub18BlockScanAlgorithmE1EEfLj256ELj1ELj100EEvPKT0_PS4_S4_
	.p2align	8
	.type	_Z6kernelI14inclusive_scanILN6hipcub18BlockScanAlgorithmE1EEfLj256ELj1ELj100EEvPKT0_PS4_S4_,@function
_Z6kernelI14inclusive_scanILN6hipcub18BlockScanAlgorithmE1EEfLj256ELj1ELj100EEvPKT0_PS4_S4_: ; @_Z6kernelI14inclusive_scanILN6hipcub18BlockScanAlgorithmE1EEfLj256ELj1ELj100EEvPKT0_PS4_S4_
; %bb.0:
	s_load_dword s0, s[4:5], 0x24
	s_load_dwordx4 s[8:11], s[4:5], 0x0
	v_mov_b32_e32 v2, 0
	v_lshrrev_b32_e32 v5, 1, v0
	v_and_b32_e32 v5, 0x7c, v5
	s_waitcnt lgkmcnt(0)
	s_and_b32 s0, s0, 0xffff
	s_mul_i32 s6, s6, s0
	v_add_u32_e32 v1, s6, v0
	v_lshlrev_b64 v[1:2], 2, v[1:2]
	v_mov_b32_e32 v4, s9
	v_add_co_u32_e32 v3, vcc, s8, v1
	v_addc_co_u32_e32 v4, vcc, v4, v2, vcc
	global_load_dword v4, v[3:4], off
	v_lshrrev_b32_e32 v3, 3, v0
	v_and_b32_e32 v3, 28, v3
	v_lshlrev_b32_e32 v6, 4, v0
	v_lshl_add_u32 v3, v0, 2, v3
	v_cmp_gt_u32_e32 vcc, 64, v0
	v_cmp_eq_u32_e64 s[0:1], 0, v0
	v_add_u32_e32 v0, v5, v6
	v_mbcnt_lo_u32_b32 v5, -1, 0
	v_mbcnt_hi_u32_b32 v5, -1, v5
	s_movk_i32 s6, 0x64
	v_and_b32_e32 v6, 15, v5
	v_and_b32_e32 v7, 16, v5
	v_add_u32_e32 v8, -1, v5
	v_and_b32_e32 v9, 64, v5
	s_branch .LBB30_2
.LBB30_1:                               ;   in Loop: Header=BB30_2 Depth=1
	s_or_b64 exec, exec, s[4:5]
	s_waitcnt lgkmcnt(0)
	s_barrier
	ds_read_b32 v4, v3
	s_add_i32 s6, s6, -1
	s_cmp_lg_u32 s6, 0
	s_cbranch_scc0 .LBB30_4
.LBB30_2:                               ; =>This Inner Loop Header: Depth=1
	s_waitcnt vmcnt(0) lgkmcnt(0)
	ds_write_b32 v3, v4
	s_waitcnt lgkmcnt(0)
	s_barrier
	s_and_saveexec_b64 s[4:5], vcc
	s_cbranch_execz .LBB30_1
; %bb.3:                                ;   in Loop: Header=BB30_2 Depth=1
	ds_read2_b32 v[10:11], v0 offset1:1
	ds_read2_b32 v[12:13], v0 offset0:2 offset1:3
	v_cmp_eq_u32_e64 s[2:3], 0, v6
	s_waitcnt lgkmcnt(1)
	v_add_f32_e32 v14, v10, v11
	s_waitcnt lgkmcnt(0)
	v_add_f32_e32 v14, v14, v12
	v_add_f32_e32 v14, v14, v13
	s_nop 1
	v_mov_b32_dpp v15, v14 row_shr:1 row_mask:0xf bank_mask:0xf
	v_add_f32_e32 v15, v14, v15
	v_cndmask_b32_e64 v14, v15, v14, s[2:3]
	v_cmp_lt_u32_e64 s[2:3], 1, v6
	s_nop 0
	v_mov_b32_dpp v15, v14 row_shr:2 row_mask:0xf bank_mask:0xf
	v_add_f32_e32 v15, v14, v15
	v_cndmask_b32_e64 v14, v14, v15, s[2:3]
	v_cmp_lt_u32_e64 s[2:3], 3, v6
	;; [unrolled: 5-line block ×3, first 2 shown]
	s_nop 0
	v_mov_b32_dpp v15, v14 row_shr:8 row_mask:0xf bank_mask:0xf
	v_add_f32_e32 v15, v14, v15
	v_cndmask_b32_e64 v14, v14, v15, s[2:3]
	v_cmp_eq_u32_e64 s[2:3], 0, v7
	s_nop 0
	v_mov_b32_dpp v15, v14 row_bcast:15 row_mask:0xf bank_mask:0xf
	v_add_f32_e32 v15, v14, v15
	v_cndmask_b32_e64 v14, v15, v14, s[2:3]
	v_cmp_lt_u32_e64 s[2:3], 31, v5
	s_nop 0
	v_mov_b32_dpp v15, v14 row_bcast:31 row_mask:0xf bank_mask:0xf
	v_add_f32_e32 v15, v14, v15
	v_cndmask_b32_e64 v14, v14, v15, s[2:3]
	v_cmp_lt_i32_e64 s[2:3], v8, v9
	v_cndmask_b32_e64 v15, v8, v5, s[2:3]
	v_lshlrev_b32_e32 v15, 2, v15
	ds_bpermute_b32 v14, v15, v14
	s_waitcnt lgkmcnt(0)
	v_add_f32_e32 v10, v10, v14
	v_cndmask_b32_e64 v4, v10, v4, s[0:1]
	v_add_f32_e32 v10, v11, v4
	ds_write2_b32 v0, v4, v10 offset1:1
	v_add_f32_e32 v4, v12, v10
	v_add_f32_e32 v10, v13, v4
	ds_write2_b32 v0, v4, v10 offset0:2 offset1:3
	s_branch .LBB30_1
.LBB30_4:
	v_mov_b32_e32 v3, s11
	v_add_co_u32_e32 v0, vcc, s10, v1
	v_addc_co_u32_e32 v1, vcc, v3, v2, vcc
	s_waitcnt lgkmcnt(0)
	global_store_dword v[0:1], v4, off
	s_endpgm
	.section	.rodata,"a",@progbits
	.p2align	6, 0x0
	.amdhsa_kernel _Z6kernelI14inclusive_scanILN6hipcub18BlockScanAlgorithmE1EEfLj256ELj1ELj100EEvPKT0_PS4_S4_
		.amdhsa_group_segment_fixed_size 1056
		.amdhsa_private_segment_fixed_size 0
		.amdhsa_kernarg_size 280
		.amdhsa_user_sgpr_count 6
		.amdhsa_user_sgpr_private_segment_buffer 1
		.amdhsa_user_sgpr_dispatch_ptr 0
		.amdhsa_user_sgpr_queue_ptr 0
		.amdhsa_user_sgpr_kernarg_segment_ptr 1
		.amdhsa_user_sgpr_dispatch_id 0
		.amdhsa_user_sgpr_flat_scratch_init 0
		.amdhsa_user_sgpr_private_segment_size 0
		.amdhsa_uses_dynamic_stack 0
		.amdhsa_system_sgpr_private_segment_wavefront_offset 0
		.amdhsa_system_sgpr_workgroup_id_x 1
		.amdhsa_system_sgpr_workgroup_id_y 0
		.amdhsa_system_sgpr_workgroup_id_z 0
		.amdhsa_system_sgpr_workgroup_info 0
		.amdhsa_system_vgpr_workitem_id 0
		.amdhsa_next_free_vgpr 16
		.amdhsa_next_free_sgpr 12
		.amdhsa_reserve_vcc 1
		.amdhsa_reserve_flat_scratch 0
		.amdhsa_float_round_mode_32 0
		.amdhsa_float_round_mode_16_64 0
		.amdhsa_float_denorm_mode_32 3
		.amdhsa_float_denorm_mode_16_64 3
		.amdhsa_dx10_clamp 1
		.amdhsa_ieee_mode 1
		.amdhsa_fp16_overflow 0
		.amdhsa_exception_fp_ieee_invalid_op 0
		.amdhsa_exception_fp_denorm_src 0
		.amdhsa_exception_fp_ieee_div_zero 0
		.amdhsa_exception_fp_ieee_overflow 0
		.amdhsa_exception_fp_ieee_underflow 0
		.amdhsa_exception_fp_ieee_inexact 0
		.amdhsa_exception_int_div_zero 0
	.end_amdhsa_kernel
	.section	.text._Z6kernelI14inclusive_scanILN6hipcub18BlockScanAlgorithmE1EEfLj256ELj1ELj100EEvPKT0_PS4_S4_,"axG",@progbits,_Z6kernelI14inclusive_scanILN6hipcub18BlockScanAlgorithmE1EEfLj256ELj1ELj100EEvPKT0_PS4_S4_,comdat
.Lfunc_end30:
	.size	_Z6kernelI14inclusive_scanILN6hipcub18BlockScanAlgorithmE1EEfLj256ELj1ELj100EEvPKT0_PS4_S4_, .Lfunc_end30-_Z6kernelI14inclusive_scanILN6hipcub18BlockScanAlgorithmE1EEfLj256ELj1ELj100EEvPKT0_PS4_S4_
                                        ; -- End function
	.set _Z6kernelI14inclusive_scanILN6hipcub18BlockScanAlgorithmE1EEfLj256ELj1ELj100EEvPKT0_PS4_S4_.num_vgpr, 16
	.set _Z6kernelI14inclusive_scanILN6hipcub18BlockScanAlgorithmE1EEfLj256ELj1ELj100EEvPKT0_PS4_S4_.num_agpr, 0
	.set _Z6kernelI14inclusive_scanILN6hipcub18BlockScanAlgorithmE1EEfLj256ELj1ELj100EEvPKT0_PS4_S4_.numbered_sgpr, 12
	.set _Z6kernelI14inclusive_scanILN6hipcub18BlockScanAlgorithmE1EEfLj256ELj1ELj100EEvPKT0_PS4_S4_.num_named_barrier, 0
	.set _Z6kernelI14inclusive_scanILN6hipcub18BlockScanAlgorithmE1EEfLj256ELj1ELj100EEvPKT0_PS4_S4_.private_seg_size, 0
	.set _Z6kernelI14inclusive_scanILN6hipcub18BlockScanAlgorithmE1EEfLj256ELj1ELj100EEvPKT0_PS4_S4_.uses_vcc, 1
	.set _Z6kernelI14inclusive_scanILN6hipcub18BlockScanAlgorithmE1EEfLj256ELj1ELj100EEvPKT0_PS4_S4_.uses_flat_scratch, 0
	.set _Z6kernelI14inclusive_scanILN6hipcub18BlockScanAlgorithmE1EEfLj256ELj1ELj100EEvPKT0_PS4_S4_.has_dyn_sized_stack, 0
	.set _Z6kernelI14inclusive_scanILN6hipcub18BlockScanAlgorithmE1EEfLj256ELj1ELj100EEvPKT0_PS4_S4_.has_recursion, 0
	.set _Z6kernelI14inclusive_scanILN6hipcub18BlockScanAlgorithmE1EEfLj256ELj1ELj100EEvPKT0_PS4_S4_.has_indirect_call, 0
	.section	.AMDGPU.csdata,"",@progbits
; Kernel info:
; codeLenInByte = 548
; TotalNumSgprs: 16
; NumVgprs: 16
; ScratchSize: 0
; MemoryBound: 0
; FloatMode: 240
; IeeeMode: 1
; LDSByteSize: 1056 bytes/workgroup (compile time only)
; SGPRBlocks: 1
; VGPRBlocks: 3
; NumSGPRsForWavesPerEU: 16
; NumVGPRsForWavesPerEU: 16
; Occupancy: 10
; WaveLimiterHint : 0
; COMPUTE_PGM_RSRC2:SCRATCH_EN: 0
; COMPUTE_PGM_RSRC2:USER_SGPR: 6
; COMPUTE_PGM_RSRC2:TRAP_HANDLER: 0
; COMPUTE_PGM_RSRC2:TGID_X_EN: 1
; COMPUTE_PGM_RSRC2:TGID_Y_EN: 0
; COMPUTE_PGM_RSRC2:TGID_Z_EN: 0
; COMPUTE_PGM_RSRC2:TIDIG_COMP_CNT: 0
	.section	.text._Z6kernelI14inclusive_scanILN6hipcub18BlockScanAlgorithmE1EEfLj256ELj3ELj100EEvPKT0_PS4_S4_,"axG",@progbits,_Z6kernelI14inclusive_scanILN6hipcub18BlockScanAlgorithmE1EEfLj256ELj3ELj100EEvPKT0_PS4_S4_,comdat
	.protected	_Z6kernelI14inclusive_scanILN6hipcub18BlockScanAlgorithmE1EEfLj256ELj3ELj100EEvPKT0_PS4_S4_ ; -- Begin function _Z6kernelI14inclusive_scanILN6hipcub18BlockScanAlgorithmE1EEfLj256ELj3ELj100EEvPKT0_PS4_S4_
	.globl	_Z6kernelI14inclusive_scanILN6hipcub18BlockScanAlgorithmE1EEfLj256ELj3ELj100EEvPKT0_PS4_S4_
	.p2align	8
	.type	_Z6kernelI14inclusive_scanILN6hipcub18BlockScanAlgorithmE1EEfLj256ELj3ELj100EEvPKT0_PS4_S4_,@function
_Z6kernelI14inclusive_scanILN6hipcub18BlockScanAlgorithmE1EEfLj256ELj3ELj100EEvPKT0_PS4_S4_: ; @_Z6kernelI14inclusive_scanILN6hipcub18BlockScanAlgorithmE1EEfLj256ELj3ELj100EEvPKT0_PS4_S4_
; %bb.0:
	s_load_dword s0, s[4:5], 0x24
	s_load_dwordx4 s[8:11], s[4:5], 0x0
	v_mov_b32_e32 v6, 0
	v_mov_b32_e32 v4, v6
	v_lshrrev_b32_e32 v8, 3, v0
	s_waitcnt lgkmcnt(0)
	s_and_b32 s0, s0, 0xffff
	s_mul_i32 s6, s6, s0
	v_add_u32_e32 v1, s6, v0
	v_lshl_add_u32 v5, v1, 1, v1
	v_lshlrev_b64 v[1:2], 2, v[5:6]
	v_mov_b32_e32 v3, s9
	v_add_co_u32_e32 v12, vcc, s8, v1
	v_addc_co_u32_e32 v13, vcc, v3, v2, vcc
	v_add_u32_e32 v3, 1, v5
	v_lshlrev_b64 v[3:4], 2, v[3:4]
	v_add_u32_e32 v5, 2, v5
	v_mov_b32_e32 v7, s9
	v_add_co_u32_e32 v14, vcc, s8, v3
	v_lshlrev_b64 v[5:6], 2, v[5:6]
	v_addc_co_u32_e32 v15, vcc, v7, v4, vcc
	v_add_co_u32_e32 v16, vcc, s8, v5
	v_addc_co_u32_e32 v17, vcc, v7, v6, vcc
	global_load_dword v7, v[12:13], off
	global_load_dword v9, v[14:15], off
	;; [unrolled: 1-line block ×3, first 2 shown]
	v_and_b32_e32 v8, 28, v8
	v_subrev_co_u32_e64 v10, s[0:1], 1, v0
	v_lshrrev_b32_e32 v12, 1, v0
	v_lshl_add_u32 v8, v0, 2, v8
	v_cmp_gt_u32_e32 vcc, 64, v0
	v_and_b32_e32 v12, 0x7c, v12
	v_lshlrev_b32_e32 v0, 4, v0
	v_lshrrev_b32_e32 v13, 3, v10
	v_and_b32_e32 v13, 0x1ffffffc, v13
	v_add_u32_e32 v12, v12, v0
	v_mbcnt_lo_u32_b32 v0, -1, 0
	s_xor_b64 s[4:5], s[0:1], -1
	v_lshl_add_u32 v10, v10, 2, v13
	s_movk_i32 s8, 0x64
	v_mbcnt_hi_u32_b32 v13, -1, v0
.LBB31_1:                               ; =>This Inner Loop Header: Depth=1
	s_waitcnt vmcnt(1)
	v_add_f32_e32 v14, v7, v9
	s_waitcnt vmcnt(0)
	v_add_f32_e32 v0, v11, v14
	ds_write_b32 v8, v0
	s_waitcnt lgkmcnt(0)
	s_barrier
	s_and_saveexec_b64 s[6:7], vcc
	s_cbranch_execz .LBB31_3
; %bb.2:                                ;   in Loop: Header=BB31_1 Depth=1
	ds_read2_b32 v[15:16], v12 offset1:1
	ds_read2_b32 v[17:18], v12 offset0:2 offset1:3
	v_and_b32_e32 v19, 15, v13
	v_cmp_eq_u32_e64 s[2:3], 0, v19
	s_waitcnt lgkmcnt(1)
	v_add_f32_e32 v20, v15, v16
	s_waitcnt lgkmcnt(0)
	v_add_f32_e32 v20, v20, v17
	v_add_f32_e32 v20, v20, v18
	s_nop 1
	v_mov_b32_dpp v21, v20 row_shr:1 row_mask:0xf bank_mask:0xf
	v_add_f32_e32 v21, v20, v21
	v_cndmask_b32_e64 v20, v21, v20, s[2:3]
	v_cmp_lt_u32_e64 s[2:3], 1, v19
	s_nop 0
	v_mov_b32_dpp v21, v20 row_shr:2 row_mask:0xf bank_mask:0xf
	v_add_f32_e32 v21, v20, v21
	v_cndmask_b32_e64 v20, v20, v21, s[2:3]
	v_cmp_lt_u32_e64 s[2:3], 3, v19
	;; [unrolled: 5-line block ×3, first 2 shown]
	s_nop 0
	v_mov_b32_dpp v21, v20 row_shr:8 row_mask:0xf bank_mask:0xf
	v_add_f32_e32 v21, v20, v21
	v_cndmask_b32_e64 v19, v20, v21, s[2:3]
	v_and_b32_e32 v21, 16, v13
	v_cmp_eq_u32_e64 s[2:3], 0, v21
	v_mov_b32_dpp v20, v19 row_bcast:15 row_mask:0xf bank_mask:0xf
	v_add_f32_e32 v20, v19, v20
	v_cndmask_b32_e64 v19, v20, v19, s[2:3]
	v_cmp_lt_u32_e64 s[2:3], 31, v13
	v_and_b32_e32 v21, 64, v13
	v_mov_b32_dpp v20, v19 row_bcast:31 row_mask:0xf bank_mask:0xf
	v_add_f32_e32 v20, v19, v20
	v_cndmask_b32_e64 v19, v19, v20, s[2:3]
	v_add_u32_e32 v20, -1, v13
	v_cmp_lt_i32_e64 s[2:3], v20, v21
	v_cndmask_b32_e64 v20, v20, v13, s[2:3]
	v_lshlrev_b32_e32 v20, 2, v20
	ds_bpermute_b32 v19, v20, v19
	s_waitcnt lgkmcnt(0)
	v_add_f32_e32 v15, v15, v19
	v_cndmask_b32_e64 v15, v15, v0, s[0:1]
	v_add_f32_e32 v16, v16, v15
	ds_write2_b32 v12, v15, v16 offset1:1
	v_add_f32_e32 v15, v17, v16
	v_add_f32_e32 v16, v18, v15
	ds_write2_b32 v12, v15, v16 offset0:2 offset1:3
.LBB31_3:                               ;   in Loop: Header=BB31_1 Depth=1
	s_or_b64 exec, exec, s[6:7]
	s_waitcnt lgkmcnt(0)
	s_barrier
	s_and_saveexec_b64 s[2:3], s[4:5]
	s_cbranch_execz .LBB31_5
; %bb.4:                                ;   in Loop: Header=BB31_1 Depth=1
	ds_read_b32 v0, v10
	s_waitcnt lgkmcnt(0)
	v_add_f32_e32 v7, v7, v0
	v_add_f32_e32 v14, v9, v7
	;; [unrolled: 1-line block ×3, first 2 shown]
.LBB31_5:                               ;   in Loop: Header=BB31_1 Depth=1
	s_or_b64 exec, exec, s[2:3]
	s_add_i32 s8, s8, -1
	s_cmp_lg_u32 s8, 0
	s_cbranch_scc0 .LBB31_7
; %bb.6:                                ;   in Loop: Header=BB31_1 Depth=1
	v_mov_b32_e32 v9, v14
	v_mov_b32_e32 v11, v0
	s_branch .LBB31_1
.LBB31_7:
	v_mov_b32_e32 v8, s11
	v_add_co_u32_e32 v1, vcc, s10, v1
	v_addc_co_u32_e32 v2, vcc, v8, v2, vcc
	global_store_dword v[1:2], v7, off
	v_mov_b32_e32 v2, s11
	v_add_co_u32_e32 v1, vcc, s10, v3
	v_addc_co_u32_e32 v2, vcc, v2, v4, vcc
	global_store_dword v[1:2], v14, off
	v_mov_b32_e32 v2, s11
	v_add_co_u32_e32 v1, vcc, s10, v5
	v_addc_co_u32_e32 v2, vcc, v2, v6, vcc
	global_store_dword v[1:2], v0, off
	s_endpgm
	.section	.rodata,"a",@progbits
	.p2align	6, 0x0
	.amdhsa_kernel _Z6kernelI14inclusive_scanILN6hipcub18BlockScanAlgorithmE1EEfLj256ELj3ELj100EEvPKT0_PS4_S4_
		.amdhsa_group_segment_fixed_size 1056
		.amdhsa_private_segment_fixed_size 0
		.amdhsa_kernarg_size 280
		.amdhsa_user_sgpr_count 6
		.amdhsa_user_sgpr_private_segment_buffer 1
		.amdhsa_user_sgpr_dispatch_ptr 0
		.amdhsa_user_sgpr_queue_ptr 0
		.amdhsa_user_sgpr_kernarg_segment_ptr 1
		.amdhsa_user_sgpr_dispatch_id 0
		.amdhsa_user_sgpr_flat_scratch_init 0
		.amdhsa_user_sgpr_private_segment_size 0
		.amdhsa_uses_dynamic_stack 0
		.amdhsa_system_sgpr_private_segment_wavefront_offset 0
		.amdhsa_system_sgpr_workgroup_id_x 1
		.amdhsa_system_sgpr_workgroup_id_y 0
		.amdhsa_system_sgpr_workgroup_id_z 0
		.amdhsa_system_sgpr_workgroup_info 0
		.amdhsa_system_vgpr_workitem_id 0
		.amdhsa_next_free_vgpr 22
		.amdhsa_next_free_sgpr 12
		.amdhsa_reserve_vcc 1
		.amdhsa_reserve_flat_scratch 0
		.amdhsa_float_round_mode_32 0
		.amdhsa_float_round_mode_16_64 0
		.amdhsa_float_denorm_mode_32 3
		.amdhsa_float_denorm_mode_16_64 3
		.amdhsa_dx10_clamp 1
		.amdhsa_ieee_mode 1
		.amdhsa_fp16_overflow 0
		.amdhsa_exception_fp_ieee_invalid_op 0
		.amdhsa_exception_fp_denorm_src 0
		.amdhsa_exception_fp_ieee_div_zero 0
		.amdhsa_exception_fp_ieee_overflow 0
		.amdhsa_exception_fp_ieee_underflow 0
		.amdhsa_exception_fp_ieee_inexact 0
		.amdhsa_exception_int_div_zero 0
	.end_amdhsa_kernel
	.section	.text._Z6kernelI14inclusive_scanILN6hipcub18BlockScanAlgorithmE1EEfLj256ELj3ELj100EEvPKT0_PS4_S4_,"axG",@progbits,_Z6kernelI14inclusive_scanILN6hipcub18BlockScanAlgorithmE1EEfLj256ELj3ELj100EEvPKT0_PS4_S4_,comdat
.Lfunc_end31:
	.size	_Z6kernelI14inclusive_scanILN6hipcub18BlockScanAlgorithmE1EEfLj256ELj3ELj100EEvPKT0_PS4_S4_, .Lfunc_end31-_Z6kernelI14inclusive_scanILN6hipcub18BlockScanAlgorithmE1EEfLj256ELj3ELj100EEvPKT0_PS4_S4_
                                        ; -- End function
	.set _Z6kernelI14inclusive_scanILN6hipcub18BlockScanAlgorithmE1EEfLj256ELj3ELj100EEvPKT0_PS4_S4_.num_vgpr, 22
	.set _Z6kernelI14inclusive_scanILN6hipcub18BlockScanAlgorithmE1EEfLj256ELj3ELj100EEvPKT0_PS4_S4_.num_agpr, 0
	.set _Z6kernelI14inclusive_scanILN6hipcub18BlockScanAlgorithmE1EEfLj256ELj3ELj100EEvPKT0_PS4_S4_.numbered_sgpr, 12
	.set _Z6kernelI14inclusive_scanILN6hipcub18BlockScanAlgorithmE1EEfLj256ELj3ELj100EEvPKT0_PS4_S4_.num_named_barrier, 0
	.set _Z6kernelI14inclusive_scanILN6hipcub18BlockScanAlgorithmE1EEfLj256ELj3ELj100EEvPKT0_PS4_S4_.private_seg_size, 0
	.set _Z6kernelI14inclusive_scanILN6hipcub18BlockScanAlgorithmE1EEfLj256ELj3ELj100EEvPKT0_PS4_S4_.uses_vcc, 1
	.set _Z6kernelI14inclusive_scanILN6hipcub18BlockScanAlgorithmE1EEfLj256ELj3ELj100EEvPKT0_PS4_S4_.uses_flat_scratch, 0
	.set _Z6kernelI14inclusive_scanILN6hipcub18BlockScanAlgorithmE1EEfLj256ELj3ELj100EEvPKT0_PS4_S4_.has_dyn_sized_stack, 0
	.set _Z6kernelI14inclusive_scanILN6hipcub18BlockScanAlgorithmE1EEfLj256ELj3ELj100EEvPKT0_PS4_S4_.has_recursion, 0
	.set _Z6kernelI14inclusive_scanILN6hipcub18BlockScanAlgorithmE1EEfLj256ELj3ELj100EEvPKT0_PS4_S4_.has_indirect_call, 0
	.section	.AMDGPU.csdata,"",@progbits
; Kernel info:
; codeLenInByte = 716
; TotalNumSgprs: 16
; NumVgprs: 22
; ScratchSize: 0
; MemoryBound: 0
; FloatMode: 240
; IeeeMode: 1
; LDSByteSize: 1056 bytes/workgroup (compile time only)
; SGPRBlocks: 1
; VGPRBlocks: 5
; NumSGPRsForWavesPerEU: 16
; NumVGPRsForWavesPerEU: 22
; Occupancy: 10
; WaveLimiterHint : 0
; COMPUTE_PGM_RSRC2:SCRATCH_EN: 0
; COMPUTE_PGM_RSRC2:USER_SGPR: 6
; COMPUTE_PGM_RSRC2:TRAP_HANDLER: 0
; COMPUTE_PGM_RSRC2:TGID_X_EN: 1
; COMPUTE_PGM_RSRC2:TGID_Y_EN: 0
; COMPUTE_PGM_RSRC2:TGID_Z_EN: 0
; COMPUTE_PGM_RSRC2:TIDIG_COMP_CNT: 0
	.section	.text._Z6kernelI14inclusive_scanILN6hipcub18BlockScanAlgorithmE1EEfLj256ELj4ELj100EEvPKT0_PS4_S4_,"axG",@progbits,_Z6kernelI14inclusive_scanILN6hipcub18BlockScanAlgorithmE1EEfLj256ELj4ELj100EEvPKT0_PS4_S4_,comdat
	.protected	_Z6kernelI14inclusive_scanILN6hipcub18BlockScanAlgorithmE1EEfLj256ELj4ELj100EEvPKT0_PS4_S4_ ; -- Begin function _Z6kernelI14inclusive_scanILN6hipcub18BlockScanAlgorithmE1EEfLj256ELj4ELj100EEvPKT0_PS4_S4_
	.globl	_Z6kernelI14inclusive_scanILN6hipcub18BlockScanAlgorithmE1EEfLj256ELj4ELj100EEvPKT0_PS4_S4_
	.p2align	8
	.type	_Z6kernelI14inclusive_scanILN6hipcub18BlockScanAlgorithmE1EEfLj256ELj4ELj100EEvPKT0_PS4_S4_,@function
_Z6kernelI14inclusive_scanILN6hipcub18BlockScanAlgorithmE1EEfLj256ELj4ELj100EEvPKT0_PS4_S4_: ; @_Z6kernelI14inclusive_scanILN6hipcub18BlockScanAlgorithmE1EEfLj256ELj4ELj100EEvPKT0_PS4_S4_
; %bb.0:
	s_load_dword s0, s[4:5], 0x24
	s_load_dwordx4 s[8:11], s[4:5], 0x0
	v_mov_b32_e32 v2, 0
	v_lshrrev_b32_e32 v7, 3, v0
	v_and_b32_e32 v7, 28, v7
	s_waitcnt lgkmcnt(0)
	s_and_b32 s0, s0, 0xffff
	s_mul_i32 s6, s6, s0
	v_add_lshl_u32 v1, s6, v0, 2
	v_lshlrev_b64 v[5:6], 2, v[1:2]
	v_mov_b32_e32 v2, s9
	v_add_co_u32_e32 v1, vcc, s8, v5
	v_addc_co_u32_e32 v2, vcc, v2, v6, vcc
	global_load_dwordx4 v[1:4], v[1:2], off
	v_subrev_co_u32_e64 v8, s[0:1], 1, v0
	v_lshl_add_u32 v7, v0, 2, v7
	v_cmp_gt_u32_e32 vcc, 64, v0
	v_lshrrev_b32_e32 v9, 1, v0
	v_lshlrev_b32_e32 v10, 4, v0
	v_lshrrev_b32_e32 v0, 3, v8
	v_and_b32_e32 v9, 0x7c, v9
	v_and_b32_e32 v0, 0x1ffffffc, v0
	v_lshl_add_u32 v0, v8, 2, v0
	v_add_u32_e32 v8, v9, v10
	v_mbcnt_lo_u32_b32 v9, -1, 0
	s_xor_b64 s[4:5], s[0:1], -1
	s_movk_i32 s8, 0x64
	v_mbcnt_hi_u32_b32 v9, -1, v9
.LBB32_1:                               ; =>This Inner Loop Header: Depth=1
	s_waitcnt vmcnt(0)
	v_add_f32_e32 v11, v1, v2
	v_add_f32_e32 v10, v3, v11
	;; [unrolled: 1-line block ×3, first 2 shown]
	ds_write_b32 v7, v12
	s_waitcnt lgkmcnt(0)
	s_barrier
	s_and_saveexec_b64 s[6:7], vcc
	s_cbranch_execz .LBB32_3
; %bb.2:                                ;   in Loop: Header=BB32_1 Depth=1
	ds_read2_b32 v[13:14], v8 offset1:1
	ds_read2_b32 v[15:16], v8 offset0:2 offset1:3
	v_and_b32_e32 v17, 15, v9
	v_cmp_eq_u32_e64 s[2:3], 0, v17
	s_waitcnt lgkmcnt(1)
	v_add_f32_e32 v18, v13, v14
	s_waitcnt lgkmcnt(0)
	v_add_f32_e32 v18, v18, v15
	v_add_f32_e32 v18, v18, v16
	s_nop 1
	v_mov_b32_dpp v19, v18 row_shr:1 row_mask:0xf bank_mask:0xf
	v_add_f32_e32 v19, v18, v19
	v_cndmask_b32_e64 v18, v19, v18, s[2:3]
	v_cmp_lt_u32_e64 s[2:3], 1, v17
	s_nop 0
	v_mov_b32_dpp v19, v18 row_shr:2 row_mask:0xf bank_mask:0xf
	v_add_f32_e32 v19, v18, v19
	v_cndmask_b32_e64 v18, v18, v19, s[2:3]
	v_cmp_lt_u32_e64 s[2:3], 3, v17
	;; [unrolled: 5-line block ×3, first 2 shown]
	s_nop 0
	v_mov_b32_dpp v19, v18 row_shr:8 row_mask:0xf bank_mask:0xf
	v_add_f32_e32 v19, v18, v19
	v_cndmask_b32_e64 v17, v18, v19, s[2:3]
	v_and_b32_e32 v19, 16, v9
	v_cmp_eq_u32_e64 s[2:3], 0, v19
	v_mov_b32_dpp v18, v17 row_bcast:15 row_mask:0xf bank_mask:0xf
	v_add_f32_e32 v18, v17, v18
	v_cndmask_b32_e64 v17, v18, v17, s[2:3]
	v_cmp_lt_u32_e64 s[2:3], 31, v9
	v_and_b32_e32 v19, 64, v9
	v_mov_b32_dpp v18, v17 row_bcast:31 row_mask:0xf bank_mask:0xf
	v_add_f32_e32 v18, v17, v18
	v_cndmask_b32_e64 v17, v17, v18, s[2:3]
	v_add_u32_e32 v18, -1, v9
	v_cmp_lt_i32_e64 s[2:3], v18, v19
	v_cndmask_b32_e64 v18, v18, v9, s[2:3]
	v_lshlrev_b32_e32 v18, 2, v18
	ds_bpermute_b32 v17, v18, v17
	s_waitcnt lgkmcnt(0)
	v_add_f32_e32 v13, v13, v17
	v_cndmask_b32_e64 v13, v13, v12, s[0:1]
	v_add_f32_e32 v14, v14, v13
	ds_write2_b32 v8, v13, v14 offset1:1
	v_add_f32_e32 v13, v15, v14
	v_add_f32_e32 v14, v16, v13
	ds_write2_b32 v8, v13, v14 offset0:2 offset1:3
.LBB32_3:                               ;   in Loop: Header=BB32_1 Depth=1
	s_or_b64 exec, exec, s[6:7]
	s_waitcnt lgkmcnt(0)
	s_barrier
	s_and_saveexec_b64 s[2:3], s[4:5]
	s_cbranch_execz .LBB32_5
; %bb.4:                                ;   in Loop: Header=BB32_1 Depth=1
	ds_read_b32 v10, v0
	s_waitcnt lgkmcnt(0)
	v_add_f32_e32 v1, v1, v10
	v_add_f32_e32 v11, v2, v1
	;; [unrolled: 1-line block ×4, first 2 shown]
.LBB32_5:                               ;   in Loop: Header=BB32_1 Depth=1
	s_or_b64 exec, exec, s[2:3]
	s_add_i32 s8, s8, -1
	s_cmp_lg_u32 s8, 0
	s_cbranch_scc0 .LBB32_7
; %bb.6:                                ;   in Loop: Header=BB32_1 Depth=1
	v_mov_b32_e32 v2, v11
	v_mov_b32_e32 v3, v10
	;; [unrolled: 1-line block ×3, first 2 shown]
	s_branch .LBB32_1
.LBB32_7:
	v_mov_b32_e32 v0, s11
	v_add_co_u32_e32 v5, vcc, s10, v5
	v_addc_co_u32_e32 v6, vcc, v0, v6, vcc
	v_mov_b32_e32 v2, v11
	v_mov_b32_e32 v3, v10
	;; [unrolled: 1-line block ×3, first 2 shown]
	global_store_dwordx4 v[5:6], v[1:4], off
	s_endpgm
	.section	.rodata,"a",@progbits
	.p2align	6, 0x0
	.amdhsa_kernel _Z6kernelI14inclusive_scanILN6hipcub18BlockScanAlgorithmE1EEfLj256ELj4ELj100EEvPKT0_PS4_S4_
		.amdhsa_group_segment_fixed_size 1056
		.amdhsa_private_segment_fixed_size 0
		.amdhsa_kernarg_size 280
		.amdhsa_user_sgpr_count 6
		.amdhsa_user_sgpr_private_segment_buffer 1
		.amdhsa_user_sgpr_dispatch_ptr 0
		.amdhsa_user_sgpr_queue_ptr 0
		.amdhsa_user_sgpr_kernarg_segment_ptr 1
		.amdhsa_user_sgpr_dispatch_id 0
		.amdhsa_user_sgpr_flat_scratch_init 0
		.amdhsa_user_sgpr_private_segment_size 0
		.amdhsa_uses_dynamic_stack 0
		.amdhsa_system_sgpr_private_segment_wavefront_offset 0
		.amdhsa_system_sgpr_workgroup_id_x 1
		.amdhsa_system_sgpr_workgroup_id_y 0
		.amdhsa_system_sgpr_workgroup_id_z 0
		.amdhsa_system_sgpr_workgroup_info 0
		.amdhsa_system_vgpr_workitem_id 0
		.amdhsa_next_free_vgpr 20
		.amdhsa_next_free_sgpr 12
		.amdhsa_reserve_vcc 1
		.amdhsa_reserve_flat_scratch 0
		.amdhsa_float_round_mode_32 0
		.amdhsa_float_round_mode_16_64 0
		.amdhsa_float_denorm_mode_32 3
		.amdhsa_float_denorm_mode_16_64 3
		.amdhsa_dx10_clamp 1
		.amdhsa_ieee_mode 1
		.amdhsa_fp16_overflow 0
		.amdhsa_exception_fp_ieee_invalid_op 0
		.amdhsa_exception_fp_denorm_src 0
		.amdhsa_exception_fp_ieee_div_zero 0
		.amdhsa_exception_fp_ieee_overflow 0
		.amdhsa_exception_fp_ieee_underflow 0
		.amdhsa_exception_fp_ieee_inexact 0
		.amdhsa_exception_int_div_zero 0
	.end_amdhsa_kernel
	.section	.text._Z6kernelI14inclusive_scanILN6hipcub18BlockScanAlgorithmE1EEfLj256ELj4ELj100EEvPKT0_PS4_S4_,"axG",@progbits,_Z6kernelI14inclusive_scanILN6hipcub18BlockScanAlgorithmE1EEfLj256ELj4ELj100EEvPKT0_PS4_S4_,comdat
.Lfunc_end32:
	.size	_Z6kernelI14inclusive_scanILN6hipcub18BlockScanAlgorithmE1EEfLj256ELj4ELj100EEvPKT0_PS4_S4_, .Lfunc_end32-_Z6kernelI14inclusive_scanILN6hipcub18BlockScanAlgorithmE1EEfLj256ELj4ELj100EEvPKT0_PS4_S4_
                                        ; -- End function
	.set _Z6kernelI14inclusive_scanILN6hipcub18BlockScanAlgorithmE1EEfLj256ELj4ELj100EEvPKT0_PS4_S4_.num_vgpr, 20
	.set _Z6kernelI14inclusive_scanILN6hipcub18BlockScanAlgorithmE1EEfLj256ELj4ELj100EEvPKT0_PS4_S4_.num_agpr, 0
	.set _Z6kernelI14inclusive_scanILN6hipcub18BlockScanAlgorithmE1EEfLj256ELj4ELj100EEvPKT0_PS4_S4_.numbered_sgpr, 12
	.set _Z6kernelI14inclusive_scanILN6hipcub18BlockScanAlgorithmE1EEfLj256ELj4ELj100EEvPKT0_PS4_S4_.num_named_barrier, 0
	.set _Z6kernelI14inclusive_scanILN6hipcub18BlockScanAlgorithmE1EEfLj256ELj4ELj100EEvPKT0_PS4_S4_.private_seg_size, 0
	.set _Z6kernelI14inclusive_scanILN6hipcub18BlockScanAlgorithmE1EEfLj256ELj4ELj100EEvPKT0_PS4_S4_.uses_vcc, 1
	.set _Z6kernelI14inclusive_scanILN6hipcub18BlockScanAlgorithmE1EEfLj256ELj4ELj100EEvPKT0_PS4_S4_.uses_flat_scratch, 0
	.set _Z6kernelI14inclusive_scanILN6hipcub18BlockScanAlgorithmE1EEfLj256ELj4ELj100EEvPKT0_PS4_S4_.has_dyn_sized_stack, 0
	.set _Z6kernelI14inclusive_scanILN6hipcub18BlockScanAlgorithmE1EEfLj256ELj4ELj100EEvPKT0_PS4_S4_.has_recursion, 0
	.set _Z6kernelI14inclusive_scanILN6hipcub18BlockScanAlgorithmE1EEfLj256ELj4ELj100EEvPKT0_PS4_S4_.has_indirect_call, 0
	.section	.AMDGPU.csdata,"",@progbits
; Kernel info:
; codeLenInByte = 628
; TotalNumSgprs: 16
; NumVgprs: 20
; ScratchSize: 0
; MemoryBound: 0
; FloatMode: 240
; IeeeMode: 1
; LDSByteSize: 1056 bytes/workgroup (compile time only)
; SGPRBlocks: 1
; VGPRBlocks: 4
; NumSGPRsForWavesPerEU: 16
; NumVGPRsForWavesPerEU: 20
; Occupancy: 10
; WaveLimiterHint : 0
; COMPUTE_PGM_RSRC2:SCRATCH_EN: 0
; COMPUTE_PGM_RSRC2:USER_SGPR: 6
; COMPUTE_PGM_RSRC2:TRAP_HANDLER: 0
; COMPUTE_PGM_RSRC2:TGID_X_EN: 1
; COMPUTE_PGM_RSRC2:TGID_Y_EN: 0
; COMPUTE_PGM_RSRC2:TGID_Z_EN: 0
; COMPUTE_PGM_RSRC2:TIDIG_COMP_CNT: 0
	.section	.text._Z6kernelI14inclusive_scanILN6hipcub18BlockScanAlgorithmE1EEfLj256ELj8ELj100EEvPKT0_PS4_S4_,"axG",@progbits,_Z6kernelI14inclusive_scanILN6hipcub18BlockScanAlgorithmE1EEfLj256ELj8ELj100EEvPKT0_PS4_S4_,comdat
	.protected	_Z6kernelI14inclusive_scanILN6hipcub18BlockScanAlgorithmE1EEfLj256ELj8ELj100EEvPKT0_PS4_S4_ ; -- Begin function _Z6kernelI14inclusive_scanILN6hipcub18BlockScanAlgorithmE1EEfLj256ELj8ELj100EEvPKT0_PS4_S4_
	.globl	_Z6kernelI14inclusive_scanILN6hipcub18BlockScanAlgorithmE1EEfLj256ELj8ELj100EEvPKT0_PS4_S4_
	.p2align	8
	.type	_Z6kernelI14inclusive_scanILN6hipcub18BlockScanAlgorithmE1EEfLj256ELj8ELj100EEvPKT0_PS4_S4_,@function
_Z6kernelI14inclusive_scanILN6hipcub18BlockScanAlgorithmE1EEfLj256ELj8ELj100EEvPKT0_PS4_S4_: ; @_Z6kernelI14inclusive_scanILN6hipcub18BlockScanAlgorithmE1EEfLj256ELj8ELj100EEvPKT0_PS4_S4_
; %bb.0:
	s_load_dword s0, s[4:5], 0x24
	s_load_dwordx4 s[8:11], s[4:5], 0x0
	v_mov_b32_e32 v2, 0
	v_lshlrev_b32_e32 v11, 4, v0
	s_waitcnt lgkmcnt(0)
	s_and_b32 s0, s0, 0xffff
	s_mul_i32 s6, s6, s0
	v_add_lshl_u32 v1, s6, v0, 3
	v_lshlrev_b64 v[13:14], 2, v[1:2]
	v_mov_b32_e32 v1, s9
	v_add_co_u32_e32 v9, vcc, s8, v13
	v_addc_co_u32_e32 v10, vcc, v1, v14, vcc
	global_load_dwordx4 v[1:4], v[9:10], off
	global_load_dwordx4 v[5:8], v[9:10], off offset:16
	v_lshrrev_b32_e32 v9, 3, v0
	v_and_b32_e32 v9, 28, v9
	v_lshl_add_u32 v15, v0, 2, v9
	v_subrev_co_u32_e64 v9, s[0:1], 1, v0
	v_cmp_gt_u32_e32 vcc, 64, v0
	v_lshrrev_b32_e32 v10, 1, v0
	v_lshrrev_b32_e32 v0, 3, v9
	v_and_b32_e32 v0, 0x1ffffffc, v0
	v_and_b32_e32 v10, 0x7c, v10
	v_lshl_add_u32 v0, v9, 2, v0
	v_mbcnt_lo_u32_b32 v9, -1, 0
	s_xor_b64 s[4:5], s[0:1], -1
	s_movk_i32 s8, 0x64
	v_add_u32_e32 v16, v10, v11
	v_mbcnt_hi_u32_b32 v17, -1, v9
.LBB33_1:                               ; =>This Inner Loop Header: Depth=1
	s_waitcnt vmcnt(1)
	v_add_f32_e32 v20, v1, v2
	v_add_f32_e32 v19, v3, v20
	;; [unrolled: 1-line block ×3, first 2 shown]
	s_waitcnt vmcnt(0)
	v_add_f32_e32 v9, v5, v18
	v_add_f32_e32 v10, v6, v9
	;; [unrolled: 1-line block ×4, first 2 shown]
	ds_write_b32 v15, v12
	s_waitcnt lgkmcnt(0)
	s_barrier
	s_and_saveexec_b64 s[6:7], vcc
	s_cbranch_execz .LBB33_3
; %bb.2:                                ;   in Loop: Header=BB33_1 Depth=1
	ds_read2_b32 v[21:22], v16 offset1:1
	ds_read2_b32 v[23:24], v16 offset0:2 offset1:3
	v_and_b32_e32 v25, 15, v17
	v_cmp_eq_u32_e64 s[2:3], 0, v25
	s_waitcnt lgkmcnt(1)
	v_add_f32_e32 v26, v21, v22
	s_waitcnt lgkmcnt(0)
	v_add_f32_e32 v26, v26, v23
	v_add_f32_e32 v26, v26, v24
	s_nop 1
	v_mov_b32_dpp v27, v26 row_shr:1 row_mask:0xf bank_mask:0xf
	v_add_f32_e32 v27, v26, v27
	v_cndmask_b32_e64 v26, v27, v26, s[2:3]
	v_cmp_lt_u32_e64 s[2:3], 1, v25
	s_nop 0
	v_mov_b32_dpp v27, v26 row_shr:2 row_mask:0xf bank_mask:0xf
	v_add_f32_e32 v27, v26, v27
	v_cndmask_b32_e64 v26, v26, v27, s[2:3]
	v_cmp_lt_u32_e64 s[2:3], 3, v25
	;; [unrolled: 5-line block ×3, first 2 shown]
	s_nop 0
	v_mov_b32_dpp v27, v26 row_shr:8 row_mask:0xf bank_mask:0xf
	v_add_f32_e32 v27, v26, v27
	v_cndmask_b32_e64 v25, v26, v27, s[2:3]
	v_and_b32_e32 v27, 16, v17
	v_cmp_eq_u32_e64 s[2:3], 0, v27
	v_mov_b32_dpp v26, v25 row_bcast:15 row_mask:0xf bank_mask:0xf
	v_add_f32_e32 v26, v25, v26
	v_cndmask_b32_e64 v25, v26, v25, s[2:3]
	v_cmp_lt_u32_e64 s[2:3], 31, v17
	v_and_b32_e32 v27, 64, v17
	v_mov_b32_dpp v26, v25 row_bcast:31 row_mask:0xf bank_mask:0xf
	v_add_f32_e32 v26, v25, v26
	v_cndmask_b32_e64 v25, v25, v26, s[2:3]
	v_add_u32_e32 v26, -1, v17
	v_cmp_lt_i32_e64 s[2:3], v26, v27
	v_cndmask_b32_e64 v26, v26, v17, s[2:3]
	v_lshlrev_b32_e32 v26, 2, v26
	ds_bpermute_b32 v25, v26, v25
	s_waitcnt lgkmcnt(0)
	v_add_f32_e32 v21, v21, v25
	v_cndmask_b32_e64 v21, v21, v12, s[0:1]
	v_add_f32_e32 v22, v22, v21
	ds_write2_b32 v16, v21, v22 offset1:1
	v_add_f32_e32 v21, v23, v22
	v_add_f32_e32 v22, v24, v21
	ds_write2_b32 v16, v21, v22 offset0:2 offset1:3
.LBB33_3:                               ;   in Loop: Header=BB33_1 Depth=1
	s_or_b64 exec, exec, s[6:7]
	s_waitcnt lgkmcnt(0)
	s_barrier
	s_and_saveexec_b64 s[2:3], s[4:5]
	s_cbranch_execz .LBB33_5
; %bb.4:                                ;   in Loop: Header=BB33_1 Depth=1
	ds_read_b32 v9, v0
	s_waitcnt lgkmcnt(0)
	v_add_f32_e32 v1, v1, v9
	v_add_f32_e32 v20, v2, v1
	;; [unrolled: 1-line block ×8, first 2 shown]
.LBB33_5:                               ;   in Loop: Header=BB33_1 Depth=1
	s_or_b64 exec, exec, s[2:3]
	s_add_i32 s8, s8, -1
	s_cmp_lg_u32 s8, 0
	s_cbranch_scc0 .LBB33_7
; %bb.6:                                ;   in Loop: Header=BB33_1 Depth=1
	v_mov_b32_e32 v2, v20
	v_mov_b32_e32 v3, v19
	;; [unrolled: 1-line block ×7, first 2 shown]
	s_branch .LBB33_1
.LBB33_7:
	v_mov_b32_e32 v0, s11
	v_add_co_u32_e32 v5, vcc, s10, v13
	v_addc_co_u32_e32 v6, vcc, v0, v14, vcc
	v_mov_b32_e32 v2, v20
	v_mov_b32_e32 v3, v19
	;; [unrolled: 1-line block ×3, first 2 shown]
	global_store_dwordx4 v[5:6], v[1:4], off
	global_store_dwordx4 v[5:6], v[9:12], off offset:16
	s_endpgm
	.section	.rodata,"a",@progbits
	.p2align	6, 0x0
	.amdhsa_kernel _Z6kernelI14inclusive_scanILN6hipcub18BlockScanAlgorithmE1EEfLj256ELj8ELj100EEvPKT0_PS4_S4_
		.amdhsa_group_segment_fixed_size 1056
		.amdhsa_private_segment_fixed_size 0
		.amdhsa_kernarg_size 280
		.amdhsa_user_sgpr_count 6
		.amdhsa_user_sgpr_private_segment_buffer 1
		.amdhsa_user_sgpr_dispatch_ptr 0
		.amdhsa_user_sgpr_queue_ptr 0
		.amdhsa_user_sgpr_kernarg_segment_ptr 1
		.amdhsa_user_sgpr_dispatch_id 0
		.amdhsa_user_sgpr_flat_scratch_init 0
		.amdhsa_user_sgpr_private_segment_size 0
		.amdhsa_uses_dynamic_stack 0
		.amdhsa_system_sgpr_private_segment_wavefront_offset 0
		.amdhsa_system_sgpr_workgroup_id_x 1
		.amdhsa_system_sgpr_workgroup_id_y 0
		.amdhsa_system_sgpr_workgroup_id_z 0
		.amdhsa_system_sgpr_workgroup_info 0
		.amdhsa_system_vgpr_workitem_id 0
		.amdhsa_next_free_vgpr 28
		.amdhsa_next_free_sgpr 12
		.amdhsa_reserve_vcc 1
		.amdhsa_reserve_flat_scratch 0
		.amdhsa_float_round_mode_32 0
		.amdhsa_float_round_mode_16_64 0
		.amdhsa_float_denorm_mode_32 3
		.amdhsa_float_denorm_mode_16_64 3
		.amdhsa_dx10_clamp 1
		.amdhsa_ieee_mode 1
		.amdhsa_fp16_overflow 0
		.amdhsa_exception_fp_ieee_invalid_op 0
		.amdhsa_exception_fp_denorm_src 0
		.amdhsa_exception_fp_ieee_div_zero 0
		.amdhsa_exception_fp_ieee_overflow 0
		.amdhsa_exception_fp_ieee_underflow 0
		.amdhsa_exception_fp_ieee_inexact 0
		.amdhsa_exception_int_div_zero 0
	.end_amdhsa_kernel
	.section	.text._Z6kernelI14inclusive_scanILN6hipcub18BlockScanAlgorithmE1EEfLj256ELj8ELj100EEvPKT0_PS4_S4_,"axG",@progbits,_Z6kernelI14inclusive_scanILN6hipcub18BlockScanAlgorithmE1EEfLj256ELj8ELj100EEvPKT0_PS4_S4_,comdat
.Lfunc_end33:
	.size	_Z6kernelI14inclusive_scanILN6hipcub18BlockScanAlgorithmE1EEfLj256ELj8ELj100EEvPKT0_PS4_S4_, .Lfunc_end33-_Z6kernelI14inclusive_scanILN6hipcub18BlockScanAlgorithmE1EEfLj256ELj8ELj100EEvPKT0_PS4_S4_
                                        ; -- End function
	.set _Z6kernelI14inclusive_scanILN6hipcub18BlockScanAlgorithmE1EEfLj256ELj8ELj100EEvPKT0_PS4_S4_.num_vgpr, 28
	.set _Z6kernelI14inclusive_scanILN6hipcub18BlockScanAlgorithmE1EEfLj256ELj8ELj100EEvPKT0_PS4_S4_.num_agpr, 0
	.set _Z6kernelI14inclusive_scanILN6hipcub18BlockScanAlgorithmE1EEfLj256ELj8ELj100EEvPKT0_PS4_S4_.numbered_sgpr, 12
	.set _Z6kernelI14inclusive_scanILN6hipcub18BlockScanAlgorithmE1EEfLj256ELj8ELj100EEvPKT0_PS4_S4_.num_named_barrier, 0
	.set _Z6kernelI14inclusive_scanILN6hipcub18BlockScanAlgorithmE1EEfLj256ELj8ELj100EEvPKT0_PS4_S4_.private_seg_size, 0
	.set _Z6kernelI14inclusive_scanILN6hipcub18BlockScanAlgorithmE1EEfLj256ELj8ELj100EEvPKT0_PS4_S4_.uses_vcc, 1
	.set _Z6kernelI14inclusive_scanILN6hipcub18BlockScanAlgorithmE1EEfLj256ELj8ELj100EEvPKT0_PS4_S4_.uses_flat_scratch, 0
	.set _Z6kernelI14inclusive_scanILN6hipcub18BlockScanAlgorithmE1EEfLj256ELj8ELj100EEvPKT0_PS4_S4_.has_dyn_sized_stack, 0
	.set _Z6kernelI14inclusive_scanILN6hipcub18BlockScanAlgorithmE1EEfLj256ELj8ELj100EEvPKT0_PS4_S4_.has_recursion, 0
	.set _Z6kernelI14inclusive_scanILN6hipcub18BlockScanAlgorithmE1EEfLj256ELj8ELj100EEvPKT0_PS4_S4_.has_indirect_call, 0
	.section	.AMDGPU.csdata,"",@progbits
; Kernel info:
; codeLenInByte = 696
; TotalNumSgprs: 16
; NumVgprs: 28
; ScratchSize: 0
; MemoryBound: 0
; FloatMode: 240
; IeeeMode: 1
; LDSByteSize: 1056 bytes/workgroup (compile time only)
; SGPRBlocks: 1
; VGPRBlocks: 6
; NumSGPRsForWavesPerEU: 16
; NumVGPRsForWavesPerEU: 28
; Occupancy: 9
; WaveLimiterHint : 0
; COMPUTE_PGM_RSRC2:SCRATCH_EN: 0
; COMPUTE_PGM_RSRC2:USER_SGPR: 6
; COMPUTE_PGM_RSRC2:TRAP_HANDLER: 0
; COMPUTE_PGM_RSRC2:TGID_X_EN: 1
; COMPUTE_PGM_RSRC2:TGID_Y_EN: 0
; COMPUTE_PGM_RSRC2:TGID_Z_EN: 0
; COMPUTE_PGM_RSRC2:TIDIG_COMP_CNT: 0
	.section	.text._Z6kernelI14inclusive_scanILN6hipcub18BlockScanAlgorithmE1EEfLj256ELj11ELj100EEvPKT0_PS4_S4_,"axG",@progbits,_Z6kernelI14inclusive_scanILN6hipcub18BlockScanAlgorithmE1EEfLj256ELj11ELj100EEvPKT0_PS4_S4_,comdat
	.protected	_Z6kernelI14inclusive_scanILN6hipcub18BlockScanAlgorithmE1EEfLj256ELj11ELj100EEvPKT0_PS4_S4_ ; -- Begin function _Z6kernelI14inclusive_scanILN6hipcub18BlockScanAlgorithmE1EEfLj256ELj11ELj100EEvPKT0_PS4_S4_
	.globl	_Z6kernelI14inclusive_scanILN6hipcub18BlockScanAlgorithmE1EEfLj256ELj11ELj100EEvPKT0_PS4_S4_
	.p2align	8
	.type	_Z6kernelI14inclusive_scanILN6hipcub18BlockScanAlgorithmE1EEfLj256ELj11ELj100EEvPKT0_PS4_S4_,@function
_Z6kernelI14inclusive_scanILN6hipcub18BlockScanAlgorithmE1EEfLj256ELj11ELj100EEvPKT0_PS4_S4_: ; @_Z6kernelI14inclusive_scanILN6hipcub18BlockScanAlgorithmE1EEfLj256ELj11ELj100EEvPKT0_PS4_S4_
; %bb.0:
	s_load_dword s0, s[4:5], 0x24
	s_load_dwordx4 s[8:11], s[4:5], 0x0
	v_mov_b32_e32 v22, 0
	v_mov_b32_e32 v4, v22
	;; [unrolled: 1-line block ×3, first 2 shown]
	s_waitcnt lgkmcnt(0)
	s_and_b32 s0, s0, 0xffff
	s_mul_i32 s6, s6, s0
	v_add_u32_e32 v1, s6, v0
	v_mul_lo_u32 v21, v1, 11
	v_mov_b32_e32 v3, s9
	v_mov_b32_e32 v5, s9
	;; [unrolled: 1-line block ×3, first 2 shown]
	v_lshlrev_b64 v[1:2], 2, v[21:22]
	v_mov_b32_e32 v8, v22
	v_add_co_u32_e32 v17, vcc, s8, v1
	v_addc_co_u32_e32 v18, vcc, v3, v2, vcc
	v_add_u32_e32 v3, 1, v21
	v_lshlrev_b64 v[3:4], 2, v[3:4]
	v_mov_b32_e32 v9, s9
	v_add_co_u32_e32 v19, vcc, s8, v3
	v_addc_co_u32_e32 v20, vcc, v5, v4, vcc
	v_add_u32_e32 v5, 2, v21
	;; [unrolled: 5-line block ×6, first 2 shown]
	v_mov_b32_e32 v14, v22
	v_lshlrev_b64 v[13:14], 2, v[13:14]
	v_mov_b32_e32 v15, s9
	v_add_co_u32_e32 v39, vcc, s8, v13
	v_addc_co_u32_e32 v40, vcc, v15, v14, vcc
	v_add_u32_e32 v15, 7, v21
	v_mov_b32_e32 v16, v22
	v_lshlrev_b64 v[15:16], 2, v[15:16]
	v_mov_b32_e32 v23, s9
	v_add_co_u32_e32 v41, vcc, s8, v15
	v_addc_co_u32_e32 v42, vcc, v23, v16, vcc
	global_load_dword v23, v[17:18], off
	global_load_dword v30, v[19:20], off
	;; [unrolled: 1-line block ×8, first 2 shown]
	v_add_u32_e32 v17, 8, v21
	v_mov_b32_e32 v18, v22
	v_lshlrev_b64 v[17:18], 2, v[17:18]
	v_mov_b32_e32 v19, s9
	v_add_co_u32_e32 v31, vcc, s8, v17
	v_addc_co_u32_e32 v32, vcc, v19, v18, vcc
	v_add_u32_e32 v19, 9, v21
	v_mov_b32_e32 v20, v22
	v_lshlrev_b64 v[19:20], 2, v[19:20]
	v_add_u32_e32 v21, 10, v21
	v_mov_b32_e32 v34, s9
	v_add_co_u32_e32 v33, vcc, s8, v19
	v_lshlrev_b64 v[21:22], 2, v[21:22]
	v_addc_co_u32_e32 v34, vcc, v34, v20, vcc
	v_mov_b32_e32 v36, s9
	v_add_co_u32_e32 v35, vcc, s8, v21
	v_addc_co_u32_e32 v36, vcc, v36, v22, vcc
	global_load_dword v42, v[31:32], off
	global_load_dword v39, v[33:34], off
	;; [unrolled: 1-line block ×3, first 2 shown]
	v_subrev_co_u32_e32 v31, vcc, 1, v0
	v_lshrrev_b32_e32 v32, 3, v31
	v_and_b32_e32 v32, 0x1ffffffc, v32
	v_lshl_add_u32 v32, v31, 2, v32
	v_lshrrev_b32_e32 v31, 3, v0
	v_and_b32_e32 v31, 28, v31
	v_lshl_add_u32 v34, v0, 2, v31
	v_lshrrev_b32_e32 v31, 1, v0
	v_cmp_gt_u32_e64 s[0:1], 64, v0
	v_and_b32_e32 v31, 0x7c, v31
	v_lshlrev_b32_e32 v0, 4, v0
	v_add_u32_e32 v36, v31, v0
	v_mbcnt_lo_u32_b32 v0, -1, 0
	s_xor_b64 s[6:7], vcc, -1
	s_movk_i32 s12, 0x64
	v_mbcnt_hi_u32_b32 v38, -1, v0
.LBB34_1:                               ; =>This Inner Loop Header: Depth=1
	s_waitcnt vmcnt(9)
	v_add_f32_e32 v46, v30, v23
	s_waitcnt vmcnt(8)
	v_add_f32_e32 v45, v29, v46
	;; [unrolled: 2-line block ×10, first 2 shown]
	ds_write_b32 v34, v0
	s_waitcnt lgkmcnt(0)
	s_barrier
	s_and_saveexec_b64 s[8:9], s[0:1]
	s_cbranch_execz .LBB34_3
; %bb.2:                                ;   in Loop: Header=BB34_1 Depth=1
	ds_read2_b32 v[47:48], v36 offset1:1
	ds_read2_b32 v[49:50], v36 offset0:2 offset1:3
	v_and_b32_e32 v51, 15, v38
	v_cmp_eq_u32_e64 s[2:3], 0, v51
	v_cmp_lt_u32_e64 s[4:5], 1, v51
	s_waitcnt lgkmcnt(1)
	v_add_f32_e32 v52, v47, v48
	s_waitcnt lgkmcnt(0)
	v_add_f32_e32 v52, v52, v49
	v_add_f32_e32 v52, v52, v50
	s_nop 1
	v_mov_b32_dpp v53, v52 row_shr:1 row_mask:0xf bank_mask:0xf
	v_add_f32_e32 v53, v52, v53
	v_cndmask_b32_e64 v52, v53, v52, s[2:3]
	v_cmp_lt_u32_e64 s[2:3], 3, v51
	s_nop 0
	v_mov_b32_dpp v53, v52 row_shr:2 row_mask:0xf bank_mask:0xf
	v_add_f32_e32 v53, v52, v53
	v_cndmask_b32_e64 v52, v52, v53, s[4:5]
	s_nop 1
	v_mov_b32_dpp v53, v52 row_shr:4 row_mask:0xf bank_mask:0xf
	v_add_f32_e32 v53, v52, v53
	v_cndmask_b32_e64 v52, v52, v53, s[2:3]
	v_cmp_lt_u32_e64 s[2:3], 7, v51
	s_nop 0
	v_mov_b32_dpp v53, v52 row_shr:8 row_mask:0xf bank_mask:0xf
	v_add_f32_e32 v53, v52, v53
	v_cndmask_b32_e64 v51, v52, v53, s[2:3]
	v_and_b32_e32 v53, 16, v38
	v_cmp_eq_u32_e64 s[2:3], 0, v53
	v_mov_b32_dpp v52, v51 row_bcast:15 row_mask:0xf bank_mask:0xf
	v_add_f32_e32 v52, v51, v52
	v_cndmask_b32_e64 v51, v52, v51, s[2:3]
	v_cmp_lt_u32_e64 s[2:3], 31, v38
	v_and_b32_e32 v53, 64, v38
	v_mov_b32_dpp v52, v51 row_bcast:31 row_mask:0xf bank_mask:0xf
	v_add_f32_e32 v52, v51, v52
	v_cndmask_b32_e64 v51, v51, v52, s[2:3]
	v_add_u32_e32 v52, -1, v38
	v_cmp_lt_i32_e64 s[2:3], v52, v53
	v_cndmask_b32_e64 v52, v52, v38, s[2:3]
	v_lshlrev_b32_e32 v52, 2, v52
	ds_bpermute_b32 v51, v52, v51
	s_waitcnt lgkmcnt(0)
	v_add_f32_e32 v47, v47, v51
	v_cndmask_b32_e32 v47, v47, v0, vcc
	v_add_f32_e32 v48, v48, v47
	ds_write2_b32 v36, v47, v48 offset1:1
	v_add_f32_e32 v47, v49, v48
	v_add_f32_e32 v48, v50, v47
	ds_write2_b32 v36, v47, v48 offset0:2 offset1:3
.LBB34_3:                               ;   in Loop: Header=BB34_1 Depth=1
	s_or_b64 exec, exec, s[8:9]
	s_waitcnt lgkmcnt(0)
	s_barrier
	s_and_saveexec_b64 s[2:3], s[6:7]
	s_cbranch_execz .LBB34_5
; %bb.4:                                ;   in Loop: Header=BB34_1 Depth=1
	ds_read_b32 v0, v32
	s_waitcnt lgkmcnt(0)
	v_add_f32_e32 v23, v23, v0
	v_add_f32_e32 v46, v30, v23
	;; [unrolled: 1-line block ×11, first 2 shown]
.LBB34_5:                               ;   in Loop: Header=BB34_1 Depth=1
	s_or_b64 exec, exec, s[2:3]
	s_add_i32 s12, s12, -1
	s_cmp_lg_u32 s12, 0
	s_cbranch_scc0 .LBB34_7
; %bb.6:                                ;   in Loop: Header=BB34_1 Depth=1
	v_mov_b32_e32 v41, v0
	v_mov_b32_e32 v39, v31
	;; [unrolled: 1-line block ×10, first 2 shown]
	s_branch .LBB34_1
.LBB34_7:
	v_mov_b32_e32 v24, s11
	v_add_co_u32_e32 v1, vcc, s10, v1
	v_addc_co_u32_e32 v2, vcc, v24, v2, vcc
	global_store_dword v[1:2], v23, off
	v_mov_b32_e32 v2, s11
	v_add_co_u32_e32 v1, vcc, s10, v3
	v_addc_co_u32_e32 v2, vcc, v2, v4, vcc
	global_store_dword v[1:2], v46, off
	;; [unrolled: 4-line block ×11, first 2 shown]
	s_endpgm
	.section	.rodata,"a",@progbits
	.p2align	6, 0x0
	.amdhsa_kernel _Z6kernelI14inclusive_scanILN6hipcub18BlockScanAlgorithmE1EEfLj256ELj11ELj100EEvPKT0_PS4_S4_
		.amdhsa_group_segment_fixed_size 1056
		.amdhsa_private_segment_fixed_size 0
		.amdhsa_kernarg_size 280
		.amdhsa_user_sgpr_count 6
		.amdhsa_user_sgpr_private_segment_buffer 1
		.amdhsa_user_sgpr_dispatch_ptr 0
		.amdhsa_user_sgpr_queue_ptr 0
		.amdhsa_user_sgpr_kernarg_segment_ptr 1
		.amdhsa_user_sgpr_dispatch_id 0
		.amdhsa_user_sgpr_flat_scratch_init 0
		.amdhsa_user_sgpr_private_segment_size 0
		.amdhsa_uses_dynamic_stack 0
		.amdhsa_system_sgpr_private_segment_wavefront_offset 0
		.amdhsa_system_sgpr_workgroup_id_x 1
		.amdhsa_system_sgpr_workgroup_id_y 0
		.amdhsa_system_sgpr_workgroup_id_z 0
		.amdhsa_system_sgpr_workgroup_info 0
		.amdhsa_system_vgpr_workitem_id 0
		.amdhsa_next_free_vgpr 54
		.amdhsa_next_free_sgpr 13
		.amdhsa_reserve_vcc 1
		.amdhsa_reserve_flat_scratch 0
		.amdhsa_float_round_mode_32 0
		.amdhsa_float_round_mode_16_64 0
		.amdhsa_float_denorm_mode_32 3
		.amdhsa_float_denorm_mode_16_64 3
		.amdhsa_dx10_clamp 1
		.amdhsa_ieee_mode 1
		.amdhsa_fp16_overflow 0
		.amdhsa_exception_fp_ieee_invalid_op 0
		.amdhsa_exception_fp_denorm_src 0
		.amdhsa_exception_fp_ieee_div_zero 0
		.amdhsa_exception_fp_ieee_overflow 0
		.amdhsa_exception_fp_ieee_underflow 0
		.amdhsa_exception_fp_ieee_inexact 0
		.amdhsa_exception_int_div_zero 0
	.end_amdhsa_kernel
	.section	.text._Z6kernelI14inclusive_scanILN6hipcub18BlockScanAlgorithmE1EEfLj256ELj11ELj100EEvPKT0_PS4_S4_,"axG",@progbits,_Z6kernelI14inclusive_scanILN6hipcub18BlockScanAlgorithmE1EEfLj256ELj11ELj100EEvPKT0_PS4_S4_,comdat
.Lfunc_end34:
	.size	_Z6kernelI14inclusive_scanILN6hipcub18BlockScanAlgorithmE1EEfLj256ELj11ELj100EEvPKT0_PS4_S4_, .Lfunc_end34-_Z6kernelI14inclusive_scanILN6hipcub18BlockScanAlgorithmE1EEfLj256ELj11ELj100EEvPKT0_PS4_S4_
                                        ; -- End function
	.set _Z6kernelI14inclusive_scanILN6hipcub18BlockScanAlgorithmE1EEfLj256ELj11ELj100EEvPKT0_PS4_S4_.num_vgpr, 54
	.set _Z6kernelI14inclusive_scanILN6hipcub18BlockScanAlgorithmE1EEfLj256ELj11ELj100EEvPKT0_PS4_S4_.num_agpr, 0
	.set _Z6kernelI14inclusive_scanILN6hipcub18BlockScanAlgorithmE1EEfLj256ELj11ELj100EEvPKT0_PS4_S4_.numbered_sgpr, 13
	.set _Z6kernelI14inclusive_scanILN6hipcub18BlockScanAlgorithmE1EEfLj256ELj11ELj100EEvPKT0_PS4_S4_.num_named_barrier, 0
	.set _Z6kernelI14inclusive_scanILN6hipcub18BlockScanAlgorithmE1EEfLj256ELj11ELj100EEvPKT0_PS4_S4_.private_seg_size, 0
	.set _Z6kernelI14inclusive_scanILN6hipcub18BlockScanAlgorithmE1EEfLj256ELj11ELj100EEvPKT0_PS4_S4_.uses_vcc, 1
	.set _Z6kernelI14inclusive_scanILN6hipcub18BlockScanAlgorithmE1EEfLj256ELj11ELj100EEvPKT0_PS4_S4_.uses_flat_scratch, 0
	.set _Z6kernelI14inclusive_scanILN6hipcub18BlockScanAlgorithmE1EEfLj256ELj11ELj100EEvPKT0_PS4_S4_.has_dyn_sized_stack, 0
	.set _Z6kernelI14inclusive_scanILN6hipcub18BlockScanAlgorithmE1EEfLj256ELj11ELj100EEvPKT0_PS4_S4_.has_recursion, 0
	.set _Z6kernelI14inclusive_scanILN6hipcub18BlockScanAlgorithmE1EEfLj256ELj11ELj100EEvPKT0_PS4_S4_.has_indirect_call, 0
	.section	.AMDGPU.csdata,"",@progbits
; Kernel info:
; codeLenInByte = 1292
; TotalNumSgprs: 17
; NumVgprs: 54
; ScratchSize: 0
; MemoryBound: 0
; FloatMode: 240
; IeeeMode: 1
; LDSByteSize: 1056 bytes/workgroup (compile time only)
; SGPRBlocks: 2
; VGPRBlocks: 13
; NumSGPRsForWavesPerEU: 17
; NumVGPRsForWavesPerEU: 54
; Occupancy: 4
; WaveLimiterHint : 0
; COMPUTE_PGM_RSRC2:SCRATCH_EN: 0
; COMPUTE_PGM_RSRC2:USER_SGPR: 6
; COMPUTE_PGM_RSRC2:TRAP_HANDLER: 0
; COMPUTE_PGM_RSRC2:TGID_X_EN: 1
; COMPUTE_PGM_RSRC2:TGID_Y_EN: 0
; COMPUTE_PGM_RSRC2:TGID_Z_EN: 0
; COMPUTE_PGM_RSRC2:TIDIG_COMP_CNT: 0
	.section	.text._Z6kernelI14inclusive_scanILN6hipcub18BlockScanAlgorithmE1EEfLj256ELj16ELj100EEvPKT0_PS4_S4_,"axG",@progbits,_Z6kernelI14inclusive_scanILN6hipcub18BlockScanAlgorithmE1EEfLj256ELj16ELj100EEvPKT0_PS4_S4_,comdat
	.protected	_Z6kernelI14inclusive_scanILN6hipcub18BlockScanAlgorithmE1EEfLj256ELj16ELj100EEvPKT0_PS4_S4_ ; -- Begin function _Z6kernelI14inclusive_scanILN6hipcub18BlockScanAlgorithmE1EEfLj256ELj16ELj100EEvPKT0_PS4_S4_
	.globl	_Z6kernelI14inclusive_scanILN6hipcub18BlockScanAlgorithmE1EEfLj256ELj16ELj100EEvPKT0_PS4_S4_
	.p2align	8
	.type	_Z6kernelI14inclusive_scanILN6hipcub18BlockScanAlgorithmE1EEfLj256ELj16ELj100EEvPKT0_PS4_S4_,@function
_Z6kernelI14inclusive_scanILN6hipcub18BlockScanAlgorithmE1EEfLj256ELj16ELj100EEvPKT0_PS4_S4_: ; @_Z6kernelI14inclusive_scanILN6hipcub18BlockScanAlgorithmE1EEfLj256ELj16ELj100EEvPKT0_PS4_S4_
; %bb.0:
	s_load_dword s0, s[4:5], 0x24
	s_load_dwordx4 s[8:11], s[4:5], 0x0
	v_mov_b32_e32 v2, 0
	v_lshlrev_b32_e32 v19, 4, v0
	s_movk_i32 s12, 0x64
	s_waitcnt lgkmcnt(0)
	s_and_b32 s0, s0, 0xffff
	s_mul_i32 s6, s6, s0
	v_add_lshl_u32 v1, s6, v0, 4
	v_lshlrev_b64 v[29:30], 2, v[1:2]
	v_mov_b32_e32 v1, s9
	v_add_co_u32_e32 v17, vcc, s8, v29
	v_addc_co_u32_e32 v18, vcc, v1, v30, vcc
	global_load_dwordx4 v[1:4], v[17:18], off
	global_load_dwordx4 v[5:8], v[17:18], off offset:16
	global_load_dwordx4 v[13:16], v[17:18], off offset:32
	;; [unrolled: 1-line block ×3, first 2 shown]
	v_lshrrev_b32_e32 v17, 3, v0
	v_and_b32_e32 v17, 28, v17
	v_lshl_add_u32 v31, v0, 2, v17
	v_subrev_co_u32_e64 v17, s[0:1], 1, v0
	v_cmp_gt_u32_e32 vcc, 64, v0
	v_lshrrev_b32_e32 v18, 1, v0
	v_lshrrev_b32_e32 v0, 3, v17
	v_and_b32_e32 v0, 0x1ffffffc, v0
	v_and_b32_e32 v18, 0x7c, v18
	v_lshl_add_u32 v0, v17, 2, v0
	v_mbcnt_lo_u32_b32 v17, -1, 0
	s_xor_b64 s[6:7], s[0:1], -1
	v_add_u32_e32 v32, v18, v19
	v_mbcnt_hi_u32_b32 v33, -1, v17
.LBB35_1:                               ; =>This Inner Loop Header: Depth=1
	s_waitcnt vmcnt(3)
	v_add_f32_e32 v34, v2, v1
	v_add_f32_e32 v35, v3, v34
	v_add_f32_e32 v36, v4, v35
	s_waitcnt vmcnt(2)
	v_add_f32_e32 v17, v5, v36
	v_add_f32_e32 v18, v6, v17
	v_add_f32_e32 v19, v7, v18
	v_add_f32_e32 v20, v8, v19
	s_waitcnt vmcnt(1)
	v_add_f32_e32 v21, v13, v20
	;; [unrolled: 5-line block ×3, first 2 shown]
	v_add_f32_e32 v26, v10, v25
	v_add_f32_e32 v27, v11, v26
	;; [unrolled: 1-line block ×3, first 2 shown]
	ds_write_b32 v31, v28
	s_waitcnt lgkmcnt(0)
	s_barrier
	s_and_saveexec_b64 s[8:9], vcc
	s_cbranch_execz .LBB35_3
; %bb.2:                                ;   in Loop: Header=BB35_1 Depth=1
	ds_read2_b32 v[37:38], v32 offset1:1
	ds_read2_b32 v[39:40], v32 offset0:2 offset1:3
	v_and_b32_e32 v41, 15, v33
	v_cmp_eq_u32_e64 s[2:3], 0, v41
	v_cmp_lt_u32_e64 s[4:5], 1, v41
	s_waitcnt lgkmcnt(1)
	v_add_f32_e32 v42, v37, v38
	s_waitcnt lgkmcnt(0)
	v_add_f32_e32 v42, v42, v39
	v_add_f32_e32 v42, v42, v40
	s_nop 1
	v_mov_b32_dpp v43, v42 row_shr:1 row_mask:0xf bank_mask:0xf
	v_add_f32_e32 v43, v42, v43
	v_cndmask_b32_e64 v42, v43, v42, s[2:3]
	v_cmp_lt_u32_e64 s[2:3], 3, v41
	s_nop 0
	v_mov_b32_dpp v43, v42 row_shr:2 row_mask:0xf bank_mask:0xf
	v_add_f32_e32 v43, v42, v43
	v_cndmask_b32_e64 v42, v42, v43, s[4:5]
	s_nop 1
	v_mov_b32_dpp v43, v42 row_shr:4 row_mask:0xf bank_mask:0xf
	v_add_f32_e32 v43, v42, v43
	v_cndmask_b32_e64 v42, v42, v43, s[2:3]
	v_cmp_lt_u32_e64 s[2:3], 7, v41
	s_nop 0
	v_mov_b32_dpp v43, v42 row_shr:8 row_mask:0xf bank_mask:0xf
	v_add_f32_e32 v43, v42, v43
	v_cndmask_b32_e64 v41, v42, v43, s[2:3]
	v_and_b32_e32 v43, 16, v33
	v_cmp_eq_u32_e64 s[2:3], 0, v43
	v_mov_b32_dpp v42, v41 row_bcast:15 row_mask:0xf bank_mask:0xf
	v_add_f32_e32 v42, v41, v42
	v_cndmask_b32_e64 v41, v42, v41, s[2:3]
	v_cmp_lt_u32_e64 s[2:3], 31, v33
	v_and_b32_e32 v43, 64, v33
	v_mov_b32_dpp v42, v41 row_bcast:31 row_mask:0xf bank_mask:0xf
	v_add_f32_e32 v42, v41, v42
	v_cndmask_b32_e64 v41, v41, v42, s[2:3]
	v_add_u32_e32 v42, -1, v33
	v_cmp_lt_i32_e64 s[2:3], v42, v43
	v_cndmask_b32_e64 v42, v42, v33, s[2:3]
	v_lshlrev_b32_e32 v42, 2, v42
	ds_bpermute_b32 v41, v42, v41
	s_waitcnt lgkmcnt(0)
	v_add_f32_e32 v37, v37, v41
	v_cndmask_b32_e64 v37, v37, v28, s[0:1]
	v_add_f32_e32 v38, v38, v37
	ds_write2_b32 v32, v37, v38 offset1:1
	v_add_f32_e32 v37, v39, v38
	v_add_f32_e32 v38, v40, v37
	ds_write2_b32 v32, v37, v38 offset0:2 offset1:3
.LBB35_3:                               ;   in Loop: Header=BB35_1 Depth=1
	s_or_b64 exec, exec, s[8:9]
	s_waitcnt lgkmcnt(0)
	s_barrier
	s_and_saveexec_b64 s[2:3], s[6:7]
	s_cbranch_execz .LBB35_5
; %bb.4:                                ;   in Loop: Header=BB35_1 Depth=1
	ds_read_b32 v17, v0
	s_waitcnt lgkmcnt(0)
	v_add_f32_e32 v1, v1, v17
	v_add_f32_e32 v34, v2, v1
	;; [unrolled: 1-line block ×16, first 2 shown]
.LBB35_5:                               ;   in Loop: Header=BB35_1 Depth=1
	s_or_b64 exec, exec, s[2:3]
	s_add_i32 s12, s12, -1
	s_cmp_lg_u32 s12, 0
	s_cbranch_scc0 .LBB35_7
; %bb.6:                                ;   in Loop: Header=BB35_1 Depth=1
	v_mov_b32_e32 v12, v28
	v_mov_b32_e32 v11, v27
	;; [unrolled: 1-line block ×15, first 2 shown]
	s_branch .LBB35_1
.LBB35_7:
	v_mov_b32_e32 v0, s11
	v_add_co_u32_e32 v5, vcc, s10, v29
	v_addc_co_u32_e32 v6, vcc, v0, v30, vcc
	v_mov_b32_e32 v2, v34
	v_mov_b32_e32 v3, v35
	;; [unrolled: 1-line block ×3, first 2 shown]
	global_store_dwordx4 v[5:6], v[1:4], off
	global_store_dwordx4 v[5:6], v[17:20], off offset:16
	global_store_dwordx4 v[5:6], v[21:24], off offset:32
	;; [unrolled: 1-line block ×3, first 2 shown]
	s_endpgm
	.section	.rodata,"a",@progbits
	.p2align	6, 0x0
	.amdhsa_kernel _Z6kernelI14inclusive_scanILN6hipcub18BlockScanAlgorithmE1EEfLj256ELj16ELj100EEvPKT0_PS4_S4_
		.amdhsa_group_segment_fixed_size 1056
		.amdhsa_private_segment_fixed_size 0
		.amdhsa_kernarg_size 280
		.amdhsa_user_sgpr_count 6
		.amdhsa_user_sgpr_private_segment_buffer 1
		.amdhsa_user_sgpr_dispatch_ptr 0
		.amdhsa_user_sgpr_queue_ptr 0
		.amdhsa_user_sgpr_kernarg_segment_ptr 1
		.amdhsa_user_sgpr_dispatch_id 0
		.amdhsa_user_sgpr_flat_scratch_init 0
		.amdhsa_user_sgpr_private_segment_size 0
		.amdhsa_uses_dynamic_stack 0
		.amdhsa_system_sgpr_private_segment_wavefront_offset 0
		.amdhsa_system_sgpr_workgroup_id_x 1
		.amdhsa_system_sgpr_workgroup_id_y 0
		.amdhsa_system_sgpr_workgroup_id_z 0
		.amdhsa_system_sgpr_workgroup_info 0
		.amdhsa_system_vgpr_workitem_id 0
		.amdhsa_next_free_vgpr 44
		.amdhsa_next_free_sgpr 13
		.amdhsa_reserve_vcc 1
		.amdhsa_reserve_flat_scratch 0
		.amdhsa_float_round_mode_32 0
		.amdhsa_float_round_mode_16_64 0
		.amdhsa_float_denorm_mode_32 3
		.amdhsa_float_denorm_mode_16_64 3
		.amdhsa_dx10_clamp 1
		.amdhsa_ieee_mode 1
		.amdhsa_fp16_overflow 0
		.amdhsa_exception_fp_ieee_invalid_op 0
		.amdhsa_exception_fp_denorm_src 0
		.amdhsa_exception_fp_ieee_div_zero 0
		.amdhsa_exception_fp_ieee_overflow 0
		.amdhsa_exception_fp_ieee_underflow 0
		.amdhsa_exception_fp_ieee_inexact 0
		.amdhsa_exception_int_div_zero 0
	.end_amdhsa_kernel
	.section	.text._Z6kernelI14inclusive_scanILN6hipcub18BlockScanAlgorithmE1EEfLj256ELj16ELj100EEvPKT0_PS4_S4_,"axG",@progbits,_Z6kernelI14inclusive_scanILN6hipcub18BlockScanAlgorithmE1EEfLj256ELj16ELj100EEvPKT0_PS4_S4_,comdat
.Lfunc_end35:
	.size	_Z6kernelI14inclusive_scanILN6hipcub18BlockScanAlgorithmE1EEfLj256ELj16ELj100EEvPKT0_PS4_S4_, .Lfunc_end35-_Z6kernelI14inclusive_scanILN6hipcub18BlockScanAlgorithmE1EEfLj256ELj16ELj100EEvPKT0_PS4_S4_
                                        ; -- End function
	.set _Z6kernelI14inclusive_scanILN6hipcub18BlockScanAlgorithmE1EEfLj256ELj16ELj100EEvPKT0_PS4_S4_.num_vgpr, 44
	.set _Z6kernelI14inclusive_scanILN6hipcub18BlockScanAlgorithmE1EEfLj256ELj16ELj100EEvPKT0_PS4_S4_.num_agpr, 0
	.set _Z6kernelI14inclusive_scanILN6hipcub18BlockScanAlgorithmE1EEfLj256ELj16ELj100EEvPKT0_PS4_S4_.numbered_sgpr, 13
	.set _Z6kernelI14inclusive_scanILN6hipcub18BlockScanAlgorithmE1EEfLj256ELj16ELj100EEvPKT0_PS4_S4_.num_named_barrier, 0
	.set _Z6kernelI14inclusive_scanILN6hipcub18BlockScanAlgorithmE1EEfLj256ELj16ELj100EEvPKT0_PS4_S4_.private_seg_size, 0
	.set _Z6kernelI14inclusive_scanILN6hipcub18BlockScanAlgorithmE1EEfLj256ELj16ELj100EEvPKT0_PS4_S4_.uses_vcc, 1
	.set _Z6kernelI14inclusive_scanILN6hipcub18BlockScanAlgorithmE1EEfLj256ELj16ELj100EEvPKT0_PS4_S4_.uses_flat_scratch, 0
	.set _Z6kernelI14inclusive_scanILN6hipcub18BlockScanAlgorithmE1EEfLj256ELj16ELj100EEvPKT0_PS4_S4_.has_dyn_sized_stack, 0
	.set _Z6kernelI14inclusive_scanILN6hipcub18BlockScanAlgorithmE1EEfLj256ELj16ELj100EEvPKT0_PS4_S4_.has_recursion, 0
	.set _Z6kernelI14inclusive_scanILN6hipcub18BlockScanAlgorithmE1EEfLj256ELj16ELj100EEvPKT0_PS4_S4_.has_indirect_call, 0
	.section	.AMDGPU.csdata,"",@progbits
; Kernel info:
; codeLenInByte = 832
; TotalNumSgprs: 17
; NumVgprs: 44
; ScratchSize: 0
; MemoryBound: 0
; FloatMode: 240
; IeeeMode: 1
; LDSByteSize: 1056 bytes/workgroup (compile time only)
; SGPRBlocks: 2
; VGPRBlocks: 10
; NumSGPRsForWavesPerEU: 17
; NumVGPRsForWavesPerEU: 44
; Occupancy: 5
; WaveLimiterHint : 0
; COMPUTE_PGM_RSRC2:SCRATCH_EN: 0
; COMPUTE_PGM_RSRC2:USER_SGPR: 6
; COMPUTE_PGM_RSRC2:TRAP_HANDLER: 0
; COMPUTE_PGM_RSRC2:TGID_X_EN: 1
; COMPUTE_PGM_RSRC2:TGID_Y_EN: 0
; COMPUTE_PGM_RSRC2:TGID_Z_EN: 0
; COMPUTE_PGM_RSRC2:TIDIG_COMP_CNT: 0
	.section	.text._Z6kernelI14inclusive_scanILN6hipcub18BlockScanAlgorithmE1EEdLj256ELj1ELj100EEvPKT0_PS4_S4_,"axG",@progbits,_Z6kernelI14inclusive_scanILN6hipcub18BlockScanAlgorithmE1EEdLj256ELj1ELj100EEvPKT0_PS4_S4_,comdat
	.protected	_Z6kernelI14inclusive_scanILN6hipcub18BlockScanAlgorithmE1EEdLj256ELj1ELj100EEvPKT0_PS4_S4_ ; -- Begin function _Z6kernelI14inclusive_scanILN6hipcub18BlockScanAlgorithmE1EEdLj256ELj1ELj100EEvPKT0_PS4_S4_
	.globl	_Z6kernelI14inclusive_scanILN6hipcub18BlockScanAlgorithmE1EEdLj256ELj1ELj100EEvPKT0_PS4_S4_
	.p2align	8
	.type	_Z6kernelI14inclusive_scanILN6hipcub18BlockScanAlgorithmE1EEdLj256ELj1ELj100EEvPKT0_PS4_S4_,@function
_Z6kernelI14inclusive_scanILN6hipcub18BlockScanAlgorithmE1EEdLj256ELj1ELj100EEvPKT0_PS4_S4_: ; @_Z6kernelI14inclusive_scanILN6hipcub18BlockScanAlgorithmE1EEdLj256ELj1ELj100EEvPKT0_PS4_S4_
; %bb.0:
	s_load_dword s0, s[4:5], 0x24
	s_load_dwordx4 s[8:11], s[4:5], 0x0
	v_mov_b32_e32 v2, 0
	s_waitcnt lgkmcnt(0)
	s_and_b32 s0, s0, 0xffff
	s_mul_i32 s6, s6, s0
	v_add_u32_e32 v1, s6, v0
	v_lshlrev_b64 v[8:9], 3, v[1:2]
	v_mov_b32_e32 v2, s9
	v_add_co_u32_e32 v1, vcc, s8, v8
	v_addc_co_u32_e32 v2, vcc, v2, v9, vcc
	global_load_dwordx2 v[10:11], v[1:2], off
	v_lshrrev_b32_e32 v1, 2, v0
	v_and_b32_e32 v1, 56, v1
	v_lshl_add_u32 v16, v0, 3, v1
	v_cmp_gt_u32_e32 vcc, 64, v0
	v_and_b32_e32 v1, 0xf8, v0
	v_lshlrev_b32_e32 v2, 5, v0
	v_cmp_eq_u32_e64 s[0:1], 0, v0
	v_mbcnt_lo_u32_b32 v0, -1, 0
	v_mbcnt_hi_u32_b32 v18, -1, v0
	s_movk_i32 s8, 0x64
	v_add_u32_e32 v17, v1, v2
	v_and_b32_e32 v19, 15, v18
	s_branch .LBB36_3
.LBB36_1:                               ;   in Loop: Header=BB36_3 Depth=1
	s_or_b64 exec, exec, s[6:7]
	v_mov_b32_dpp v14, v12 row_bcast:31 row_mask:0xf bank_mask:0xf
	v_mov_b32_dpp v15, v13 row_bcast:31 row_mask:0xf bank_mask:0xf
	v_add_f64 v[14:15], v[12:13], v[14:15]
	v_add_u32_e32 v20, -1, v18
	v_and_b32_e32 v21, 64, v18
	v_cmp_lt_i32_e64 s[2:3], v20, v21
	v_cndmask_b32_e64 v20, v20, v18, s[2:3]
	v_cmp_lt_u32_e64 s[2:3], 31, v18
	v_cndmask_b32_e64 v13, v13, v15, s[2:3]
	v_cndmask_b32_e64 v12, v12, v14, s[2:3]
	v_lshlrev_b32_e32 v14, 2, v20
	ds_bpermute_b32 v12, v14, v12
	ds_bpermute_b32 v13, v14, v13
	s_waitcnt lgkmcnt(0)
	v_add_f64 v[4:5], v[4:5], v[12:13]
	v_cndmask_b32_e64 v5, v5, v11, s[0:1]
	v_cndmask_b32_e64 v4, v4, v10, s[0:1]
	v_add_f64 v[6:7], v[6:7], v[4:5]
	v_add_f64 v[0:1], v[0:1], v[6:7]
	;; [unrolled: 1-line block ×3, first 2 shown]
	ds_write2_b64 v17, v[4:5], v[6:7] offset1:1
	ds_write2_b64 v17, v[0:1], v[2:3] offset0:2 offset1:3
.LBB36_2:                               ;   in Loop: Header=BB36_3 Depth=1
	s_or_b64 exec, exec, s[4:5]
	s_waitcnt lgkmcnt(0)
	s_barrier
	ds_read_b64 v[10:11], v16
	s_add_i32 s8, s8, -1
	s_cmp_lg_u32 s8, 0
	s_cbranch_scc0 .LBB36_14
.LBB36_3:                               ; =>This Inner Loop Header: Depth=1
	s_waitcnt vmcnt(0) lgkmcnt(0)
	ds_write_b64 v16, v[10:11]
	s_waitcnt lgkmcnt(0)
	s_barrier
	s_and_saveexec_b64 s[4:5], vcc
	s_cbranch_execz .LBB36_2
; %bb.4:                                ;   in Loop: Header=BB36_3 Depth=1
	ds_read2_b64 v[4:7], v17 offset1:1
	ds_read2_b64 v[0:3], v17 offset0:2 offset1:3
	v_cmp_ne_u32_e64 s[2:3], 0, v19
	s_waitcnt lgkmcnt(1)
	v_add_f64 v[12:13], v[4:5], v[6:7]
	s_waitcnt lgkmcnt(0)
	v_add_f64 v[12:13], v[12:13], v[0:1]
	v_add_f64 v[12:13], v[12:13], v[2:3]
	s_nop 1
	v_mov_b32_dpp v14, v12 row_shr:1 row_mask:0xf bank_mask:0xf
	v_mov_b32_dpp v15, v13 row_shr:1 row_mask:0xf bank_mask:0xf
	s_and_saveexec_b64 s[6:7], s[2:3]
; %bb.5:                                ;   in Loop: Header=BB36_3 Depth=1
	v_add_f64 v[12:13], v[12:13], v[14:15]
; %bb.6:                                ;   in Loop: Header=BB36_3 Depth=1
	s_or_b64 exec, exec, s[6:7]
	s_nop 0
	v_mov_b32_dpp v14, v12 row_shr:2 row_mask:0xf bank_mask:0xf
	v_mov_b32_dpp v15, v13 row_shr:2 row_mask:0xf bank_mask:0xf
	v_cmp_lt_u32_e64 s[2:3], 1, v19
	s_and_saveexec_b64 s[6:7], s[2:3]
; %bb.7:                                ;   in Loop: Header=BB36_3 Depth=1
	v_add_f64 v[12:13], v[12:13], v[14:15]
; %bb.8:                                ;   in Loop: Header=BB36_3 Depth=1
	s_or_b64 exec, exec, s[6:7]
	s_nop 0
	v_mov_b32_dpp v14, v12 row_shr:4 row_mask:0xf bank_mask:0xf
	v_mov_b32_dpp v15, v13 row_shr:4 row_mask:0xf bank_mask:0xf
	v_cmp_lt_u32_e64 s[2:3], 3, v19
	s_and_saveexec_b64 s[6:7], s[2:3]
; %bb.9:                                ;   in Loop: Header=BB36_3 Depth=1
	v_add_f64 v[12:13], v[12:13], v[14:15]
; %bb.10:                               ;   in Loop: Header=BB36_3 Depth=1
	s_or_b64 exec, exec, s[6:7]
	s_nop 0
	v_mov_b32_dpp v14, v12 row_shr:8 row_mask:0xf bank_mask:0xf
	v_mov_b32_dpp v15, v13 row_shr:8 row_mask:0xf bank_mask:0xf
	v_cmp_lt_u32_e64 s[2:3], 7, v19
	s_and_saveexec_b64 s[6:7], s[2:3]
; %bb.11:                               ;   in Loop: Header=BB36_3 Depth=1
	v_add_f64 v[12:13], v[12:13], v[14:15]
; %bb.12:                               ;   in Loop: Header=BB36_3 Depth=1
	s_or_b64 exec, exec, s[6:7]
	v_and_b32_e32 v20, 16, v18
	v_mov_b32_dpp v14, v12 row_bcast:15 row_mask:0xf bank_mask:0xf
	v_mov_b32_dpp v15, v13 row_bcast:15 row_mask:0xf bank_mask:0xf
	v_cmp_ne_u32_e64 s[2:3], 0, v20
	s_and_saveexec_b64 s[6:7], s[2:3]
	s_cbranch_execz .LBB36_1
; %bb.13:                               ;   in Loop: Header=BB36_3 Depth=1
	v_add_f64 v[12:13], v[12:13], v[14:15]
	s_branch .LBB36_1
.LBB36_14:
	v_mov_b32_e32 v1, s11
	v_add_co_u32_e32 v0, vcc, s10, v8
	v_addc_co_u32_e32 v1, vcc, v1, v9, vcc
	s_waitcnt lgkmcnt(0)
	global_store_dwordx2 v[0:1], v[10:11], off
	s_endpgm
	.section	.rodata,"a",@progbits
	.p2align	6, 0x0
	.amdhsa_kernel _Z6kernelI14inclusive_scanILN6hipcub18BlockScanAlgorithmE1EEdLj256ELj1ELj100EEvPKT0_PS4_S4_
		.amdhsa_group_segment_fixed_size 2112
		.amdhsa_private_segment_fixed_size 0
		.amdhsa_kernarg_size 280
		.amdhsa_user_sgpr_count 6
		.amdhsa_user_sgpr_private_segment_buffer 1
		.amdhsa_user_sgpr_dispatch_ptr 0
		.amdhsa_user_sgpr_queue_ptr 0
		.amdhsa_user_sgpr_kernarg_segment_ptr 1
		.amdhsa_user_sgpr_dispatch_id 0
		.amdhsa_user_sgpr_flat_scratch_init 0
		.amdhsa_user_sgpr_private_segment_size 0
		.amdhsa_uses_dynamic_stack 0
		.amdhsa_system_sgpr_private_segment_wavefront_offset 0
		.amdhsa_system_sgpr_workgroup_id_x 1
		.amdhsa_system_sgpr_workgroup_id_y 0
		.amdhsa_system_sgpr_workgroup_id_z 0
		.amdhsa_system_sgpr_workgroup_info 0
		.amdhsa_system_vgpr_workitem_id 0
		.amdhsa_next_free_vgpr 22
		.amdhsa_next_free_sgpr 12
		.amdhsa_reserve_vcc 1
		.amdhsa_reserve_flat_scratch 0
		.amdhsa_float_round_mode_32 0
		.amdhsa_float_round_mode_16_64 0
		.amdhsa_float_denorm_mode_32 3
		.amdhsa_float_denorm_mode_16_64 3
		.amdhsa_dx10_clamp 1
		.amdhsa_ieee_mode 1
		.amdhsa_fp16_overflow 0
		.amdhsa_exception_fp_ieee_invalid_op 0
		.amdhsa_exception_fp_denorm_src 0
		.amdhsa_exception_fp_ieee_div_zero 0
		.amdhsa_exception_fp_ieee_overflow 0
		.amdhsa_exception_fp_ieee_underflow 0
		.amdhsa_exception_fp_ieee_inexact 0
		.amdhsa_exception_int_div_zero 0
	.end_amdhsa_kernel
	.section	.text._Z6kernelI14inclusive_scanILN6hipcub18BlockScanAlgorithmE1EEdLj256ELj1ELj100EEvPKT0_PS4_S4_,"axG",@progbits,_Z6kernelI14inclusive_scanILN6hipcub18BlockScanAlgorithmE1EEdLj256ELj1ELj100EEvPKT0_PS4_S4_,comdat
.Lfunc_end36:
	.size	_Z6kernelI14inclusive_scanILN6hipcub18BlockScanAlgorithmE1EEdLj256ELj1ELj100EEvPKT0_PS4_S4_, .Lfunc_end36-_Z6kernelI14inclusive_scanILN6hipcub18BlockScanAlgorithmE1EEdLj256ELj1ELj100EEvPKT0_PS4_S4_
                                        ; -- End function
	.set _Z6kernelI14inclusive_scanILN6hipcub18BlockScanAlgorithmE1EEdLj256ELj1ELj100EEvPKT0_PS4_S4_.num_vgpr, 22
	.set _Z6kernelI14inclusive_scanILN6hipcub18BlockScanAlgorithmE1EEdLj256ELj1ELj100EEvPKT0_PS4_S4_.num_agpr, 0
	.set _Z6kernelI14inclusive_scanILN6hipcub18BlockScanAlgorithmE1EEdLj256ELj1ELj100EEvPKT0_PS4_S4_.numbered_sgpr, 12
	.set _Z6kernelI14inclusive_scanILN6hipcub18BlockScanAlgorithmE1EEdLj256ELj1ELj100EEvPKT0_PS4_S4_.num_named_barrier, 0
	.set _Z6kernelI14inclusive_scanILN6hipcub18BlockScanAlgorithmE1EEdLj256ELj1ELj100EEvPKT0_PS4_S4_.private_seg_size, 0
	.set _Z6kernelI14inclusive_scanILN6hipcub18BlockScanAlgorithmE1EEdLj256ELj1ELj100EEvPKT0_PS4_S4_.uses_vcc, 1
	.set _Z6kernelI14inclusive_scanILN6hipcub18BlockScanAlgorithmE1EEdLj256ELj1ELj100EEvPKT0_PS4_S4_.uses_flat_scratch, 0
	.set _Z6kernelI14inclusive_scanILN6hipcub18BlockScanAlgorithmE1EEdLj256ELj1ELj100EEvPKT0_PS4_S4_.has_dyn_sized_stack, 0
	.set _Z6kernelI14inclusive_scanILN6hipcub18BlockScanAlgorithmE1EEdLj256ELj1ELj100EEvPKT0_PS4_S4_.has_recursion, 0
	.set _Z6kernelI14inclusive_scanILN6hipcub18BlockScanAlgorithmE1EEdLj256ELj1ELj100EEvPKT0_PS4_S4_.has_indirect_call, 0
	.section	.AMDGPU.csdata,"",@progbits
; Kernel info:
; codeLenInByte = 664
; TotalNumSgprs: 16
; NumVgprs: 22
; ScratchSize: 0
; MemoryBound: 0
; FloatMode: 240
; IeeeMode: 1
; LDSByteSize: 2112 bytes/workgroup (compile time only)
; SGPRBlocks: 1
; VGPRBlocks: 5
; NumSGPRsForWavesPerEU: 16
; NumVGPRsForWavesPerEU: 22
; Occupancy: 10
; WaveLimiterHint : 0
; COMPUTE_PGM_RSRC2:SCRATCH_EN: 0
; COMPUTE_PGM_RSRC2:USER_SGPR: 6
; COMPUTE_PGM_RSRC2:TRAP_HANDLER: 0
; COMPUTE_PGM_RSRC2:TGID_X_EN: 1
; COMPUTE_PGM_RSRC2:TGID_Y_EN: 0
; COMPUTE_PGM_RSRC2:TGID_Z_EN: 0
; COMPUTE_PGM_RSRC2:TIDIG_COMP_CNT: 0
	.section	.text._Z6kernelI14inclusive_scanILN6hipcub18BlockScanAlgorithmE1EEdLj256ELj3ELj100EEvPKT0_PS4_S4_,"axG",@progbits,_Z6kernelI14inclusive_scanILN6hipcub18BlockScanAlgorithmE1EEdLj256ELj3ELj100EEvPKT0_PS4_S4_,comdat
	.protected	_Z6kernelI14inclusive_scanILN6hipcub18BlockScanAlgorithmE1EEdLj256ELj3ELj100EEvPKT0_PS4_S4_ ; -- Begin function _Z6kernelI14inclusive_scanILN6hipcub18BlockScanAlgorithmE1EEdLj256ELj3ELj100EEvPKT0_PS4_S4_
	.globl	_Z6kernelI14inclusive_scanILN6hipcub18BlockScanAlgorithmE1EEdLj256ELj3ELj100EEvPKT0_PS4_S4_
	.p2align	8
	.type	_Z6kernelI14inclusive_scanILN6hipcub18BlockScanAlgorithmE1EEdLj256ELj3ELj100EEvPKT0_PS4_S4_,@function
_Z6kernelI14inclusive_scanILN6hipcub18BlockScanAlgorithmE1EEdLj256ELj3ELj100EEvPKT0_PS4_S4_: ; @_Z6kernelI14inclusive_scanILN6hipcub18BlockScanAlgorithmE1EEdLj256ELj3ELj100EEvPKT0_PS4_S4_
; %bb.0:
	s_load_dword s0, s[4:5], 0x24
	s_load_dwordx4 s[8:11], s[4:5], 0x0
	v_mov_b32_e32 v2, 0
	v_mov_b32_e32 v6, v2
	s_movk_i32 s12, 0x64
	s_waitcnt lgkmcnt(0)
	s_and_b32 s0, s0, 0xffff
	s_mul_i32 s6, s6, s0
	v_add_u32_e32 v1, s6, v0
	v_lshl_add_u32 v1, v1, 1, v1
	v_lshlrev_b64 v[8:9], 3, v[1:2]
	v_add_u32_e32 v5, 1, v1
	v_mov_b32_e32 v4, s9
	v_add_co_u32_e32 v3, vcc, s8, v8
	v_lshlrev_b64 v[10:11], 3, v[5:6]
	v_addc_co_u32_e32 v4, vcc, v4, v9, vcc
	v_add_u32_e32 v1, 2, v1
	v_mov_b32_e32 v6, s9
	v_add_co_u32_e32 v5, vcc, s8, v10
	v_lshlrev_b64 v[12:13], 3, v[1:2]
	v_addc_co_u32_e32 v6, vcc, v6, v11, vcc
	v_mov_b32_e32 v2, s9
	v_add_co_u32_e32 v1, vcc, s8, v12
	v_addc_co_u32_e32 v2, vcc, v2, v13, vcc
	global_load_dwordx2 v[14:15], v[3:4], off
	global_load_dwordx2 v[16:17], v[5:6], off
	;; [unrolled: 1-line block ×3, first 2 shown]
	v_lshrrev_b32_e32 v1, 2, v0
	v_and_b32_e32 v1, 56, v1
	v_lshl_add_u32 v28, v0, 3, v1
	v_subrev_co_u32_e64 v1, s[0:1], 1, v0
	v_cmp_gt_u32_e32 vcc, 64, v0
	v_and_b32_e32 v2, 0xf8, v0
	v_lshlrev_b32_e32 v0, 5, v0
	v_lshrrev_b32_e32 v3, 2, v1
	v_and_b32_e32 v3, 0x3ffffff8, v3
	v_add_u32_e32 v30, v2, v0
	v_mbcnt_lo_u32_b32 v0, -1, 0
	s_xor_b64 s[4:5], s[0:1], -1
	v_lshl_add_u32 v29, v1, 3, v3
	v_mbcnt_hi_u32_b32 v31, -1, v0
.LBB37_1:                               ; =>This Inner Loop Header: Depth=1
	s_waitcnt vmcnt(1)
	v_add_f64 v[22:23], v[14:15], v[16:17]
	s_waitcnt vmcnt(0)
	v_add_f64 v[18:19], v[20:21], v[22:23]
	ds_write_b64 v28, v[18:19]
	s_waitcnt lgkmcnt(0)
	s_barrier
	s_and_saveexec_b64 s[6:7], vcc
	s_cbranch_execz .LBB37_13
; %bb.2:                                ;   in Loop: Header=BB37_1 Depth=1
	ds_read2_b64 v[4:7], v30 offset1:1
	ds_read2_b64 v[0:3], v30 offset0:2 offset1:3
	v_and_b32_e32 v32, 15, v31
	v_cmp_ne_u32_e64 s[2:3], 0, v32
	s_waitcnt lgkmcnt(1)
	v_add_f64 v[24:25], v[4:5], v[6:7]
	s_waitcnt lgkmcnt(0)
	v_add_f64 v[24:25], v[24:25], v[0:1]
	v_add_f64 v[24:25], v[24:25], v[2:3]
	s_nop 1
	v_mov_b32_dpp v26, v24 row_shr:1 row_mask:0xf bank_mask:0xf
	v_mov_b32_dpp v27, v25 row_shr:1 row_mask:0xf bank_mask:0xf
	s_and_saveexec_b64 s[8:9], s[2:3]
; %bb.3:                                ;   in Loop: Header=BB37_1 Depth=1
	v_add_f64 v[24:25], v[24:25], v[26:27]
; %bb.4:                                ;   in Loop: Header=BB37_1 Depth=1
	s_or_b64 exec, exec, s[8:9]
	s_nop 0
	v_mov_b32_dpp v26, v24 row_shr:2 row_mask:0xf bank_mask:0xf
	v_mov_b32_dpp v27, v25 row_shr:2 row_mask:0xf bank_mask:0xf
	v_cmp_lt_u32_e64 s[2:3], 1, v32
	s_and_saveexec_b64 s[8:9], s[2:3]
; %bb.5:                                ;   in Loop: Header=BB37_1 Depth=1
	v_add_f64 v[24:25], v[24:25], v[26:27]
; %bb.6:                                ;   in Loop: Header=BB37_1 Depth=1
	s_or_b64 exec, exec, s[8:9]
	s_nop 0
	v_mov_b32_dpp v26, v24 row_shr:4 row_mask:0xf bank_mask:0xf
	v_mov_b32_dpp v27, v25 row_shr:4 row_mask:0xf bank_mask:0xf
	v_cmp_lt_u32_e64 s[2:3], 3, v32
	s_and_saveexec_b64 s[8:9], s[2:3]
; %bb.7:                                ;   in Loop: Header=BB37_1 Depth=1
	v_add_f64 v[24:25], v[24:25], v[26:27]
; %bb.8:                                ;   in Loop: Header=BB37_1 Depth=1
	s_or_b64 exec, exec, s[8:9]
	s_nop 0
	v_mov_b32_dpp v26, v24 row_shr:8 row_mask:0xf bank_mask:0xf
	v_mov_b32_dpp v27, v25 row_shr:8 row_mask:0xf bank_mask:0xf
	v_cmp_lt_u32_e64 s[2:3], 7, v32
	s_and_saveexec_b64 s[8:9], s[2:3]
; %bb.9:                                ;   in Loop: Header=BB37_1 Depth=1
	v_add_f64 v[24:25], v[24:25], v[26:27]
; %bb.10:                               ;   in Loop: Header=BB37_1 Depth=1
	s_or_b64 exec, exec, s[8:9]
	v_and_b32_e32 v32, 16, v31
	v_mov_b32_dpp v26, v24 row_bcast:15 row_mask:0xf bank_mask:0xf
	v_mov_b32_dpp v27, v25 row_bcast:15 row_mask:0xf bank_mask:0xf
	v_cmp_ne_u32_e64 s[2:3], 0, v32
	s_and_saveexec_b64 s[8:9], s[2:3]
; %bb.11:                               ;   in Loop: Header=BB37_1 Depth=1
	v_add_f64 v[24:25], v[24:25], v[26:27]
; %bb.12:                               ;   in Loop: Header=BB37_1 Depth=1
	s_or_b64 exec, exec, s[8:9]
	s_nop 0
	v_mov_b32_dpp v26, v24 row_bcast:31 row_mask:0xf bank_mask:0xf
	v_mov_b32_dpp v27, v25 row_bcast:31 row_mask:0xf bank_mask:0xf
	v_add_f64 v[26:27], v[24:25], v[26:27]
	v_add_u32_e32 v32, -1, v31
	v_and_b32_e32 v33, 64, v31
	v_cmp_lt_i32_e64 s[2:3], v32, v33
	v_cndmask_b32_e64 v32, v32, v31, s[2:3]
	v_cmp_lt_u32_e64 s[2:3], 31, v31
	v_cndmask_b32_e64 v25, v25, v27, s[2:3]
	v_cndmask_b32_e64 v24, v24, v26, s[2:3]
	v_lshlrev_b32_e32 v26, 2, v32
	ds_bpermute_b32 v24, v26, v24
	ds_bpermute_b32 v25, v26, v25
	s_waitcnt lgkmcnt(0)
	v_add_f64 v[4:5], v[4:5], v[24:25]
	v_cndmask_b32_e64 v5, v5, v19, s[0:1]
	v_cndmask_b32_e64 v4, v4, v18, s[0:1]
	v_add_f64 v[6:7], v[6:7], v[4:5]
	v_add_f64 v[0:1], v[0:1], v[6:7]
	;; [unrolled: 1-line block ×3, first 2 shown]
	ds_write2_b64 v30, v[4:5], v[6:7] offset1:1
	ds_write2_b64 v30, v[0:1], v[2:3] offset0:2 offset1:3
.LBB37_13:                              ;   in Loop: Header=BB37_1 Depth=1
	s_or_b64 exec, exec, s[6:7]
	s_waitcnt lgkmcnt(0)
	s_barrier
	s_and_saveexec_b64 s[2:3], s[4:5]
	s_cbranch_execz .LBB37_15
; %bb.14:                               ;   in Loop: Header=BB37_1 Depth=1
	ds_read_b64 v[0:1], v29
	s_waitcnt lgkmcnt(0)
	v_add_f64 v[14:15], v[14:15], v[0:1]
	v_add_f64 v[22:23], v[16:17], v[14:15]
	;; [unrolled: 1-line block ×3, first 2 shown]
.LBB37_15:                              ;   in Loop: Header=BB37_1 Depth=1
	s_or_b64 exec, exec, s[2:3]
	s_add_i32 s12, s12, -1
	s_cmp_lg_u32 s12, 0
	s_cbranch_scc0 .LBB37_17
; %bb.16:                               ;   in Loop: Header=BB37_1 Depth=1
	v_mov_b32_e32 v16, v22
	v_mov_b32_e32 v21, v19
	;; [unrolled: 1-line block ×4, first 2 shown]
	s_branch .LBB37_1
.LBB37_17:
	v_mov_b32_e32 v1, s11
	v_add_co_u32_e32 v0, vcc, s10, v8
	v_addc_co_u32_e32 v1, vcc, v1, v9, vcc
	global_store_dwordx2 v[0:1], v[14:15], off
	v_mov_b32_e32 v1, s11
	v_add_co_u32_e32 v0, vcc, s10, v10
	v_addc_co_u32_e32 v1, vcc, v1, v11, vcc
	global_store_dwordx2 v[0:1], v[22:23], off
	;; [unrolled: 4-line block ×3, first 2 shown]
	s_endpgm
	.section	.rodata,"a",@progbits
	.p2align	6, 0x0
	.amdhsa_kernel _Z6kernelI14inclusive_scanILN6hipcub18BlockScanAlgorithmE1EEdLj256ELj3ELj100EEvPKT0_PS4_S4_
		.amdhsa_group_segment_fixed_size 2112
		.amdhsa_private_segment_fixed_size 0
		.amdhsa_kernarg_size 280
		.amdhsa_user_sgpr_count 6
		.amdhsa_user_sgpr_private_segment_buffer 1
		.amdhsa_user_sgpr_dispatch_ptr 0
		.amdhsa_user_sgpr_queue_ptr 0
		.amdhsa_user_sgpr_kernarg_segment_ptr 1
		.amdhsa_user_sgpr_dispatch_id 0
		.amdhsa_user_sgpr_flat_scratch_init 0
		.amdhsa_user_sgpr_private_segment_size 0
		.amdhsa_uses_dynamic_stack 0
		.amdhsa_system_sgpr_private_segment_wavefront_offset 0
		.amdhsa_system_sgpr_workgroup_id_x 1
		.amdhsa_system_sgpr_workgroup_id_y 0
		.amdhsa_system_sgpr_workgroup_id_z 0
		.amdhsa_system_sgpr_workgroup_info 0
		.amdhsa_system_vgpr_workitem_id 0
		.amdhsa_next_free_vgpr 34
		.amdhsa_next_free_sgpr 13
		.amdhsa_reserve_vcc 1
		.amdhsa_reserve_flat_scratch 0
		.amdhsa_float_round_mode_32 0
		.amdhsa_float_round_mode_16_64 0
		.amdhsa_float_denorm_mode_32 3
		.amdhsa_float_denorm_mode_16_64 3
		.amdhsa_dx10_clamp 1
		.amdhsa_ieee_mode 1
		.amdhsa_fp16_overflow 0
		.amdhsa_exception_fp_ieee_invalid_op 0
		.amdhsa_exception_fp_denorm_src 0
		.amdhsa_exception_fp_ieee_div_zero 0
		.amdhsa_exception_fp_ieee_overflow 0
		.amdhsa_exception_fp_ieee_underflow 0
		.amdhsa_exception_fp_ieee_inexact 0
		.amdhsa_exception_int_div_zero 0
	.end_amdhsa_kernel
	.section	.text._Z6kernelI14inclusive_scanILN6hipcub18BlockScanAlgorithmE1EEdLj256ELj3ELj100EEvPKT0_PS4_S4_,"axG",@progbits,_Z6kernelI14inclusive_scanILN6hipcub18BlockScanAlgorithmE1EEdLj256ELj3ELj100EEvPKT0_PS4_S4_,comdat
.Lfunc_end37:
	.size	_Z6kernelI14inclusive_scanILN6hipcub18BlockScanAlgorithmE1EEdLj256ELj3ELj100EEvPKT0_PS4_S4_, .Lfunc_end37-_Z6kernelI14inclusive_scanILN6hipcub18BlockScanAlgorithmE1EEdLj256ELj3ELj100EEvPKT0_PS4_S4_
                                        ; -- End function
	.set _Z6kernelI14inclusive_scanILN6hipcub18BlockScanAlgorithmE1EEdLj256ELj3ELj100EEvPKT0_PS4_S4_.num_vgpr, 34
	.set _Z6kernelI14inclusive_scanILN6hipcub18BlockScanAlgorithmE1EEdLj256ELj3ELj100EEvPKT0_PS4_S4_.num_agpr, 0
	.set _Z6kernelI14inclusive_scanILN6hipcub18BlockScanAlgorithmE1EEdLj256ELj3ELj100EEvPKT0_PS4_S4_.numbered_sgpr, 13
	.set _Z6kernelI14inclusive_scanILN6hipcub18BlockScanAlgorithmE1EEdLj256ELj3ELj100EEvPKT0_PS4_S4_.num_named_barrier, 0
	.set _Z6kernelI14inclusive_scanILN6hipcub18BlockScanAlgorithmE1EEdLj256ELj3ELj100EEvPKT0_PS4_S4_.private_seg_size, 0
	.set _Z6kernelI14inclusive_scanILN6hipcub18BlockScanAlgorithmE1EEdLj256ELj3ELj100EEvPKT0_PS4_S4_.uses_vcc, 1
	.set _Z6kernelI14inclusive_scanILN6hipcub18BlockScanAlgorithmE1EEdLj256ELj3ELj100EEvPKT0_PS4_S4_.uses_flat_scratch, 0
	.set _Z6kernelI14inclusive_scanILN6hipcub18BlockScanAlgorithmE1EEdLj256ELj3ELj100EEvPKT0_PS4_S4_.has_dyn_sized_stack, 0
	.set _Z6kernelI14inclusive_scanILN6hipcub18BlockScanAlgorithmE1EEdLj256ELj3ELj100EEvPKT0_PS4_S4_.has_recursion, 0
	.set _Z6kernelI14inclusive_scanILN6hipcub18BlockScanAlgorithmE1EEdLj256ELj3ELj100EEvPKT0_PS4_S4_.has_indirect_call, 0
	.section	.AMDGPU.csdata,"",@progbits
; Kernel info:
; codeLenInByte = 872
; TotalNumSgprs: 17
; NumVgprs: 34
; ScratchSize: 0
; MemoryBound: 0
; FloatMode: 240
; IeeeMode: 1
; LDSByteSize: 2112 bytes/workgroup (compile time only)
; SGPRBlocks: 2
; VGPRBlocks: 8
; NumSGPRsForWavesPerEU: 17
; NumVGPRsForWavesPerEU: 34
; Occupancy: 7
; WaveLimiterHint : 0
; COMPUTE_PGM_RSRC2:SCRATCH_EN: 0
; COMPUTE_PGM_RSRC2:USER_SGPR: 6
; COMPUTE_PGM_RSRC2:TRAP_HANDLER: 0
; COMPUTE_PGM_RSRC2:TGID_X_EN: 1
; COMPUTE_PGM_RSRC2:TGID_Y_EN: 0
; COMPUTE_PGM_RSRC2:TGID_Z_EN: 0
; COMPUTE_PGM_RSRC2:TIDIG_COMP_CNT: 0
	.section	.text._Z6kernelI14inclusive_scanILN6hipcub18BlockScanAlgorithmE1EEdLj256ELj4ELj100EEvPKT0_PS4_S4_,"axG",@progbits,_Z6kernelI14inclusive_scanILN6hipcub18BlockScanAlgorithmE1EEdLj256ELj4ELj100EEvPKT0_PS4_S4_,comdat
	.protected	_Z6kernelI14inclusive_scanILN6hipcub18BlockScanAlgorithmE1EEdLj256ELj4ELj100EEvPKT0_PS4_S4_ ; -- Begin function _Z6kernelI14inclusive_scanILN6hipcub18BlockScanAlgorithmE1EEdLj256ELj4ELj100EEvPKT0_PS4_S4_
	.globl	_Z6kernelI14inclusive_scanILN6hipcub18BlockScanAlgorithmE1EEdLj256ELj4ELj100EEvPKT0_PS4_S4_
	.p2align	8
	.type	_Z6kernelI14inclusive_scanILN6hipcub18BlockScanAlgorithmE1EEdLj256ELj4ELj100EEvPKT0_PS4_S4_,@function
_Z6kernelI14inclusive_scanILN6hipcub18BlockScanAlgorithmE1EEdLj256ELj4ELj100EEvPKT0_PS4_S4_: ; @_Z6kernelI14inclusive_scanILN6hipcub18BlockScanAlgorithmE1EEdLj256ELj4ELj100EEvPKT0_PS4_S4_
; %bb.0:
	s_load_dword s0, s[4:5], 0x24
	s_load_dwordx4 s[8:11], s[4:5], 0x0
	v_mov_b32_e32 v2, 0
	v_lshlrev_b32_e32 v11, 5, v0
	s_movk_i32 s12, 0x64
	s_waitcnt lgkmcnt(0)
	s_and_b32 s0, s0, 0xffff
	s_mul_i32 s6, s6, s0
	v_add_lshl_u32 v1, s6, v0, 2
	v_lshlrev_b64 v[21:22], 3, v[1:2]
	v_mov_b32_e32 v1, s9
	v_add_co_u32_e32 v9, vcc, s8, v21
	v_addc_co_u32_e32 v10, vcc, v1, v22, vcc
	global_load_dwordx4 v[5:8], v[9:10], off offset:16
	global_load_dwordx4 v[1:4], v[9:10], off
	v_lshrrev_b32_e32 v9, 2, v0
	v_and_b32_e32 v9, 56, v9
	v_lshl_add_u32 v29, v0, 3, v9
	v_subrev_co_u32_e64 v9, s[0:1], 1, v0
	v_cmp_gt_u32_e32 vcc, 64, v0
	v_and_b32_e32 v10, 0xf8, v0
	v_lshrrev_b32_e32 v0, 2, v9
	v_and_b32_e32 v0, 0x3ffffff8, v0
	v_lshl_add_u32 v0, v9, 3, v0
	v_mbcnt_lo_u32_b32 v9, -1, 0
	s_xor_b64 s[4:5], s[0:1], -1
	v_add_u32_e32 v30, v10, v11
	v_mbcnt_hi_u32_b32 v31, -1, v9
.LBB38_1:                               ; =>This Inner Loop Header: Depth=1
	s_waitcnt vmcnt(0)
	v_add_f64 v[23:24], v[1:2], v[3:4]
	v_add_f64 v[9:10], v[5:6], v[23:24]
	v_add_f64 v[11:12], v[7:8], v[9:10]
	ds_write_b64 v29, v[11:12]
	s_waitcnt lgkmcnt(0)
	s_barrier
	s_and_saveexec_b64 s[6:7], vcc
	s_cbranch_execz .LBB38_13
; %bb.2:                                ;   in Loop: Header=BB38_1 Depth=1
	ds_read2_b64 v[17:20], v30 offset1:1
	ds_read2_b64 v[13:16], v30 offset0:2 offset1:3
	v_and_b32_e32 v32, 15, v31
	v_cmp_ne_u32_e64 s[2:3], 0, v32
	s_waitcnt lgkmcnt(1)
	v_add_f64 v[25:26], v[17:18], v[19:20]
	s_waitcnt lgkmcnt(0)
	v_add_f64 v[25:26], v[25:26], v[13:14]
	v_add_f64 v[25:26], v[25:26], v[15:16]
	s_nop 1
	v_mov_b32_dpp v27, v25 row_shr:1 row_mask:0xf bank_mask:0xf
	v_mov_b32_dpp v28, v26 row_shr:1 row_mask:0xf bank_mask:0xf
	s_and_saveexec_b64 s[8:9], s[2:3]
; %bb.3:                                ;   in Loop: Header=BB38_1 Depth=1
	v_add_f64 v[25:26], v[25:26], v[27:28]
; %bb.4:                                ;   in Loop: Header=BB38_1 Depth=1
	s_or_b64 exec, exec, s[8:9]
	s_nop 0
	v_mov_b32_dpp v27, v25 row_shr:2 row_mask:0xf bank_mask:0xf
	v_mov_b32_dpp v28, v26 row_shr:2 row_mask:0xf bank_mask:0xf
	v_cmp_lt_u32_e64 s[2:3], 1, v32
	s_and_saveexec_b64 s[8:9], s[2:3]
; %bb.5:                                ;   in Loop: Header=BB38_1 Depth=1
	v_add_f64 v[25:26], v[25:26], v[27:28]
; %bb.6:                                ;   in Loop: Header=BB38_1 Depth=1
	s_or_b64 exec, exec, s[8:9]
	s_nop 0
	v_mov_b32_dpp v27, v25 row_shr:4 row_mask:0xf bank_mask:0xf
	v_mov_b32_dpp v28, v26 row_shr:4 row_mask:0xf bank_mask:0xf
	v_cmp_lt_u32_e64 s[2:3], 3, v32
	;; [unrolled: 9-line block ×3, first 2 shown]
	s_and_saveexec_b64 s[8:9], s[2:3]
; %bb.9:                                ;   in Loop: Header=BB38_1 Depth=1
	v_add_f64 v[25:26], v[25:26], v[27:28]
; %bb.10:                               ;   in Loop: Header=BB38_1 Depth=1
	s_or_b64 exec, exec, s[8:9]
	v_and_b32_e32 v32, 16, v31
	v_mov_b32_dpp v27, v25 row_bcast:15 row_mask:0xf bank_mask:0xf
	v_mov_b32_dpp v28, v26 row_bcast:15 row_mask:0xf bank_mask:0xf
	v_cmp_ne_u32_e64 s[2:3], 0, v32
	s_and_saveexec_b64 s[8:9], s[2:3]
; %bb.11:                               ;   in Loop: Header=BB38_1 Depth=1
	v_add_f64 v[25:26], v[25:26], v[27:28]
; %bb.12:                               ;   in Loop: Header=BB38_1 Depth=1
	s_or_b64 exec, exec, s[8:9]
	s_nop 0
	v_mov_b32_dpp v27, v25 row_bcast:31 row_mask:0xf bank_mask:0xf
	v_mov_b32_dpp v28, v26 row_bcast:31 row_mask:0xf bank_mask:0xf
	v_add_f64 v[27:28], v[25:26], v[27:28]
	v_add_u32_e32 v32, -1, v31
	v_and_b32_e32 v33, 64, v31
	v_cmp_lt_i32_e64 s[2:3], v32, v33
	v_cndmask_b32_e64 v32, v32, v31, s[2:3]
	v_cmp_lt_u32_e64 s[2:3], 31, v31
	v_cndmask_b32_e64 v26, v26, v28, s[2:3]
	v_cndmask_b32_e64 v25, v25, v27, s[2:3]
	v_lshlrev_b32_e32 v27, 2, v32
	ds_bpermute_b32 v25, v27, v25
	ds_bpermute_b32 v26, v27, v26
	s_waitcnt lgkmcnt(0)
	v_add_f64 v[17:18], v[17:18], v[25:26]
	v_cndmask_b32_e64 v18, v18, v12, s[0:1]
	v_cndmask_b32_e64 v17, v17, v11, s[0:1]
	v_add_f64 v[19:20], v[19:20], v[17:18]
	v_add_f64 v[13:14], v[13:14], v[19:20]
	;; [unrolled: 1-line block ×3, first 2 shown]
	ds_write2_b64 v30, v[17:18], v[19:20] offset1:1
	ds_write2_b64 v30, v[13:14], v[15:16] offset0:2 offset1:3
.LBB38_13:                              ;   in Loop: Header=BB38_1 Depth=1
	s_or_b64 exec, exec, s[6:7]
	s_waitcnt lgkmcnt(0)
	s_barrier
	s_and_saveexec_b64 s[2:3], s[4:5]
	s_cbranch_execz .LBB38_15
; %bb.14:                               ;   in Loop: Header=BB38_1 Depth=1
	ds_read_b64 v[9:10], v0
	s_waitcnt lgkmcnt(0)
	v_add_f64 v[1:2], v[1:2], v[9:10]
	v_add_f64 v[23:24], v[3:4], v[1:2]
	;; [unrolled: 1-line block ×4, first 2 shown]
.LBB38_15:                              ;   in Loop: Header=BB38_1 Depth=1
	s_or_b64 exec, exec, s[2:3]
	s_add_i32 s12, s12, -1
	s_cmp_lg_u32 s12, 0
	s_cbranch_scc0 .LBB38_17
; %bb.16:                               ;   in Loop: Header=BB38_1 Depth=1
	v_mov_b32_e32 v3, v23
	v_mov_b32_e32 v5, v9
	;; [unrolled: 1-line block ×6, first 2 shown]
	s_branch .LBB38_1
.LBB38_17:
	v_mov_b32_e32 v0, s11
	v_add_co_u32_e32 v5, vcc, s10, v21
	v_addc_co_u32_e32 v6, vcc, v0, v22, vcc
	v_mov_b32_e32 v3, v23
	v_mov_b32_e32 v4, v24
	global_store_dwordx4 v[5:6], v[1:4], off
	global_store_dwordx4 v[5:6], v[9:12], off offset:16
	s_endpgm
	.section	.rodata,"a",@progbits
	.p2align	6, 0x0
	.amdhsa_kernel _Z6kernelI14inclusive_scanILN6hipcub18BlockScanAlgorithmE1EEdLj256ELj4ELj100EEvPKT0_PS4_S4_
		.amdhsa_group_segment_fixed_size 2112
		.amdhsa_private_segment_fixed_size 0
		.amdhsa_kernarg_size 280
		.amdhsa_user_sgpr_count 6
		.amdhsa_user_sgpr_private_segment_buffer 1
		.amdhsa_user_sgpr_dispatch_ptr 0
		.amdhsa_user_sgpr_queue_ptr 0
		.amdhsa_user_sgpr_kernarg_segment_ptr 1
		.amdhsa_user_sgpr_dispatch_id 0
		.amdhsa_user_sgpr_flat_scratch_init 0
		.amdhsa_user_sgpr_private_segment_size 0
		.amdhsa_uses_dynamic_stack 0
		.amdhsa_system_sgpr_private_segment_wavefront_offset 0
		.amdhsa_system_sgpr_workgroup_id_x 1
		.amdhsa_system_sgpr_workgroup_id_y 0
		.amdhsa_system_sgpr_workgroup_id_z 0
		.amdhsa_system_sgpr_workgroup_info 0
		.amdhsa_system_vgpr_workitem_id 0
		.amdhsa_next_free_vgpr 34
		.amdhsa_next_free_sgpr 13
		.amdhsa_reserve_vcc 1
		.amdhsa_reserve_flat_scratch 0
		.amdhsa_float_round_mode_32 0
		.amdhsa_float_round_mode_16_64 0
		.amdhsa_float_denorm_mode_32 3
		.amdhsa_float_denorm_mode_16_64 3
		.amdhsa_dx10_clamp 1
		.amdhsa_ieee_mode 1
		.amdhsa_fp16_overflow 0
		.amdhsa_exception_fp_ieee_invalid_op 0
		.amdhsa_exception_fp_denorm_src 0
		.amdhsa_exception_fp_ieee_div_zero 0
		.amdhsa_exception_fp_ieee_overflow 0
		.amdhsa_exception_fp_ieee_underflow 0
		.amdhsa_exception_fp_ieee_inexact 0
		.amdhsa_exception_int_div_zero 0
	.end_amdhsa_kernel
	.section	.text._Z6kernelI14inclusive_scanILN6hipcub18BlockScanAlgorithmE1EEdLj256ELj4ELj100EEvPKT0_PS4_S4_,"axG",@progbits,_Z6kernelI14inclusive_scanILN6hipcub18BlockScanAlgorithmE1EEdLj256ELj4ELj100EEvPKT0_PS4_S4_,comdat
.Lfunc_end38:
	.size	_Z6kernelI14inclusive_scanILN6hipcub18BlockScanAlgorithmE1EEdLj256ELj4ELj100EEvPKT0_PS4_S4_, .Lfunc_end38-_Z6kernelI14inclusive_scanILN6hipcub18BlockScanAlgorithmE1EEdLj256ELj4ELj100EEvPKT0_PS4_S4_
                                        ; -- End function
	.set _Z6kernelI14inclusive_scanILN6hipcub18BlockScanAlgorithmE1EEdLj256ELj4ELj100EEvPKT0_PS4_S4_.num_vgpr, 34
	.set _Z6kernelI14inclusive_scanILN6hipcub18BlockScanAlgorithmE1EEdLj256ELj4ELj100EEvPKT0_PS4_S4_.num_agpr, 0
	.set _Z6kernelI14inclusive_scanILN6hipcub18BlockScanAlgorithmE1EEdLj256ELj4ELj100EEvPKT0_PS4_S4_.numbered_sgpr, 13
	.set _Z6kernelI14inclusive_scanILN6hipcub18BlockScanAlgorithmE1EEdLj256ELj4ELj100EEvPKT0_PS4_S4_.num_named_barrier, 0
	.set _Z6kernelI14inclusive_scanILN6hipcub18BlockScanAlgorithmE1EEdLj256ELj4ELj100EEvPKT0_PS4_S4_.private_seg_size, 0
	.set _Z6kernelI14inclusive_scanILN6hipcub18BlockScanAlgorithmE1EEdLj256ELj4ELj100EEvPKT0_PS4_S4_.uses_vcc, 1
	.set _Z6kernelI14inclusive_scanILN6hipcub18BlockScanAlgorithmE1EEdLj256ELj4ELj100EEvPKT0_PS4_S4_.uses_flat_scratch, 0
	.set _Z6kernelI14inclusive_scanILN6hipcub18BlockScanAlgorithmE1EEdLj256ELj4ELj100EEvPKT0_PS4_S4_.has_dyn_sized_stack, 0
	.set _Z6kernelI14inclusive_scanILN6hipcub18BlockScanAlgorithmE1EEdLj256ELj4ELj100EEvPKT0_PS4_S4_.has_recursion, 0
	.set _Z6kernelI14inclusive_scanILN6hipcub18BlockScanAlgorithmE1EEdLj256ELj4ELj100EEvPKT0_PS4_S4_.has_indirect_call, 0
	.section	.AMDGPU.csdata,"",@progbits
; Kernel info:
; codeLenInByte = 804
; TotalNumSgprs: 17
; NumVgprs: 34
; ScratchSize: 0
; MemoryBound: 0
; FloatMode: 240
; IeeeMode: 1
; LDSByteSize: 2112 bytes/workgroup (compile time only)
; SGPRBlocks: 2
; VGPRBlocks: 8
; NumSGPRsForWavesPerEU: 17
; NumVGPRsForWavesPerEU: 34
; Occupancy: 7
; WaveLimiterHint : 0
; COMPUTE_PGM_RSRC2:SCRATCH_EN: 0
; COMPUTE_PGM_RSRC2:USER_SGPR: 6
; COMPUTE_PGM_RSRC2:TRAP_HANDLER: 0
; COMPUTE_PGM_RSRC2:TGID_X_EN: 1
; COMPUTE_PGM_RSRC2:TGID_Y_EN: 0
; COMPUTE_PGM_RSRC2:TGID_Z_EN: 0
; COMPUTE_PGM_RSRC2:TIDIG_COMP_CNT: 0
	.section	.text._Z6kernelI14inclusive_scanILN6hipcub18BlockScanAlgorithmE1EEdLj256ELj8ELj100EEvPKT0_PS4_S4_,"axG",@progbits,_Z6kernelI14inclusive_scanILN6hipcub18BlockScanAlgorithmE1EEdLj256ELj8ELj100EEvPKT0_PS4_S4_,comdat
	.protected	_Z6kernelI14inclusive_scanILN6hipcub18BlockScanAlgorithmE1EEdLj256ELj8ELj100EEvPKT0_PS4_S4_ ; -- Begin function _Z6kernelI14inclusive_scanILN6hipcub18BlockScanAlgorithmE1EEdLj256ELj8ELj100EEvPKT0_PS4_S4_
	.globl	_Z6kernelI14inclusive_scanILN6hipcub18BlockScanAlgorithmE1EEdLj256ELj8ELj100EEvPKT0_PS4_S4_
	.p2align	8
	.type	_Z6kernelI14inclusive_scanILN6hipcub18BlockScanAlgorithmE1EEdLj256ELj8ELj100EEvPKT0_PS4_S4_,@function
_Z6kernelI14inclusive_scanILN6hipcub18BlockScanAlgorithmE1EEdLj256ELj8ELj100EEvPKT0_PS4_S4_: ; @_Z6kernelI14inclusive_scanILN6hipcub18BlockScanAlgorithmE1EEdLj256ELj8ELj100EEvPKT0_PS4_S4_
; %bb.0:
	s_load_dword s0, s[4:5], 0x24
	s_load_dwordx4 s[8:11], s[4:5], 0x0
	v_mov_b32_e32 v2, 0
	v_lshlrev_b32_e32 v15, 5, v0
	s_movk_i32 s12, 0x64
	s_waitcnt lgkmcnt(0)
	s_and_b32 s0, s0, 0xffff
	s_mul_i32 s6, s6, s0
	v_add_lshl_u32 v1, s6, v0, 3
	v_lshlrev_b64 v[37:38], 3, v[1:2]
	v_mov_b32_e32 v1, s9
	v_add_co_u32_e32 v13, vcc, s8, v37
	v_addc_co_u32_e32 v14, vcc, v1, v38, vcc
	global_load_dwordx4 v[1:4], v[13:14], off offset:48
	global_load_dwordx4 v[5:8], v[13:14], off offset:32
	;; [unrolled: 1-line block ×3, first 2 shown]
	global_load_dwordx4 v[9:12], v[13:14], off
	v_lshrrev_b32_e32 v13, 2, v0
	v_and_b32_e32 v13, 56, v13
	v_lshl_add_u32 v45, v0, 3, v13
	v_subrev_co_u32_e64 v13, s[0:1], 1, v0
	v_cmp_gt_u32_e32 vcc, 64, v0
	v_and_b32_e32 v14, 0xf8, v0
	v_lshrrev_b32_e32 v0, 2, v13
	v_and_b32_e32 v0, 0x3ffffff8, v0
	v_lshl_add_u32 v0, v13, 3, v0
	v_mbcnt_lo_u32_b32 v13, -1, 0
	s_xor_b64 s[4:5], s[0:1], -1
	v_add_u32_e32 v46, v14, v15
	v_mbcnt_hi_u32_b32 v47, -1, v13
.LBB39_1:                               ; =>This Inner Loop Header: Depth=1
	s_waitcnt vmcnt(0)
	v_add_f64 v[39:40], v[11:12], v[9:10]
	v_add_f64 v[13:14], v[25:26], v[39:40]
	v_add_f64 v[15:16], v[27:28], v[13:14]
	v_add_f64 v[17:18], v[5:6], v[15:16]
	v_add_f64 v[19:20], v[7:8], v[17:18]
	v_add_f64 v[21:22], v[1:2], v[19:20]
	v_add_f64 v[23:24], v[3:4], v[21:22]
	ds_write_b64 v45, v[23:24]
	s_waitcnt lgkmcnt(0)
	s_barrier
	s_and_saveexec_b64 s[6:7], vcc
	s_cbranch_execz .LBB39_13
; %bb.2:                                ;   in Loop: Header=BB39_1 Depth=1
	ds_read2_b64 v[29:32], v46 offset1:1
	ds_read2_b64 v[33:36], v46 offset0:2 offset1:3
	v_and_b32_e32 v48, 15, v47
	v_cmp_ne_u32_e64 s[2:3], 0, v48
	s_waitcnt lgkmcnt(1)
	v_add_f64 v[41:42], v[29:30], v[31:32]
	s_waitcnt lgkmcnt(0)
	v_add_f64 v[41:42], v[41:42], v[33:34]
	v_add_f64 v[41:42], v[41:42], v[35:36]
	s_nop 1
	v_mov_b32_dpp v43, v41 row_shr:1 row_mask:0xf bank_mask:0xf
	v_mov_b32_dpp v44, v42 row_shr:1 row_mask:0xf bank_mask:0xf
	s_and_saveexec_b64 s[8:9], s[2:3]
; %bb.3:                                ;   in Loop: Header=BB39_1 Depth=1
	v_add_f64 v[41:42], v[41:42], v[43:44]
; %bb.4:                                ;   in Loop: Header=BB39_1 Depth=1
	s_or_b64 exec, exec, s[8:9]
	s_nop 0
	v_mov_b32_dpp v43, v41 row_shr:2 row_mask:0xf bank_mask:0xf
	v_mov_b32_dpp v44, v42 row_shr:2 row_mask:0xf bank_mask:0xf
	v_cmp_lt_u32_e64 s[2:3], 1, v48
	s_and_saveexec_b64 s[8:9], s[2:3]
; %bb.5:                                ;   in Loop: Header=BB39_1 Depth=1
	v_add_f64 v[41:42], v[41:42], v[43:44]
; %bb.6:                                ;   in Loop: Header=BB39_1 Depth=1
	s_or_b64 exec, exec, s[8:9]
	s_nop 0
	v_mov_b32_dpp v43, v41 row_shr:4 row_mask:0xf bank_mask:0xf
	v_mov_b32_dpp v44, v42 row_shr:4 row_mask:0xf bank_mask:0xf
	v_cmp_lt_u32_e64 s[2:3], 3, v48
	;; [unrolled: 9-line block ×3, first 2 shown]
	s_and_saveexec_b64 s[8:9], s[2:3]
; %bb.9:                                ;   in Loop: Header=BB39_1 Depth=1
	v_add_f64 v[41:42], v[41:42], v[43:44]
; %bb.10:                               ;   in Loop: Header=BB39_1 Depth=1
	s_or_b64 exec, exec, s[8:9]
	v_and_b32_e32 v48, 16, v47
	v_mov_b32_dpp v43, v41 row_bcast:15 row_mask:0xf bank_mask:0xf
	v_mov_b32_dpp v44, v42 row_bcast:15 row_mask:0xf bank_mask:0xf
	v_cmp_ne_u32_e64 s[2:3], 0, v48
	s_and_saveexec_b64 s[8:9], s[2:3]
; %bb.11:                               ;   in Loop: Header=BB39_1 Depth=1
	v_add_f64 v[41:42], v[41:42], v[43:44]
; %bb.12:                               ;   in Loop: Header=BB39_1 Depth=1
	s_or_b64 exec, exec, s[8:9]
	s_nop 0
	v_mov_b32_dpp v43, v41 row_bcast:31 row_mask:0xf bank_mask:0xf
	v_mov_b32_dpp v44, v42 row_bcast:31 row_mask:0xf bank_mask:0xf
	v_add_f64 v[43:44], v[41:42], v[43:44]
	v_add_u32_e32 v48, -1, v47
	v_and_b32_e32 v49, 64, v47
	v_cmp_lt_i32_e64 s[2:3], v48, v49
	v_cndmask_b32_e64 v48, v48, v47, s[2:3]
	v_cmp_lt_u32_e64 s[2:3], 31, v47
	v_cndmask_b32_e64 v42, v42, v44, s[2:3]
	v_cndmask_b32_e64 v41, v41, v43, s[2:3]
	v_lshlrev_b32_e32 v43, 2, v48
	ds_bpermute_b32 v41, v43, v41
	ds_bpermute_b32 v42, v43, v42
	s_waitcnt lgkmcnt(0)
	v_add_f64 v[29:30], v[29:30], v[41:42]
	v_cndmask_b32_e64 v30, v30, v24, s[0:1]
	v_cndmask_b32_e64 v29, v29, v23, s[0:1]
	v_add_f64 v[31:32], v[31:32], v[29:30]
	v_add_f64 v[33:34], v[33:34], v[31:32]
	;; [unrolled: 1-line block ×3, first 2 shown]
	ds_write2_b64 v46, v[29:30], v[31:32] offset1:1
	ds_write2_b64 v46, v[33:34], v[35:36] offset0:2 offset1:3
.LBB39_13:                              ;   in Loop: Header=BB39_1 Depth=1
	s_or_b64 exec, exec, s[6:7]
	s_waitcnt lgkmcnt(0)
	s_barrier
	s_and_saveexec_b64 s[2:3], s[4:5]
	s_cbranch_execz .LBB39_15
; %bb.14:                               ;   in Loop: Header=BB39_1 Depth=1
	ds_read_b64 v[13:14], v0
	s_waitcnt lgkmcnt(0)
	v_add_f64 v[9:10], v[9:10], v[13:14]
	v_add_f64 v[39:40], v[11:12], v[9:10]
	;; [unrolled: 1-line block ×8, first 2 shown]
.LBB39_15:                              ;   in Loop: Header=BB39_1 Depth=1
	s_or_b64 exec, exec, s[2:3]
	s_add_i32 s12, s12, -1
	s_cmp_lg_u32 s12, 0
	s_cbranch_scc0 .LBB39_17
; %bb.16:                               ;   in Loop: Header=BB39_1 Depth=1
	v_mov_b32_e32 v3, v23
	v_mov_b32_e32 v1, v21
	;; [unrolled: 1-line block ×14, first 2 shown]
	s_branch .LBB39_1
.LBB39_17:
	v_mov_b32_e32 v1, s11
	v_add_co_u32_e32 v0, vcc, s10, v37
	v_addc_co_u32_e32 v1, vcc, v1, v38, vcc
	v_mov_b32_e32 v11, v39
	v_mov_b32_e32 v12, v40
	global_store_dwordx4 v[0:1], v[9:12], off
	global_store_dwordx4 v[0:1], v[13:16], off offset:16
	global_store_dwordx4 v[0:1], v[17:20], off offset:32
	;; [unrolled: 1-line block ×3, first 2 shown]
	s_endpgm
	.section	.rodata,"a",@progbits
	.p2align	6, 0x0
	.amdhsa_kernel _Z6kernelI14inclusive_scanILN6hipcub18BlockScanAlgorithmE1EEdLj256ELj8ELj100EEvPKT0_PS4_S4_
		.amdhsa_group_segment_fixed_size 2112
		.amdhsa_private_segment_fixed_size 0
		.amdhsa_kernarg_size 280
		.amdhsa_user_sgpr_count 6
		.amdhsa_user_sgpr_private_segment_buffer 1
		.amdhsa_user_sgpr_dispatch_ptr 0
		.amdhsa_user_sgpr_queue_ptr 0
		.amdhsa_user_sgpr_kernarg_segment_ptr 1
		.amdhsa_user_sgpr_dispatch_id 0
		.amdhsa_user_sgpr_flat_scratch_init 0
		.amdhsa_user_sgpr_private_segment_size 0
		.amdhsa_uses_dynamic_stack 0
		.amdhsa_system_sgpr_private_segment_wavefront_offset 0
		.amdhsa_system_sgpr_workgroup_id_x 1
		.amdhsa_system_sgpr_workgroup_id_y 0
		.amdhsa_system_sgpr_workgroup_id_z 0
		.amdhsa_system_sgpr_workgroup_info 0
		.amdhsa_system_vgpr_workitem_id 0
		.amdhsa_next_free_vgpr 50
		.amdhsa_next_free_sgpr 13
		.amdhsa_reserve_vcc 1
		.amdhsa_reserve_flat_scratch 0
		.amdhsa_float_round_mode_32 0
		.amdhsa_float_round_mode_16_64 0
		.amdhsa_float_denorm_mode_32 3
		.amdhsa_float_denorm_mode_16_64 3
		.amdhsa_dx10_clamp 1
		.amdhsa_ieee_mode 1
		.amdhsa_fp16_overflow 0
		.amdhsa_exception_fp_ieee_invalid_op 0
		.amdhsa_exception_fp_denorm_src 0
		.amdhsa_exception_fp_ieee_div_zero 0
		.amdhsa_exception_fp_ieee_overflow 0
		.amdhsa_exception_fp_ieee_underflow 0
		.amdhsa_exception_fp_ieee_inexact 0
		.amdhsa_exception_int_div_zero 0
	.end_amdhsa_kernel
	.section	.text._Z6kernelI14inclusive_scanILN6hipcub18BlockScanAlgorithmE1EEdLj256ELj8ELj100EEvPKT0_PS4_S4_,"axG",@progbits,_Z6kernelI14inclusive_scanILN6hipcub18BlockScanAlgorithmE1EEdLj256ELj8ELj100EEvPKT0_PS4_S4_,comdat
.Lfunc_end39:
	.size	_Z6kernelI14inclusive_scanILN6hipcub18BlockScanAlgorithmE1EEdLj256ELj8ELj100EEvPKT0_PS4_S4_, .Lfunc_end39-_Z6kernelI14inclusive_scanILN6hipcub18BlockScanAlgorithmE1EEdLj256ELj8ELj100EEvPKT0_PS4_S4_
                                        ; -- End function
	.set _Z6kernelI14inclusive_scanILN6hipcub18BlockScanAlgorithmE1EEdLj256ELj8ELj100EEvPKT0_PS4_S4_.num_vgpr, 50
	.set _Z6kernelI14inclusive_scanILN6hipcub18BlockScanAlgorithmE1EEdLj256ELj8ELj100EEvPKT0_PS4_S4_.num_agpr, 0
	.set _Z6kernelI14inclusive_scanILN6hipcub18BlockScanAlgorithmE1EEdLj256ELj8ELj100EEvPKT0_PS4_S4_.numbered_sgpr, 13
	.set _Z6kernelI14inclusive_scanILN6hipcub18BlockScanAlgorithmE1EEdLj256ELj8ELj100EEvPKT0_PS4_S4_.num_named_barrier, 0
	.set _Z6kernelI14inclusive_scanILN6hipcub18BlockScanAlgorithmE1EEdLj256ELj8ELj100EEvPKT0_PS4_S4_.private_seg_size, 0
	.set _Z6kernelI14inclusive_scanILN6hipcub18BlockScanAlgorithmE1EEdLj256ELj8ELj100EEvPKT0_PS4_S4_.uses_vcc, 1
	.set _Z6kernelI14inclusive_scanILN6hipcub18BlockScanAlgorithmE1EEdLj256ELj8ELj100EEvPKT0_PS4_S4_.uses_flat_scratch, 0
	.set _Z6kernelI14inclusive_scanILN6hipcub18BlockScanAlgorithmE1EEdLj256ELj8ELj100EEvPKT0_PS4_S4_.has_dyn_sized_stack, 0
	.set _Z6kernelI14inclusive_scanILN6hipcub18BlockScanAlgorithmE1EEdLj256ELj8ELj100EEvPKT0_PS4_S4_.has_recursion, 0
	.set _Z6kernelI14inclusive_scanILN6hipcub18BlockScanAlgorithmE1EEdLj256ELj8ELj100EEvPKT0_PS4_S4_.has_indirect_call, 0
	.section	.AMDGPU.csdata,"",@progbits
; Kernel info:
; codeLenInByte = 932
; TotalNumSgprs: 17
; NumVgprs: 50
; ScratchSize: 0
; MemoryBound: 0
; FloatMode: 240
; IeeeMode: 1
; LDSByteSize: 2112 bytes/workgroup (compile time only)
; SGPRBlocks: 2
; VGPRBlocks: 12
; NumSGPRsForWavesPerEU: 17
; NumVGPRsForWavesPerEU: 50
; Occupancy: 4
; WaveLimiterHint : 0
; COMPUTE_PGM_RSRC2:SCRATCH_EN: 0
; COMPUTE_PGM_RSRC2:USER_SGPR: 6
; COMPUTE_PGM_RSRC2:TRAP_HANDLER: 0
; COMPUTE_PGM_RSRC2:TGID_X_EN: 1
; COMPUTE_PGM_RSRC2:TGID_Y_EN: 0
; COMPUTE_PGM_RSRC2:TGID_Z_EN: 0
; COMPUTE_PGM_RSRC2:TIDIG_COMP_CNT: 0
	.section	.text._Z6kernelI14inclusive_scanILN6hipcub18BlockScanAlgorithmE1EEdLj256ELj11ELj100EEvPKT0_PS4_S4_,"axG",@progbits,_Z6kernelI14inclusive_scanILN6hipcub18BlockScanAlgorithmE1EEdLj256ELj11ELj100EEvPKT0_PS4_S4_,comdat
	.protected	_Z6kernelI14inclusive_scanILN6hipcub18BlockScanAlgorithmE1EEdLj256ELj11ELj100EEvPKT0_PS4_S4_ ; -- Begin function _Z6kernelI14inclusive_scanILN6hipcub18BlockScanAlgorithmE1EEdLj256ELj11ELj100EEvPKT0_PS4_S4_
	.globl	_Z6kernelI14inclusive_scanILN6hipcub18BlockScanAlgorithmE1EEdLj256ELj11ELj100EEvPKT0_PS4_S4_
	.p2align	8
	.type	_Z6kernelI14inclusive_scanILN6hipcub18BlockScanAlgorithmE1EEdLj256ELj11ELj100EEvPKT0_PS4_S4_,@function
_Z6kernelI14inclusive_scanILN6hipcub18BlockScanAlgorithmE1EEdLj256ELj11ELj100EEvPKT0_PS4_S4_: ; @_Z6kernelI14inclusive_scanILN6hipcub18BlockScanAlgorithmE1EEdLj256ELj11ELj100EEvPKT0_PS4_S4_
; %bb.0:
	s_load_dword s0, s[4:5], 0x24
	s_load_dwordx4 s[8:11], s[4:5], 0x0
	v_mov_b32_e32 v2, 0
	v_mov_b32_e32 v6, v2
	;; [unrolled: 1-line block ×3, first 2 shown]
	s_waitcnt lgkmcnt(0)
	s_and_b32 s0, s0, 0xffff
	s_mul_i32 s6, s6, s0
	v_add_u32_e32 v1, s6, v0
	v_mul_lo_u32 v1, v1, 11
	v_mov_b32_e32 v4, s9
	v_mov_b32_e32 v15, v2
	;; [unrolled: 1-line block ×3, first 2 shown]
	v_lshlrev_b64 v[8:9], 3, v[1:2]
	v_add_u32_e32 v5, 1, v1
	v_add_co_u32_e32 v3, vcc, s8, v8
	v_lshlrev_b64 v[10:11], 3, v[5:6]
	v_addc_co_u32_e32 v4, vcc, v4, v9, vcc
	v_add_u32_e32 v12, 2, v1
	v_mov_b32_e32 v6, s9
	v_add_co_u32_e32 v5, vcc, s8, v10
	v_lshlrev_b64 v[12:13], 3, v[12:13]
	v_addc_co_u32_e32 v6, vcc, v6, v11, vcc
	v_add_u32_e32 v14, 3, v1
	v_add_co_u32_e32 v32, vcc, s8, v12
	v_lshlrev_b64 v[14:15], 3, v[14:15]
	v_addc_co_u32_e32 v33, vcc, v7, v13, vcc
	v_add_u32_e32 v16, 4, v1
	v_mov_b32_e32 v17, v2
	v_add_co_u32_e32 v34, vcc, s8, v14
	v_lshlrev_b64 v[16:17], 3, v[16:17]
	v_addc_co_u32_e32 v35, vcc, v7, v15, vcc
	v_add_u32_e32 v18, 5, v1
	v_mov_b32_e32 v19, v2
	;; [unrolled: 5-line block ×6, first 2 shown]
	v_add_co_u32_e32 v48, vcc, s8, v24
	v_lshlrev_b64 v[26:27], 3, v[26:27]
	v_addc_co_u32_e32 v49, vcc, v7, v25, vcc
	v_add_u32_e32 v1, 10, v1
	v_add_co_u32_e32 v58, vcc, s8, v26
	v_lshlrev_b64 v[28:29], 3, v[1:2]
	v_addc_co_u32_e32 v59, vcc, v7, v27, vcc
	v_mov_b32_e32 v2, s9
	v_add_co_u32_e32 v1, vcc, s8, v28
	v_addc_co_u32_e32 v2, vcc, v2, v29, vcc
	global_load_dwordx2 v[30:31], v[3:4], off
	global_load_dwordx2 v[66:67], v[5:6], off
	;; [unrolled: 1-line block ×11, first 2 shown]
	v_subrev_co_u32_e32 v1, vcc, 1, v0
	v_lshrrev_b32_e32 v2, 2, v1
	v_and_b32_e32 v2, 0x3ffffff8, v2
	v_lshl_add_u32 v76, v1, 3, v2
	v_lshrrev_b32_e32 v1, 2, v0
	v_and_b32_e32 v1, 56, v1
	v_lshl_add_u32 v77, v0, 3, v1
	v_cmp_gt_u32_e64 s[0:1], 64, v0
	v_and_b32_e32 v1, 0xf8, v0
	v_lshlrev_b32_e32 v0, 5, v0
	v_add_u32_e32 v78, v1, v0
	v_mbcnt_lo_u32_b32 v0, -1, 0
	s_xor_b64 s[4:5], vcc, -1
	s_movk_i32 s12, 0x64
	v_mbcnt_hi_u32_b32 v79, -1, v0
.LBB40_1:                               ; =>This Inner Loop Header: Depth=1
	s_waitcnt vmcnt(9)
	v_add_f64 v[70:71], v[66:67], v[30:31]
	s_waitcnt vmcnt(8)
	v_add_f64 v[68:69], v[64:65], v[70:71]
	;; [unrolled: 2-line block ×10, first 2 shown]
	ds_write_b64 v77, v[32:33]
	s_waitcnt lgkmcnt(0)
	s_barrier
	s_and_saveexec_b64 s[6:7], s[0:1]
	s_cbranch_execz .LBB40_13
; %bb.2:                                ;   in Loop: Header=BB40_1 Depth=1
	ds_read2_b64 v[4:7], v78 offset1:1
	ds_read2_b64 v[0:3], v78 offset0:2 offset1:3
	v_and_b32_e32 v80, 15, v79
	v_cmp_ne_u32_e64 s[2:3], 0, v80
	s_waitcnt lgkmcnt(1)
	v_add_f64 v[72:73], v[4:5], v[6:7]
	s_waitcnt lgkmcnt(0)
	v_add_f64 v[72:73], v[72:73], v[0:1]
	v_add_f64 v[72:73], v[72:73], v[2:3]
	s_nop 1
	v_mov_b32_dpp v74, v72 row_shr:1 row_mask:0xf bank_mask:0xf
	v_mov_b32_dpp v75, v73 row_shr:1 row_mask:0xf bank_mask:0xf
	s_and_saveexec_b64 s[8:9], s[2:3]
; %bb.3:                                ;   in Loop: Header=BB40_1 Depth=1
	v_add_f64 v[72:73], v[72:73], v[74:75]
; %bb.4:                                ;   in Loop: Header=BB40_1 Depth=1
	s_or_b64 exec, exec, s[8:9]
	s_nop 0
	v_mov_b32_dpp v74, v72 row_shr:2 row_mask:0xf bank_mask:0xf
	v_mov_b32_dpp v75, v73 row_shr:2 row_mask:0xf bank_mask:0xf
	v_cmp_lt_u32_e64 s[2:3], 1, v80
	s_and_saveexec_b64 s[8:9], s[2:3]
; %bb.5:                                ;   in Loop: Header=BB40_1 Depth=1
	v_add_f64 v[72:73], v[72:73], v[74:75]
; %bb.6:                                ;   in Loop: Header=BB40_1 Depth=1
	s_or_b64 exec, exec, s[8:9]
	s_nop 0
	v_mov_b32_dpp v74, v72 row_shr:4 row_mask:0xf bank_mask:0xf
	v_mov_b32_dpp v75, v73 row_shr:4 row_mask:0xf bank_mask:0xf
	v_cmp_lt_u32_e64 s[2:3], 3, v80
	;; [unrolled: 9-line block ×3, first 2 shown]
	s_and_saveexec_b64 s[8:9], s[2:3]
; %bb.9:                                ;   in Loop: Header=BB40_1 Depth=1
	v_add_f64 v[72:73], v[72:73], v[74:75]
; %bb.10:                               ;   in Loop: Header=BB40_1 Depth=1
	s_or_b64 exec, exec, s[8:9]
	v_and_b32_e32 v80, 16, v79
	v_mov_b32_dpp v74, v72 row_bcast:15 row_mask:0xf bank_mask:0xf
	v_mov_b32_dpp v75, v73 row_bcast:15 row_mask:0xf bank_mask:0xf
	v_cmp_ne_u32_e64 s[2:3], 0, v80
	s_and_saveexec_b64 s[8:9], s[2:3]
; %bb.11:                               ;   in Loop: Header=BB40_1 Depth=1
	v_add_f64 v[72:73], v[72:73], v[74:75]
; %bb.12:                               ;   in Loop: Header=BB40_1 Depth=1
	s_or_b64 exec, exec, s[8:9]
	s_nop 0
	v_mov_b32_dpp v74, v72 row_bcast:31 row_mask:0xf bank_mask:0xf
	v_mov_b32_dpp v75, v73 row_bcast:31 row_mask:0xf bank_mask:0xf
	v_add_f64 v[74:75], v[72:73], v[74:75]
	v_add_u32_e32 v80, -1, v79
	v_and_b32_e32 v81, 64, v79
	v_cmp_lt_i32_e64 s[2:3], v80, v81
	v_cndmask_b32_e64 v80, v80, v79, s[2:3]
	v_cmp_lt_u32_e64 s[2:3], 31, v79
	v_cndmask_b32_e64 v73, v73, v75, s[2:3]
	v_cndmask_b32_e64 v72, v72, v74, s[2:3]
	v_lshlrev_b32_e32 v74, 2, v80
	ds_bpermute_b32 v72, v74, v72
	ds_bpermute_b32 v73, v74, v73
	s_waitcnt lgkmcnt(0)
	v_add_f64 v[4:5], v[4:5], v[72:73]
	v_cndmask_b32_e32 v5, v5, v33, vcc
	v_cndmask_b32_e32 v4, v4, v32, vcc
	v_add_f64 v[6:7], v[6:7], v[4:5]
	v_add_f64 v[0:1], v[0:1], v[6:7]
	;; [unrolled: 1-line block ×3, first 2 shown]
	ds_write2_b64 v78, v[4:5], v[6:7] offset1:1
	ds_write2_b64 v78, v[0:1], v[2:3] offset0:2 offset1:3
.LBB40_13:                              ;   in Loop: Header=BB40_1 Depth=1
	s_or_b64 exec, exec, s[6:7]
	s_waitcnt lgkmcnt(0)
	s_barrier
	s_and_saveexec_b64 s[2:3], s[4:5]
	s_cbranch_execz .LBB40_15
; %bb.14:                               ;   in Loop: Header=BB40_1 Depth=1
	ds_read_b64 v[0:1], v76
	s_waitcnt lgkmcnt(0)
	v_add_f64 v[30:31], v[30:31], v[0:1]
	v_add_f64 v[70:71], v[66:67], v[30:31]
	v_add_f64 v[68:69], v[64:65], v[70:71]
	v_add_f64 v[58:59], v[62:63], v[68:69]
	v_add_f64 v[48:49], v[60:61], v[58:59]
	v_add_f64 v[42:43], v[56:57], v[48:49]
	v_add_f64 v[40:41], v[54:55], v[42:43]
	v_add_f64 v[38:39], v[52:53], v[40:41]
	v_add_f64 v[36:37], v[50:51], v[38:39]
	v_add_f64 v[34:35], v[46:47], v[36:37]
	v_add_f64 v[32:33], v[44:45], v[34:35]
.LBB40_15:                              ;   in Loop: Header=BB40_1 Depth=1
	s_or_b64 exec, exec, s[2:3]
	s_add_i32 s12, s12, -1
	s_cmp_lg_u32 s12, 0
	s_cbranch_scc0 .LBB40_17
; %bb.16:                               ;   in Loop: Header=BB40_1 Depth=1
	v_mov_b32_e32 v45, v33
	v_mov_b32_e32 v47, v35
	;; [unrolled: 1-line block ×20, first 2 shown]
	s_branch .LBB40_1
.LBB40_17:
	v_mov_b32_e32 v1, s11
	v_add_co_u32_e32 v0, vcc, s10, v8
	v_addc_co_u32_e32 v1, vcc, v1, v9, vcc
	global_store_dwordx2 v[0:1], v[30:31], off
	v_mov_b32_e32 v1, s11
	v_add_co_u32_e32 v0, vcc, s10, v10
	v_addc_co_u32_e32 v1, vcc, v1, v11, vcc
	global_store_dwordx2 v[0:1], v[70:71], off
	;; [unrolled: 4-line block ×11, first 2 shown]
	s_endpgm
	.section	.rodata,"a",@progbits
	.p2align	6, 0x0
	.amdhsa_kernel _Z6kernelI14inclusive_scanILN6hipcub18BlockScanAlgorithmE1EEdLj256ELj11ELj100EEvPKT0_PS4_S4_
		.amdhsa_group_segment_fixed_size 2112
		.amdhsa_private_segment_fixed_size 0
		.amdhsa_kernarg_size 280
		.amdhsa_user_sgpr_count 6
		.amdhsa_user_sgpr_private_segment_buffer 1
		.amdhsa_user_sgpr_dispatch_ptr 0
		.amdhsa_user_sgpr_queue_ptr 0
		.amdhsa_user_sgpr_kernarg_segment_ptr 1
		.amdhsa_user_sgpr_dispatch_id 0
		.amdhsa_user_sgpr_flat_scratch_init 0
		.amdhsa_user_sgpr_private_segment_size 0
		.amdhsa_uses_dynamic_stack 0
		.amdhsa_system_sgpr_private_segment_wavefront_offset 0
		.amdhsa_system_sgpr_workgroup_id_x 1
		.amdhsa_system_sgpr_workgroup_id_y 0
		.amdhsa_system_sgpr_workgroup_id_z 0
		.amdhsa_system_sgpr_workgroup_info 0
		.amdhsa_system_vgpr_workitem_id 0
		.amdhsa_next_free_vgpr 82
		.amdhsa_next_free_sgpr 13
		.amdhsa_reserve_vcc 1
		.amdhsa_reserve_flat_scratch 0
		.amdhsa_float_round_mode_32 0
		.amdhsa_float_round_mode_16_64 0
		.amdhsa_float_denorm_mode_32 3
		.amdhsa_float_denorm_mode_16_64 3
		.amdhsa_dx10_clamp 1
		.amdhsa_ieee_mode 1
		.amdhsa_fp16_overflow 0
		.amdhsa_exception_fp_ieee_invalid_op 0
		.amdhsa_exception_fp_denorm_src 0
		.amdhsa_exception_fp_ieee_div_zero 0
		.amdhsa_exception_fp_ieee_overflow 0
		.amdhsa_exception_fp_ieee_underflow 0
		.amdhsa_exception_fp_ieee_inexact 0
		.amdhsa_exception_int_div_zero 0
	.end_amdhsa_kernel
	.section	.text._Z6kernelI14inclusive_scanILN6hipcub18BlockScanAlgorithmE1EEdLj256ELj11ELj100EEvPKT0_PS4_S4_,"axG",@progbits,_Z6kernelI14inclusive_scanILN6hipcub18BlockScanAlgorithmE1EEdLj256ELj11ELj100EEvPKT0_PS4_S4_,comdat
.Lfunc_end40:
	.size	_Z6kernelI14inclusive_scanILN6hipcub18BlockScanAlgorithmE1EEdLj256ELj11ELj100EEvPKT0_PS4_S4_, .Lfunc_end40-_Z6kernelI14inclusive_scanILN6hipcub18BlockScanAlgorithmE1EEdLj256ELj11ELj100EEvPKT0_PS4_S4_
                                        ; -- End function
	.set _Z6kernelI14inclusive_scanILN6hipcub18BlockScanAlgorithmE1EEdLj256ELj11ELj100EEvPKT0_PS4_S4_.num_vgpr, 82
	.set _Z6kernelI14inclusive_scanILN6hipcub18BlockScanAlgorithmE1EEdLj256ELj11ELj100EEvPKT0_PS4_S4_.num_agpr, 0
	.set _Z6kernelI14inclusive_scanILN6hipcub18BlockScanAlgorithmE1EEdLj256ELj11ELj100EEvPKT0_PS4_S4_.numbered_sgpr, 13
	.set _Z6kernelI14inclusive_scanILN6hipcub18BlockScanAlgorithmE1EEdLj256ELj11ELj100EEvPKT0_PS4_S4_.num_named_barrier, 0
	.set _Z6kernelI14inclusive_scanILN6hipcub18BlockScanAlgorithmE1EEdLj256ELj11ELj100EEvPKT0_PS4_S4_.private_seg_size, 0
	.set _Z6kernelI14inclusive_scanILN6hipcub18BlockScanAlgorithmE1EEdLj256ELj11ELj100EEvPKT0_PS4_S4_.uses_vcc, 1
	.set _Z6kernelI14inclusive_scanILN6hipcub18BlockScanAlgorithmE1EEdLj256ELj11ELj100EEvPKT0_PS4_S4_.uses_flat_scratch, 0
	.set _Z6kernelI14inclusive_scanILN6hipcub18BlockScanAlgorithmE1EEdLj256ELj11ELj100EEvPKT0_PS4_S4_.has_dyn_sized_stack, 0
	.set _Z6kernelI14inclusive_scanILN6hipcub18BlockScanAlgorithmE1EEdLj256ELj11ELj100EEvPKT0_PS4_S4_.has_recursion, 0
	.set _Z6kernelI14inclusive_scanILN6hipcub18BlockScanAlgorithmE1EEdLj256ELj11ELj100EEvPKT0_PS4_S4_.has_indirect_call, 0
	.section	.AMDGPU.csdata,"",@progbits
; Kernel info:
; codeLenInByte = 1508
; TotalNumSgprs: 17
; NumVgprs: 82
; ScratchSize: 0
; MemoryBound: 0
; FloatMode: 240
; IeeeMode: 1
; LDSByteSize: 2112 bytes/workgroup (compile time only)
; SGPRBlocks: 2
; VGPRBlocks: 20
; NumSGPRsForWavesPerEU: 17
; NumVGPRsForWavesPerEU: 82
; Occupancy: 3
; WaveLimiterHint : 0
; COMPUTE_PGM_RSRC2:SCRATCH_EN: 0
; COMPUTE_PGM_RSRC2:USER_SGPR: 6
; COMPUTE_PGM_RSRC2:TRAP_HANDLER: 0
; COMPUTE_PGM_RSRC2:TGID_X_EN: 1
; COMPUTE_PGM_RSRC2:TGID_Y_EN: 0
; COMPUTE_PGM_RSRC2:TGID_Z_EN: 0
; COMPUTE_PGM_RSRC2:TIDIG_COMP_CNT: 0
	.section	.text._Z6kernelI14inclusive_scanILN6hipcub18BlockScanAlgorithmE1EEdLj256ELj16ELj100EEvPKT0_PS4_S4_,"axG",@progbits,_Z6kernelI14inclusive_scanILN6hipcub18BlockScanAlgorithmE1EEdLj256ELj16ELj100EEvPKT0_PS4_S4_,comdat
	.protected	_Z6kernelI14inclusive_scanILN6hipcub18BlockScanAlgorithmE1EEdLj256ELj16ELj100EEvPKT0_PS4_S4_ ; -- Begin function _Z6kernelI14inclusive_scanILN6hipcub18BlockScanAlgorithmE1EEdLj256ELj16ELj100EEvPKT0_PS4_S4_
	.globl	_Z6kernelI14inclusive_scanILN6hipcub18BlockScanAlgorithmE1EEdLj256ELj16ELj100EEvPKT0_PS4_S4_
	.p2align	8
	.type	_Z6kernelI14inclusive_scanILN6hipcub18BlockScanAlgorithmE1EEdLj256ELj16ELj100EEvPKT0_PS4_S4_,@function
_Z6kernelI14inclusive_scanILN6hipcub18BlockScanAlgorithmE1EEdLj256ELj16ELj100EEvPKT0_PS4_S4_: ; @_Z6kernelI14inclusive_scanILN6hipcub18BlockScanAlgorithmE1EEdLj256ELj16ELj100EEvPKT0_PS4_S4_
; %bb.0:
	s_load_dword s0, s[4:5], 0x24
	s_load_dwordx4 s[8:11], s[4:5], 0x0
	v_mov_b32_e32 v2, 0
	v_lshlrev_b32_e32 v23, 5, v0
	s_movk_i32 s12, 0x64
	s_waitcnt lgkmcnt(0)
	s_and_b32 s0, s0, 0xffff
	s_mul_i32 s6, s6, s0
	v_add_lshl_u32 v1, s6, v0, 4
	v_lshlrev_b64 v[69:70], 3, v[1:2]
	v_mov_b32_e32 v1, s9
	v_add_co_u32_e32 v21, vcc, s8, v69
	v_addc_co_u32_e32 v22, vcc, v1, v70, vcc
	global_load_dwordx4 v[1:4], v[21:22], off offset:48
	global_load_dwordx4 v[9:12], v[21:22], off offset:32
	;; [unrolled: 1-line block ×3, first 2 shown]
	global_load_dwordx4 v[5:8], v[21:22], off
	global_load_dwordx4 v[13:16], v[21:22], off offset:112
	global_load_dwordx4 v[17:20], v[21:22], off offset:96
	;; [unrolled: 1-line block ×4, first 2 shown]
	v_lshrrev_b32_e32 v21, 2, v0
	v_and_b32_e32 v21, 56, v21
	v_lshl_add_u32 v77, v0, 3, v21
	v_subrev_co_u32_e64 v21, s[0:1], 1, v0
	v_cmp_gt_u32_e32 vcc, 64, v0
	v_and_b32_e32 v22, 0xf8, v0
	v_lshrrev_b32_e32 v0, 2, v21
	v_and_b32_e32 v0, 0x3ffffff8, v0
	v_lshl_add_u32 v0, v21, 3, v0
	v_mbcnt_lo_u32_b32 v21, -1, 0
	s_xor_b64 s[4:5], s[0:1], -1
	v_add_u32_e32 v78, v22, v23
	v_mbcnt_hi_u32_b32 v79, -1, v21
.LBB41_1:                               ; =>This Inner Loop Header: Depth=1
	s_waitcnt vmcnt(4)
	v_add_f64 v[71:72], v[7:8], v[5:6]
	v_add_f64 v[21:22], v[57:58], v[71:72]
	;; [unrolled: 1-line block ×7, first 2 shown]
	s_waitcnt vmcnt(0)
	v_add_f64 v[37:38], v[53:54], v[31:32]
	v_add_f64 v[39:40], v[55:56], v[37:38]
	;; [unrolled: 1-line block ×8, first 2 shown]
	ds_write_b64 v77, v[51:52]
	s_waitcnt lgkmcnt(0)
	s_barrier
	s_and_saveexec_b64 s[6:7], vcc
	s_cbranch_execz .LBB41_13
; %bb.2:                                ;   in Loop: Header=BB41_1 Depth=1
	ds_read2_b64 v[65:68], v78 offset1:1
	ds_read2_b64 v[61:64], v78 offset0:2 offset1:3
	v_and_b32_e32 v80, 15, v79
	v_cmp_ne_u32_e64 s[2:3], 0, v80
	s_waitcnt lgkmcnt(1)
	v_add_f64 v[73:74], v[65:66], v[67:68]
	s_waitcnt lgkmcnt(0)
	v_add_f64 v[73:74], v[73:74], v[61:62]
	v_add_f64 v[73:74], v[73:74], v[63:64]
	s_nop 1
	v_mov_b32_dpp v75, v73 row_shr:1 row_mask:0xf bank_mask:0xf
	v_mov_b32_dpp v76, v74 row_shr:1 row_mask:0xf bank_mask:0xf
	s_and_saveexec_b64 s[8:9], s[2:3]
; %bb.3:                                ;   in Loop: Header=BB41_1 Depth=1
	v_add_f64 v[73:74], v[73:74], v[75:76]
; %bb.4:                                ;   in Loop: Header=BB41_1 Depth=1
	s_or_b64 exec, exec, s[8:9]
	s_nop 0
	v_mov_b32_dpp v75, v73 row_shr:2 row_mask:0xf bank_mask:0xf
	v_mov_b32_dpp v76, v74 row_shr:2 row_mask:0xf bank_mask:0xf
	v_cmp_lt_u32_e64 s[2:3], 1, v80
	s_and_saveexec_b64 s[8:9], s[2:3]
; %bb.5:                                ;   in Loop: Header=BB41_1 Depth=1
	v_add_f64 v[73:74], v[73:74], v[75:76]
; %bb.6:                                ;   in Loop: Header=BB41_1 Depth=1
	s_or_b64 exec, exec, s[8:9]
	s_nop 0
	v_mov_b32_dpp v75, v73 row_shr:4 row_mask:0xf bank_mask:0xf
	v_mov_b32_dpp v76, v74 row_shr:4 row_mask:0xf bank_mask:0xf
	v_cmp_lt_u32_e64 s[2:3], 3, v80
	;; [unrolled: 9-line block ×3, first 2 shown]
	s_and_saveexec_b64 s[8:9], s[2:3]
; %bb.9:                                ;   in Loop: Header=BB41_1 Depth=1
	v_add_f64 v[73:74], v[73:74], v[75:76]
; %bb.10:                               ;   in Loop: Header=BB41_1 Depth=1
	s_or_b64 exec, exec, s[8:9]
	v_and_b32_e32 v80, 16, v79
	v_mov_b32_dpp v75, v73 row_bcast:15 row_mask:0xf bank_mask:0xf
	v_mov_b32_dpp v76, v74 row_bcast:15 row_mask:0xf bank_mask:0xf
	v_cmp_ne_u32_e64 s[2:3], 0, v80
	s_and_saveexec_b64 s[8:9], s[2:3]
; %bb.11:                               ;   in Loop: Header=BB41_1 Depth=1
	v_add_f64 v[73:74], v[73:74], v[75:76]
; %bb.12:                               ;   in Loop: Header=BB41_1 Depth=1
	s_or_b64 exec, exec, s[8:9]
	s_nop 0
	v_mov_b32_dpp v75, v73 row_bcast:31 row_mask:0xf bank_mask:0xf
	v_mov_b32_dpp v76, v74 row_bcast:31 row_mask:0xf bank_mask:0xf
	v_add_f64 v[75:76], v[73:74], v[75:76]
	v_add_u32_e32 v80, -1, v79
	v_and_b32_e32 v81, 64, v79
	v_cmp_lt_i32_e64 s[2:3], v80, v81
	v_cndmask_b32_e64 v80, v80, v79, s[2:3]
	v_cmp_lt_u32_e64 s[2:3], 31, v79
	v_cndmask_b32_e64 v74, v74, v76, s[2:3]
	v_cndmask_b32_e64 v73, v73, v75, s[2:3]
	v_lshlrev_b32_e32 v75, 2, v80
	ds_bpermute_b32 v73, v75, v73
	ds_bpermute_b32 v74, v75, v74
	s_waitcnt lgkmcnt(0)
	v_add_f64 v[65:66], v[65:66], v[73:74]
	v_cndmask_b32_e64 v66, v66, v52, s[0:1]
	v_cndmask_b32_e64 v65, v65, v51, s[0:1]
	v_add_f64 v[67:68], v[67:68], v[65:66]
	v_add_f64 v[61:62], v[61:62], v[67:68]
	;; [unrolled: 1-line block ×3, first 2 shown]
	ds_write2_b64 v78, v[65:66], v[67:68] offset1:1
	ds_write2_b64 v78, v[61:62], v[63:64] offset0:2 offset1:3
.LBB41_13:                              ;   in Loop: Header=BB41_1 Depth=1
	s_or_b64 exec, exec, s[6:7]
	s_waitcnt lgkmcnt(0)
	s_barrier
	s_and_saveexec_b64 s[2:3], s[4:5]
	s_cbranch_execz .LBB41_15
; %bb.14:                               ;   in Loop: Header=BB41_1 Depth=1
	ds_read_b64 v[21:22], v0
	s_waitcnt lgkmcnt(0)
	v_add_f64 v[5:6], v[5:6], v[21:22]
	v_add_f64 v[71:72], v[7:8], v[5:6]
	;; [unrolled: 1-line block ×16, first 2 shown]
.LBB41_15:                              ;   in Loop: Header=BB41_1 Depth=1
	s_or_b64 exec, exec, s[2:3]
	s_add_i32 s12, s12, -1
	s_cmp_lg_u32 s12, 0
	s_cbranch_scc0 .LBB41_17
; %bb.16:                               ;   in Loop: Header=BB41_1 Depth=1
	v_mov_b32_e32 v15, v51
	v_mov_b32_e32 v13, v49
	;; [unrolled: 1-line block ×30, first 2 shown]
	s_branch .LBB41_1
.LBB41_17:
	v_mov_b32_e32 v1, s11
	v_add_co_u32_e32 v0, vcc, s10, v69
	v_addc_co_u32_e32 v1, vcc, v1, v70, vcc
	v_mov_b32_e32 v7, v71
	v_mov_b32_e32 v8, v72
	global_store_dwordx4 v[0:1], v[5:8], off
	global_store_dwordx4 v[0:1], v[21:24], off offset:16
	global_store_dwordx4 v[0:1], v[25:28], off offset:32
	;; [unrolled: 1-line block ×7, first 2 shown]
	s_endpgm
	.section	.rodata,"a",@progbits
	.p2align	6, 0x0
	.amdhsa_kernel _Z6kernelI14inclusive_scanILN6hipcub18BlockScanAlgorithmE1EEdLj256ELj16ELj100EEvPKT0_PS4_S4_
		.amdhsa_group_segment_fixed_size 2112
		.amdhsa_private_segment_fixed_size 0
		.amdhsa_kernarg_size 280
		.amdhsa_user_sgpr_count 6
		.amdhsa_user_sgpr_private_segment_buffer 1
		.amdhsa_user_sgpr_dispatch_ptr 0
		.amdhsa_user_sgpr_queue_ptr 0
		.amdhsa_user_sgpr_kernarg_segment_ptr 1
		.amdhsa_user_sgpr_dispatch_id 0
		.amdhsa_user_sgpr_flat_scratch_init 0
		.amdhsa_user_sgpr_private_segment_size 0
		.amdhsa_uses_dynamic_stack 0
		.amdhsa_system_sgpr_private_segment_wavefront_offset 0
		.amdhsa_system_sgpr_workgroup_id_x 1
		.amdhsa_system_sgpr_workgroup_id_y 0
		.amdhsa_system_sgpr_workgroup_id_z 0
		.amdhsa_system_sgpr_workgroup_info 0
		.amdhsa_system_vgpr_workitem_id 0
		.amdhsa_next_free_vgpr 82
		.amdhsa_next_free_sgpr 13
		.amdhsa_reserve_vcc 1
		.amdhsa_reserve_flat_scratch 0
		.amdhsa_float_round_mode_32 0
		.amdhsa_float_round_mode_16_64 0
		.amdhsa_float_denorm_mode_32 3
		.amdhsa_float_denorm_mode_16_64 3
		.amdhsa_dx10_clamp 1
		.amdhsa_ieee_mode 1
		.amdhsa_fp16_overflow 0
		.amdhsa_exception_fp_ieee_invalid_op 0
		.amdhsa_exception_fp_denorm_src 0
		.amdhsa_exception_fp_ieee_div_zero 0
		.amdhsa_exception_fp_ieee_overflow 0
		.amdhsa_exception_fp_ieee_underflow 0
		.amdhsa_exception_fp_ieee_inexact 0
		.amdhsa_exception_int_div_zero 0
	.end_amdhsa_kernel
	.section	.text._Z6kernelI14inclusive_scanILN6hipcub18BlockScanAlgorithmE1EEdLj256ELj16ELj100EEvPKT0_PS4_S4_,"axG",@progbits,_Z6kernelI14inclusive_scanILN6hipcub18BlockScanAlgorithmE1EEdLj256ELj16ELj100EEvPKT0_PS4_S4_,comdat
.Lfunc_end41:
	.size	_Z6kernelI14inclusive_scanILN6hipcub18BlockScanAlgorithmE1EEdLj256ELj16ELj100EEvPKT0_PS4_S4_, .Lfunc_end41-_Z6kernelI14inclusive_scanILN6hipcub18BlockScanAlgorithmE1EEdLj256ELj16ELj100EEvPKT0_PS4_S4_
                                        ; -- End function
	.set _Z6kernelI14inclusive_scanILN6hipcub18BlockScanAlgorithmE1EEdLj256ELj16ELj100EEvPKT0_PS4_S4_.num_vgpr, 82
	.set _Z6kernelI14inclusive_scanILN6hipcub18BlockScanAlgorithmE1EEdLj256ELj16ELj100EEvPKT0_PS4_S4_.num_agpr, 0
	.set _Z6kernelI14inclusive_scanILN6hipcub18BlockScanAlgorithmE1EEdLj256ELj16ELj100EEvPKT0_PS4_S4_.numbered_sgpr, 13
	.set _Z6kernelI14inclusive_scanILN6hipcub18BlockScanAlgorithmE1EEdLj256ELj16ELj100EEvPKT0_PS4_S4_.num_named_barrier, 0
	.set _Z6kernelI14inclusive_scanILN6hipcub18BlockScanAlgorithmE1EEdLj256ELj16ELj100EEvPKT0_PS4_S4_.private_seg_size, 0
	.set _Z6kernelI14inclusive_scanILN6hipcub18BlockScanAlgorithmE1EEdLj256ELj16ELj100EEvPKT0_PS4_S4_.uses_vcc, 1
	.set _Z6kernelI14inclusive_scanILN6hipcub18BlockScanAlgorithmE1EEdLj256ELj16ELj100EEvPKT0_PS4_S4_.uses_flat_scratch, 0
	.set _Z6kernelI14inclusive_scanILN6hipcub18BlockScanAlgorithmE1EEdLj256ELj16ELj100EEvPKT0_PS4_S4_.has_dyn_sized_stack, 0
	.set _Z6kernelI14inclusive_scanILN6hipcub18BlockScanAlgorithmE1EEdLj256ELj16ELj100EEvPKT0_PS4_S4_.has_recursion, 0
	.set _Z6kernelI14inclusive_scanILN6hipcub18BlockScanAlgorithmE1EEdLj256ELj16ELj100EEvPKT0_PS4_S4_.has_indirect_call, 0
	.section	.AMDGPU.csdata,"",@progbits
; Kernel info:
; codeLenInByte = 1192
; TotalNumSgprs: 17
; NumVgprs: 82
; ScratchSize: 0
; MemoryBound: 1
; FloatMode: 240
; IeeeMode: 1
; LDSByteSize: 2112 bytes/workgroup (compile time only)
; SGPRBlocks: 2
; VGPRBlocks: 20
; NumSGPRsForWavesPerEU: 17
; NumVGPRsForWavesPerEU: 82
; Occupancy: 3
; WaveLimiterHint : 0
; COMPUTE_PGM_RSRC2:SCRATCH_EN: 0
; COMPUTE_PGM_RSRC2:USER_SGPR: 6
; COMPUTE_PGM_RSRC2:TRAP_HANDLER: 0
; COMPUTE_PGM_RSRC2:TGID_X_EN: 1
; COMPUTE_PGM_RSRC2:TGID_Y_EN: 0
; COMPUTE_PGM_RSRC2:TGID_Z_EN: 0
; COMPUTE_PGM_RSRC2:TIDIG_COMP_CNT: 0
	.section	.text._Z6kernelI14inclusive_scanILN6hipcub18BlockScanAlgorithmE1EEhLj256ELj1ELj100EEvPKT0_PS4_S4_,"axG",@progbits,_Z6kernelI14inclusive_scanILN6hipcub18BlockScanAlgorithmE1EEhLj256ELj1ELj100EEvPKT0_PS4_S4_,comdat
	.protected	_Z6kernelI14inclusive_scanILN6hipcub18BlockScanAlgorithmE1EEhLj256ELj1ELj100EEvPKT0_PS4_S4_ ; -- Begin function _Z6kernelI14inclusive_scanILN6hipcub18BlockScanAlgorithmE1EEhLj256ELj1ELj100EEvPKT0_PS4_S4_
	.globl	_Z6kernelI14inclusive_scanILN6hipcub18BlockScanAlgorithmE1EEhLj256ELj1ELj100EEvPKT0_PS4_S4_
	.p2align	8
	.type	_Z6kernelI14inclusive_scanILN6hipcub18BlockScanAlgorithmE1EEhLj256ELj1ELj100EEvPKT0_PS4_S4_,@function
_Z6kernelI14inclusive_scanILN6hipcub18BlockScanAlgorithmE1EEhLj256ELj1ELj100EEvPKT0_PS4_S4_: ; @_Z6kernelI14inclusive_scanILN6hipcub18BlockScanAlgorithmE1EEhLj256ELj1ELj100EEvPKT0_PS4_S4_
; %bb.0:
	s_load_dword s0, s[4:5], 0x24
	s_load_dwordx4 s[8:11], s[4:5], 0x0
	v_lshrrev_b32_e32 v3, 5, v0
	v_lshlrev_b32_e32 v4, 2, v0
	v_lshrrev_b32_e32 v5, 3, v0
	s_waitcnt lgkmcnt(0)
	s_and_b32 s0, s0, 0xffff
	s_mul_i32 s6, s6, s0
	v_add_u32_e32 v1, s6, v0
	global_load_ubyte v2, v1, s[8:9]
	v_cmp_gt_u32_e32 vcc, 64, v0
	v_cmp_eq_u32_e64 s[0:1], 0, v0
	v_add_u32_e32 v0, v3, v0
	v_add_u32_e32 v3, v5, v4
	v_mbcnt_lo_u32_b32 v4, -1, 0
	v_mbcnt_hi_u32_b32 v4, -1, v4
	s_movk_i32 s6, 0x64
	v_and_b32_e32 v5, 15, v4
	v_and_b32_e32 v6, 16, v4
	v_add_u32_e32 v7, -1, v4
	v_and_b32_e32 v8, 64, v4
	s_branch .LBB42_2
.LBB42_1:                               ;   in Loop: Header=BB42_2 Depth=1
	s_or_b64 exec, exec, s[4:5]
	s_waitcnt lgkmcnt(0)
	s_barrier
	ds_read_u8 v2, v0
	s_add_i32 s6, s6, -1
	s_cmp_lg_u32 s6, 0
	s_cbranch_scc0 .LBB42_4
.LBB42_2:                               ; =>This Inner Loop Header: Depth=1
	s_waitcnt vmcnt(0) lgkmcnt(0)
	ds_write_b8 v0, v2
	s_waitcnt lgkmcnt(0)
	s_barrier
	s_and_saveexec_b64 s[4:5], vcc
	s_cbranch_execz .LBB42_1
; %bb.3:                                ;   in Loop: Header=BB42_2 Depth=1
	ds_read_u8 v9, v3
	ds_read_u8 v10, v3 offset:1
	ds_read_u8 v11, v3 offset:2
	;; [unrolled: 1-line block ×3, first 2 shown]
	v_cmp_ne_u32_e64 s[2:3], 0, v5
	s_waitcnt lgkmcnt(2)
	v_add_u16_e32 v13, v10, v9
	s_waitcnt lgkmcnt(1)
	v_add_u16_e32 v13, v13, v11
	;; [unrolled: 2-line block ×3, first 2 shown]
	v_and_b32_e32 v14, 0xff, v13
	s_nop 1
	v_mov_b32_dpp v14, v14 row_shr:1 row_mask:0xf bank_mask:0xf
	v_cndmask_b32_e64 v14, 0, v14, s[2:3]
	v_add_u16_e32 v13, v14, v13
	v_and_b32_e32 v14, 0xff, v13
	v_cmp_lt_u32_e64 s[2:3], 1, v5
	s_nop 0
	v_mov_b32_dpp v14, v14 row_shr:2 row_mask:0xf bank_mask:0xf
	v_cndmask_b32_e64 v14, 0, v14, s[2:3]
	v_add_u16_e32 v13, v13, v14
	v_and_b32_e32 v14, 0xff, v13
	v_cmp_lt_u32_e64 s[2:3], 3, v5
	;; [unrolled: 6-line block ×3, first 2 shown]
	s_nop 0
	v_mov_b32_dpp v14, v14 row_shr:8 row_mask:0xf bank_mask:0xf
	v_cndmask_b32_e64 v14, 0, v14, s[2:3]
	v_add_u16_e32 v13, v13, v14
	v_and_b32_e32 v14, 0xff, v13
	v_cmp_ne_u32_e64 s[2:3], 0, v6
	s_nop 0
	v_mov_b32_dpp v14, v14 row_bcast:15 row_mask:0xf bank_mask:0xf
	v_cndmask_b32_e64 v14, 0, v14, s[2:3]
	v_add_u16_e32 v13, v13, v14
	v_and_b32_e32 v14, 0xff, v13
	v_cmp_lt_u32_e64 s[2:3], 31, v4
	s_nop 0
	v_mov_b32_dpp v14, v14 row_bcast:31 row_mask:0xf bank_mask:0xf
	v_cndmask_b32_e64 v14, 0, v14, s[2:3]
	v_cmp_lt_i32_e64 s[2:3], v7, v8
	v_add_u16_e32 v13, v13, v14
	v_cndmask_b32_e64 v14, v7, v4, s[2:3]
	v_lshlrev_b32_e32 v14, 2, v14
	v_and_b32_e32 v13, 0xff, v13
	ds_bpermute_b32 v13, v14, v13
	s_waitcnt lgkmcnt(0)
	v_add_u16_e32 v9, v9, v13
	v_cndmask_b32_e64 v2, v9, v2, s[0:1]
	ds_write_b8 v3, v2
	v_add_u16_e32 v2, v2, v10
	ds_write_b8 v3, v2 offset:1
	v_add_u16_e32 v2, v2, v11
	ds_write_b8 v3, v2 offset:2
	;; [unrolled: 2-line block ×3, first 2 shown]
	s_branch .LBB42_1
.LBB42_4:
	v_mov_b32_e32 v3, s11
	v_add_co_u32_e32 v0, vcc, s10, v1
	v_addc_co_u32_e32 v1, vcc, 0, v3, vcc
	s_waitcnt lgkmcnt(0)
	global_store_byte v[0:1], v2, off
	s_endpgm
	.section	.rodata,"a",@progbits
	.p2align	6, 0x0
	.amdhsa_kernel _Z6kernelI14inclusive_scanILN6hipcub18BlockScanAlgorithmE1EEhLj256ELj1ELj100EEvPKT0_PS4_S4_
		.amdhsa_group_segment_fixed_size 264
		.amdhsa_private_segment_fixed_size 0
		.amdhsa_kernarg_size 280
		.amdhsa_user_sgpr_count 6
		.amdhsa_user_sgpr_private_segment_buffer 1
		.amdhsa_user_sgpr_dispatch_ptr 0
		.amdhsa_user_sgpr_queue_ptr 0
		.amdhsa_user_sgpr_kernarg_segment_ptr 1
		.amdhsa_user_sgpr_dispatch_id 0
		.amdhsa_user_sgpr_flat_scratch_init 0
		.amdhsa_user_sgpr_private_segment_size 0
		.amdhsa_uses_dynamic_stack 0
		.amdhsa_system_sgpr_private_segment_wavefront_offset 0
		.amdhsa_system_sgpr_workgroup_id_x 1
		.amdhsa_system_sgpr_workgroup_id_y 0
		.amdhsa_system_sgpr_workgroup_id_z 0
		.amdhsa_system_sgpr_workgroup_info 0
		.amdhsa_system_vgpr_workitem_id 0
		.amdhsa_next_free_vgpr 15
		.amdhsa_next_free_sgpr 12
		.amdhsa_reserve_vcc 1
		.amdhsa_reserve_flat_scratch 0
		.amdhsa_float_round_mode_32 0
		.amdhsa_float_round_mode_16_64 0
		.amdhsa_float_denorm_mode_32 3
		.amdhsa_float_denorm_mode_16_64 3
		.amdhsa_dx10_clamp 1
		.amdhsa_ieee_mode 1
		.amdhsa_fp16_overflow 0
		.amdhsa_exception_fp_ieee_invalid_op 0
		.amdhsa_exception_fp_denorm_src 0
		.amdhsa_exception_fp_ieee_div_zero 0
		.amdhsa_exception_fp_ieee_overflow 0
		.amdhsa_exception_fp_ieee_underflow 0
		.amdhsa_exception_fp_ieee_inexact 0
		.amdhsa_exception_int_div_zero 0
	.end_amdhsa_kernel
	.section	.text._Z6kernelI14inclusive_scanILN6hipcub18BlockScanAlgorithmE1EEhLj256ELj1ELj100EEvPKT0_PS4_S4_,"axG",@progbits,_Z6kernelI14inclusive_scanILN6hipcub18BlockScanAlgorithmE1EEhLj256ELj1ELj100EEvPKT0_PS4_S4_,comdat
.Lfunc_end42:
	.size	_Z6kernelI14inclusive_scanILN6hipcub18BlockScanAlgorithmE1EEhLj256ELj1ELj100EEvPKT0_PS4_S4_, .Lfunc_end42-_Z6kernelI14inclusive_scanILN6hipcub18BlockScanAlgorithmE1EEhLj256ELj1ELj100EEvPKT0_PS4_S4_
                                        ; -- End function
	.set _Z6kernelI14inclusive_scanILN6hipcub18BlockScanAlgorithmE1EEhLj256ELj1ELj100EEvPKT0_PS4_S4_.num_vgpr, 15
	.set _Z6kernelI14inclusive_scanILN6hipcub18BlockScanAlgorithmE1EEhLj256ELj1ELj100EEvPKT0_PS4_S4_.num_agpr, 0
	.set _Z6kernelI14inclusive_scanILN6hipcub18BlockScanAlgorithmE1EEhLj256ELj1ELj100EEvPKT0_PS4_S4_.numbered_sgpr, 12
	.set _Z6kernelI14inclusive_scanILN6hipcub18BlockScanAlgorithmE1EEhLj256ELj1ELj100EEvPKT0_PS4_S4_.num_named_barrier, 0
	.set _Z6kernelI14inclusive_scanILN6hipcub18BlockScanAlgorithmE1EEhLj256ELj1ELj100EEvPKT0_PS4_S4_.private_seg_size, 0
	.set _Z6kernelI14inclusive_scanILN6hipcub18BlockScanAlgorithmE1EEhLj256ELj1ELj100EEvPKT0_PS4_S4_.uses_vcc, 1
	.set _Z6kernelI14inclusive_scanILN6hipcub18BlockScanAlgorithmE1EEhLj256ELj1ELj100EEvPKT0_PS4_S4_.uses_flat_scratch, 0
	.set _Z6kernelI14inclusive_scanILN6hipcub18BlockScanAlgorithmE1EEhLj256ELj1ELj100EEvPKT0_PS4_S4_.has_dyn_sized_stack, 0
	.set _Z6kernelI14inclusive_scanILN6hipcub18BlockScanAlgorithmE1EEhLj256ELj1ELj100EEvPKT0_PS4_S4_.has_recursion, 0
	.set _Z6kernelI14inclusive_scanILN6hipcub18BlockScanAlgorithmE1EEhLj256ELj1ELj100EEvPKT0_PS4_S4_.has_indirect_call, 0
	.section	.AMDGPU.csdata,"",@progbits
; Kernel info:
; codeLenInByte = 600
; TotalNumSgprs: 16
; NumVgprs: 15
; ScratchSize: 0
; MemoryBound: 0
; FloatMode: 240
; IeeeMode: 1
; LDSByteSize: 264 bytes/workgroup (compile time only)
; SGPRBlocks: 1
; VGPRBlocks: 3
; NumSGPRsForWavesPerEU: 16
; NumVGPRsForWavesPerEU: 15
; Occupancy: 10
; WaveLimiterHint : 0
; COMPUTE_PGM_RSRC2:SCRATCH_EN: 0
; COMPUTE_PGM_RSRC2:USER_SGPR: 6
; COMPUTE_PGM_RSRC2:TRAP_HANDLER: 0
; COMPUTE_PGM_RSRC2:TGID_X_EN: 1
; COMPUTE_PGM_RSRC2:TGID_Y_EN: 0
; COMPUTE_PGM_RSRC2:TGID_Z_EN: 0
; COMPUTE_PGM_RSRC2:TIDIG_COMP_CNT: 0
	.section	.text._Z6kernelI14inclusive_scanILN6hipcub18BlockScanAlgorithmE1EEhLj256ELj3ELj100EEvPKT0_PS4_S4_,"axG",@progbits,_Z6kernelI14inclusive_scanILN6hipcub18BlockScanAlgorithmE1EEhLj256ELj3ELj100EEvPKT0_PS4_S4_,comdat
	.protected	_Z6kernelI14inclusive_scanILN6hipcub18BlockScanAlgorithmE1EEhLj256ELj3ELj100EEvPKT0_PS4_S4_ ; -- Begin function _Z6kernelI14inclusive_scanILN6hipcub18BlockScanAlgorithmE1EEhLj256ELj3ELj100EEvPKT0_PS4_S4_
	.globl	_Z6kernelI14inclusive_scanILN6hipcub18BlockScanAlgorithmE1EEhLj256ELj3ELj100EEvPKT0_PS4_S4_
	.p2align	8
	.type	_Z6kernelI14inclusive_scanILN6hipcub18BlockScanAlgorithmE1EEhLj256ELj3ELj100EEvPKT0_PS4_S4_,@function
_Z6kernelI14inclusive_scanILN6hipcub18BlockScanAlgorithmE1EEhLj256ELj3ELj100EEvPKT0_PS4_S4_: ; @_Z6kernelI14inclusive_scanILN6hipcub18BlockScanAlgorithmE1EEhLj256ELj3ELj100EEvPKT0_PS4_S4_
; %bb.0:
	s_load_dword s0, s[4:5], 0x24
	s_load_dwordx4 s[8:11], s[4:5], 0x0
	v_mbcnt_lo_u32_b32 v4, -1, 0
	v_lshrrev_b32_e32 v5, 5, v0
	v_cmp_gt_u32_e32 vcc, 64, v0
	s_waitcnt lgkmcnt(0)
	s_and_b32 s0, s0, 0xffff
	s_mul_i32 s6, s6, s0
	v_add_u32_e32 v1, s6, v0
	v_lshl_add_u32 v3, v1, 1, v1
	v_add_u32_e32 v2, 1, v3
	v_add_u32_e32 v1, 2, v3
	global_load_ubyte v7, v3, s[8:9]
	global_load_ubyte v9, v2, s[8:9]
	;; [unrolled: 1-line block ×3, first 2 shown]
	s_mov_b32 s8, 0xc0c0004
	v_subrev_co_u32_e64 v8, s[0:1], 1, v0
	v_lshlrev_b32_e32 v6, 2, v0
	v_lshrrev_b32_e32 v11, 3, v0
	v_mbcnt_hi_u32_b32 v4, -1, v4
	v_lshrrev_b32_e32 v12, 5, v8
	v_add_u32_e32 v5, v5, v0
	s_movk_i32 s9, 0x64
	s_xor_b64 s[4:5], s[0:1], -1
	v_add_u32_e32 v6, v11, v6
	v_add_u32_e32 v8, v12, v8
	s_waitcnt vmcnt(1)
	v_perm_b32 v0, v7, v9, s8
	s_waitcnt vmcnt(0)
	v_lshl_or_b32 v10, v10, 16, v0
	v_and_b32_e32 v9, 15, v4
	s_branch .LBB43_2
.LBB43_1:                               ;   in Loop: Header=BB43_2 Depth=1
	s_or_b64 exec, exec, s[2:3]
	v_and_b32_e32 v11, 0xff, v0
	v_perm_b32 v10, v12, v7, s8
	v_lshlrev_b32_e32 v11, 16, v11
	s_add_i32 s9, s9, -1
	s_cmp_lg_u32 s9, 0
	v_or_b32_e32 v10, v10, v11
	s_cbranch_scc0 .LBB43_6
.LBB43_2:                               ; =>This Inner Loop Header: Depth=1
	v_lshrrev_b32_e32 v11, 8, v10
	v_add_u16_e32 v7, v11, v10
	v_add_u16_sdwa v0, v7, v10 dst_sel:DWORD dst_unused:UNUSED_PAD src0_sel:DWORD src1_sel:WORD_1
	ds_write_b8 v5, v0
	s_waitcnt lgkmcnt(0)
	s_barrier
	s_and_saveexec_b64 s[6:7], vcc
	s_cbranch_execz .LBB43_4
; %bb.3:                                ;   in Loop: Header=BB43_2 Depth=1
	ds_read_u8 v12, v6
	ds_read_u8 v13, v6 offset:1
	ds_read_u8 v14, v6 offset:2
	;; [unrolled: 1-line block ×3, first 2 shown]
	v_cmp_ne_u32_e64 s[2:3], 0, v9
	v_and_b32_e32 v18, 16, v4
	s_waitcnt lgkmcnt(2)
	v_add_u16_e32 v16, v13, v12
	s_waitcnt lgkmcnt(1)
	v_add_u16_e32 v16, v16, v14
	;; [unrolled: 2-line block ×3, first 2 shown]
	v_and_b32_e32 v17, 0xff, v16
	s_nop 1
	v_mov_b32_dpp v17, v17 row_shr:1 row_mask:0xf bank_mask:0xf
	v_cndmask_b32_e64 v17, 0, v17, s[2:3]
	v_add_u16_e32 v16, v17, v16
	v_and_b32_e32 v17, 0xff, v16
	v_cmp_lt_u32_e64 s[2:3], 1, v9
	s_nop 0
	v_mov_b32_dpp v17, v17 row_shr:2 row_mask:0xf bank_mask:0xf
	v_cndmask_b32_e64 v17, 0, v17, s[2:3]
	v_add_u16_e32 v16, v16, v17
	v_and_b32_e32 v17, 0xff, v16
	v_cmp_lt_u32_e64 s[2:3], 3, v9
	;; [unrolled: 6-line block ×3, first 2 shown]
	s_nop 0
	v_mov_b32_dpp v17, v17 row_shr:8 row_mask:0xf bank_mask:0xf
	v_cndmask_b32_e64 v17, 0, v17, s[2:3]
	v_add_u16_e32 v16, v16, v17
	v_and_b32_e32 v17, 0xff, v16
	v_cmp_ne_u32_e64 s[2:3], 0, v18
	v_and_b32_e32 v18, 64, v4
	v_mov_b32_dpp v17, v17 row_bcast:15 row_mask:0xf bank_mask:0xf
	v_cndmask_b32_e64 v17, 0, v17, s[2:3]
	v_add_u16_e32 v16, v16, v17
	v_and_b32_e32 v17, 0xff, v16
	v_cmp_lt_u32_e64 s[2:3], 31, v4
	s_nop 0
	v_mov_b32_dpp v17, v17 row_bcast:31 row_mask:0xf bank_mask:0xf
	v_cndmask_b32_e64 v17, 0, v17, s[2:3]
	v_add_u16_e32 v16, v16, v17
	v_add_u32_e32 v17, -1, v4
	v_cmp_lt_i32_e64 s[2:3], v17, v18
	v_cndmask_b32_e64 v17, v17, v4, s[2:3]
	v_lshlrev_b32_e32 v17, 2, v17
	v_and_b32_e32 v16, 0xff, v16
	ds_bpermute_b32 v16, v17, v16
	s_waitcnt lgkmcnt(0)
	v_add_u16_e32 v12, v12, v16
	v_cndmask_b32_e64 v12, v12, v0, s[0:1]
	ds_write_b8 v6, v12
	v_add_u16_e32 v12, v12, v13
	ds_write_b8 v6, v12 offset:1
	v_add_u16_e32 v12, v12, v14
	ds_write_b8 v6, v12 offset:2
	;; [unrolled: 2-line block ×3, first 2 shown]
.LBB43_4:                               ;   in Loop: Header=BB43_2 Depth=1
	s_or_b64 exec, exec, s[6:7]
	v_mov_b32_e32 v12, v10
	s_waitcnt lgkmcnt(0)
	s_barrier
	s_and_saveexec_b64 s[2:3], s[4:5]
	s_cbranch_execz .LBB43_1
; %bb.5:                                ;   in Loop: Header=BB43_2 Depth=1
	ds_read_u8 v0, v8
	s_waitcnt lgkmcnt(0)
	v_add_u16_e32 v12, v0, v10
	v_add_u16_e32 v7, v12, v11
	v_add_u16_sdwa v0, v7, v10 dst_sel:DWORD dst_unused:UNUSED_PAD src0_sel:DWORD src1_sel:WORD_1
	s_branch .LBB43_1
.LBB43_6:
	v_mov_b32_e32 v4, s11
	v_add_co_u32_e32 v3, vcc, s10, v3
	v_addc_co_u32_e32 v4, vcc, 0, v4, vcc
	global_store_byte v[3:4], v12, off
	v_mov_b32_e32 v3, s11
	v_add_co_u32_e32 v2, vcc, s10, v2
	v_addc_co_u32_e32 v3, vcc, 0, v3, vcc
	global_store_byte v[2:3], v7, off
	;; [unrolled: 4-line block ×3, first 2 shown]
	s_endpgm
	.section	.rodata,"a",@progbits
	.p2align	6, 0x0
	.amdhsa_kernel _Z6kernelI14inclusive_scanILN6hipcub18BlockScanAlgorithmE1EEhLj256ELj3ELj100EEvPKT0_PS4_S4_
		.amdhsa_group_segment_fixed_size 264
		.amdhsa_private_segment_fixed_size 0
		.amdhsa_kernarg_size 280
		.amdhsa_user_sgpr_count 6
		.amdhsa_user_sgpr_private_segment_buffer 1
		.amdhsa_user_sgpr_dispatch_ptr 0
		.amdhsa_user_sgpr_queue_ptr 0
		.amdhsa_user_sgpr_kernarg_segment_ptr 1
		.amdhsa_user_sgpr_dispatch_id 0
		.amdhsa_user_sgpr_flat_scratch_init 0
		.amdhsa_user_sgpr_private_segment_size 0
		.amdhsa_uses_dynamic_stack 0
		.amdhsa_system_sgpr_private_segment_wavefront_offset 0
		.amdhsa_system_sgpr_workgroup_id_x 1
		.amdhsa_system_sgpr_workgroup_id_y 0
		.amdhsa_system_sgpr_workgroup_id_z 0
		.amdhsa_system_sgpr_workgroup_info 0
		.amdhsa_system_vgpr_workitem_id 0
		.amdhsa_next_free_vgpr 19
		.amdhsa_next_free_sgpr 12
		.amdhsa_reserve_vcc 1
		.amdhsa_reserve_flat_scratch 0
		.amdhsa_float_round_mode_32 0
		.amdhsa_float_round_mode_16_64 0
		.amdhsa_float_denorm_mode_32 3
		.amdhsa_float_denorm_mode_16_64 3
		.amdhsa_dx10_clamp 1
		.amdhsa_ieee_mode 1
		.amdhsa_fp16_overflow 0
		.amdhsa_exception_fp_ieee_invalid_op 0
		.amdhsa_exception_fp_denorm_src 0
		.amdhsa_exception_fp_ieee_div_zero 0
		.amdhsa_exception_fp_ieee_overflow 0
		.amdhsa_exception_fp_ieee_underflow 0
		.amdhsa_exception_fp_ieee_inexact 0
		.amdhsa_exception_int_div_zero 0
	.end_amdhsa_kernel
	.section	.text._Z6kernelI14inclusive_scanILN6hipcub18BlockScanAlgorithmE1EEhLj256ELj3ELj100EEvPKT0_PS4_S4_,"axG",@progbits,_Z6kernelI14inclusive_scanILN6hipcub18BlockScanAlgorithmE1EEhLj256ELj3ELj100EEvPKT0_PS4_S4_,comdat
.Lfunc_end43:
	.size	_Z6kernelI14inclusive_scanILN6hipcub18BlockScanAlgorithmE1EEhLj256ELj3ELj100EEvPKT0_PS4_S4_, .Lfunc_end43-_Z6kernelI14inclusive_scanILN6hipcub18BlockScanAlgorithmE1EEhLj256ELj3ELj100EEvPKT0_PS4_S4_
                                        ; -- End function
	.set _Z6kernelI14inclusive_scanILN6hipcub18BlockScanAlgorithmE1EEhLj256ELj3ELj100EEvPKT0_PS4_S4_.num_vgpr, 19
	.set _Z6kernelI14inclusive_scanILN6hipcub18BlockScanAlgorithmE1EEhLj256ELj3ELj100EEvPKT0_PS4_S4_.num_agpr, 0
	.set _Z6kernelI14inclusive_scanILN6hipcub18BlockScanAlgorithmE1EEhLj256ELj3ELj100EEvPKT0_PS4_S4_.numbered_sgpr, 12
	.set _Z6kernelI14inclusive_scanILN6hipcub18BlockScanAlgorithmE1EEhLj256ELj3ELj100EEvPKT0_PS4_S4_.num_named_barrier, 0
	.set _Z6kernelI14inclusive_scanILN6hipcub18BlockScanAlgorithmE1EEhLj256ELj3ELj100EEvPKT0_PS4_S4_.private_seg_size, 0
	.set _Z6kernelI14inclusive_scanILN6hipcub18BlockScanAlgorithmE1EEhLj256ELj3ELj100EEvPKT0_PS4_S4_.uses_vcc, 1
	.set _Z6kernelI14inclusive_scanILN6hipcub18BlockScanAlgorithmE1EEhLj256ELj3ELj100EEvPKT0_PS4_S4_.uses_flat_scratch, 0
	.set _Z6kernelI14inclusive_scanILN6hipcub18BlockScanAlgorithmE1EEhLj256ELj3ELj100EEvPKT0_PS4_S4_.has_dyn_sized_stack, 0
	.set _Z6kernelI14inclusive_scanILN6hipcub18BlockScanAlgorithmE1EEhLj256ELj3ELj100EEvPKT0_PS4_S4_.has_recursion, 0
	.set _Z6kernelI14inclusive_scanILN6hipcub18BlockScanAlgorithmE1EEhLj256ELj3ELj100EEvPKT0_PS4_S4_.has_indirect_call, 0
	.section	.AMDGPU.csdata,"",@progbits
; Kernel info:
; codeLenInByte = 780
; TotalNumSgprs: 16
; NumVgprs: 19
; ScratchSize: 0
; MemoryBound: 0
; FloatMode: 240
; IeeeMode: 1
; LDSByteSize: 264 bytes/workgroup (compile time only)
; SGPRBlocks: 1
; VGPRBlocks: 4
; NumSGPRsForWavesPerEU: 16
; NumVGPRsForWavesPerEU: 19
; Occupancy: 10
; WaveLimiterHint : 0
; COMPUTE_PGM_RSRC2:SCRATCH_EN: 0
; COMPUTE_PGM_RSRC2:USER_SGPR: 6
; COMPUTE_PGM_RSRC2:TRAP_HANDLER: 0
; COMPUTE_PGM_RSRC2:TGID_X_EN: 1
; COMPUTE_PGM_RSRC2:TGID_Y_EN: 0
; COMPUTE_PGM_RSRC2:TGID_Z_EN: 0
; COMPUTE_PGM_RSRC2:TIDIG_COMP_CNT: 0
	.section	.text._Z6kernelI14inclusive_scanILN6hipcub18BlockScanAlgorithmE1EEhLj256ELj4ELj100EEvPKT0_PS4_S4_,"axG",@progbits,_Z6kernelI14inclusive_scanILN6hipcub18BlockScanAlgorithmE1EEhLj256ELj4ELj100EEvPKT0_PS4_S4_,comdat
	.protected	_Z6kernelI14inclusive_scanILN6hipcub18BlockScanAlgorithmE1EEhLj256ELj4ELj100EEvPKT0_PS4_S4_ ; -- Begin function _Z6kernelI14inclusive_scanILN6hipcub18BlockScanAlgorithmE1EEhLj256ELj4ELj100EEvPKT0_PS4_S4_
	.globl	_Z6kernelI14inclusive_scanILN6hipcub18BlockScanAlgorithmE1EEhLj256ELj4ELj100EEvPKT0_PS4_S4_
	.p2align	8
	.type	_Z6kernelI14inclusive_scanILN6hipcub18BlockScanAlgorithmE1EEhLj256ELj4ELj100EEvPKT0_PS4_S4_,@function
_Z6kernelI14inclusive_scanILN6hipcub18BlockScanAlgorithmE1EEhLj256ELj4ELj100EEvPKT0_PS4_S4_: ; @_Z6kernelI14inclusive_scanILN6hipcub18BlockScanAlgorithmE1EEhLj256ELj4ELj100EEvPKT0_PS4_S4_
; %bb.0:
	s_load_dword s0, s[4:5], 0x24
	s_load_dwordx4 s[8:11], s[4:5], 0x0
	v_lshrrev_b32_e32 v2, 5, v0
	v_lshlrev_b32_e32 v5, 2, v0
	v_lshrrev_b32_e32 v6, 3, v0
	s_waitcnt lgkmcnt(0)
	s_and_b32 s0, s0, 0xffff
	s_mul_i32 s6, s6, s0
	v_add_lshl_u32 v1, s6, v0, 2
	global_load_dword v4, v1, s[8:9]
	v_cmp_gt_u32_e32 vcc, 64, v0
	v_subrev_co_u32_e64 v3, s[0:1], 1, v0
	v_add_u32_e32 v0, v2, v0
	v_add_u32_e32 v2, v6, v5
	v_mbcnt_lo_u32_b32 v5, -1, 0
	v_lshrrev_b32_e32 v7, 5, v3
	v_mbcnt_hi_u32_b32 v5, -1, v5
	s_xor_b64 s[4:5], s[0:1], -1
	s_movk_i32 s8, 0x64
	s_mov_b32 s9, 0xc0c0004
	v_add_u32_e32 v3, v7, v3
	v_and_b32_e32 v6, 15, v5
	v_and_b32_e32 v7, 16, v5
	v_add_u32_e32 v8, -1, v5
	v_and_b32_e32 v9, 64, v5
.LBB44_1:                               ; =>This Inner Loop Header: Depth=1
	s_waitcnt vmcnt(0)
	v_lshrrev_b32_e32 v10, 8, v4
	v_add_u16_e32 v11, v10, v4
	v_add_u16_sdwa v12, v11, v4 dst_sel:DWORD dst_unused:UNUSED_PAD src0_sel:DWORD src1_sel:WORD_1
	v_add_u16_sdwa v13, v12, v4 dst_sel:DWORD dst_unused:UNUSED_PAD src0_sel:DWORD src1_sel:BYTE_3
	ds_write_b8 v0, v13
	s_waitcnt lgkmcnt(0)
	s_barrier
	s_and_saveexec_b64 s[6:7], vcc
	s_cbranch_execz .LBB44_3
; %bb.2:                                ;   in Loop: Header=BB44_1 Depth=1
	ds_read_u8 v14, v2
	ds_read_u8 v15, v2 offset:1
	ds_read_u8 v16, v2 offset:2
	;; [unrolled: 1-line block ×3, first 2 shown]
	v_cmp_ne_u32_e64 s[2:3], 0, v6
	s_waitcnt lgkmcnt(2)
	v_add_u16_e32 v18, v15, v14
	s_waitcnt lgkmcnt(1)
	v_add_u16_e32 v18, v18, v16
	;; [unrolled: 2-line block ×3, first 2 shown]
	v_and_b32_e32 v19, 0xff, v18
	s_nop 1
	v_mov_b32_dpp v19, v19 row_shr:1 row_mask:0xf bank_mask:0xf
	v_cndmask_b32_e64 v19, 0, v19, s[2:3]
	v_add_u16_e32 v18, v19, v18
	v_and_b32_e32 v19, 0xff, v18
	v_cmp_lt_u32_e64 s[2:3], 1, v6
	s_nop 0
	v_mov_b32_dpp v19, v19 row_shr:2 row_mask:0xf bank_mask:0xf
	v_cndmask_b32_e64 v19, 0, v19, s[2:3]
	v_add_u16_e32 v18, v18, v19
	v_and_b32_e32 v19, 0xff, v18
	v_cmp_lt_u32_e64 s[2:3], 3, v6
	;; [unrolled: 6-line block ×3, first 2 shown]
	s_nop 0
	v_mov_b32_dpp v19, v19 row_shr:8 row_mask:0xf bank_mask:0xf
	v_cndmask_b32_e64 v19, 0, v19, s[2:3]
	v_add_u16_e32 v18, v18, v19
	v_and_b32_e32 v19, 0xff, v18
	v_cmp_ne_u32_e64 s[2:3], 0, v7
	s_nop 0
	v_mov_b32_dpp v19, v19 row_bcast:15 row_mask:0xf bank_mask:0xf
	v_cndmask_b32_e64 v19, 0, v19, s[2:3]
	v_add_u16_e32 v18, v18, v19
	v_and_b32_e32 v19, 0xff, v18
	v_cmp_lt_u32_e64 s[2:3], 31, v5
	s_nop 0
	v_mov_b32_dpp v19, v19 row_bcast:31 row_mask:0xf bank_mask:0xf
	v_cndmask_b32_e64 v19, 0, v19, s[2:3]
	v_cmp_lt_i32_e64 s[2:3], v8, v9
	v_add_u16_e32 v18, v18, v19
	v_cndmask_b32_e64 v19, v8, v5, s[2:3]
	v_lshlrev_b32_e32 v19, 2, v19
	v_and_b32_e32 v18, 0xff, v18
	ds_bpermute_b32 v18, v19, v18
	s_waitcnt lgkmcnt(0)
	v_add_u16_e32 v14, v14, v18
	v_cndmask_b32_e64 v14, v14, v13, s[0:1]
	ds_write_b8 v2, v14
	v_add_u16_e32 v14, v14, v15
	ds_write_b8 v2, v14 offset:1
	v_add_u16_e32 v14, v14, v16
	ds_write_b8 v2, v14 offset:2
	;; [unrolled: 2-line block ×3, first 2 shown]
.LBB44_3:                               ;   in Loop: Header=BB44_1 Depth=1
	s_or_b64 exec, exec, s[6:7]
	v_perm_b32 v11, v4, v11, s9
	v_perm_b32 v12, v12, v13, s9
	v_lshl_or_b32 v11, v12, 16, v11
	s_waitcnt lgkmcnt(0)
	s_barrier
	s_and_saveexec_b64 s[2:3], s[4:5]
	s_cbranch_execz .LBB44_5
; %bb.4:                                ;   in Loop: Header=BB44_1 Depth=1
	ds_read_u8 v11, v3
	s_waitcnt lgkmcnt(0)
	v_add_u16_e32 v11, v11, v4
	v_add_u16_e32 v10, v11, v10
	v_add_u16_sdwa v12, v10, v4 dst_sel:DWORD dst_unused:UNUSED_PAD src0_sel:DWORD src1_sel:WORD_1
	v_lshlrev_b16_e32 v10, 8, v10
	v_add_u16_sdwa v4, v12, v4 dst_sel:BYTE_1 dst_unused:UNUSED_PAD src0_sel:DWORD src1_sel:BYTE_3
	v_or_b32_sdwa v10, v11, v10 dst_sel:DWORD dst_unused:UNUSED_PAD src0_sel:BYTE_0 src1_sel:DWORD
	v_or_b32_sdwa v4, v12, v4 dst_sel:WORD_1 dst_unused:UNUSED_PAD src0_sel:BYTE_0 src1_sel:DWORD
	v_or_b32_sdwa v11, v10, v4 dst_sel:DWORD dst_unused:UNUSED_PAD src0_sel:WORD_0 src1_sel:DWORD
.LBB44_5:                               ;   in Loop: Header=BB44_1 Depth=1
	s_or_b64 exec, exec, s[2:3]
	s_add_i32 s8, s8, -1
	s_cmp_lg_u32 s8, 0
	s_cbranch_scc0 .LBB44_7
; %bb.6:                                ;   in Loop: Header=BB44_1 Depth=1
	v_mov_b32_e32 v4, v11
	s_branch .LBB44_1
.LBB44_7:
	v_mov_b32_e32 v2, s11
	v_add_co_u32_e32 v0, vcc, s10, v1
	v_addc_co_u32_e32 v1, vcc, 0, v2, vcc
	global_store_dword v[0:1], v11, off
	s_endpgm
	.section	.rodata,"a",@progbits
	.p2align	6, 0x0
	.amdhsa_kernel _Z6kernelI14inclusive_scanILN6hipcub18BlockScanAlgorithmE1EEhLj256ELj4ELj100EEvPKT0_PS4_S4_
		.amdhsa_group_segment_fixed_size 264
		.amdhsa_private_segment_fixed_size 0
		.amdhsa_kernarg_size 280
		.amdhsa_user_sgpr_count 6
		.amdhsa_user_sgpr_private_segment_buffer 1
		.amdhsa_user_sgpr_dispatch_ptr 0
		.amdhsa_user_sgpr_queue_ptr 0
		.amdhsa_user_sgpr_kernarg_segment_ptr 1
		.amdhsa_user_sgpr_dispatch_id 0
		.amdhsa_user_sgpr_flat_scratch_init 0
		.amdhsa_user_sgpr_private_segment_size 0
		.amdhsa_uses_dynamic_stack 0
		.amdhsa_system_sgpr_private_segment_wavefront_offset 0
		.amdhsa_system_sgpr_workgroup_id_x 1
		.amdhsa_system_sgpr_workgroup_id_y 0
		.amdhsa_system_sgpr_workgroup_id_z 0
		.amdhsa_system_sgpr_workgroup_info 0
		.amdhsa_system_vgpr_workitem_id 0
		.amdhsa_next_free_vgpr 20
		.amdhsa_next_free_sgpr 12
		.amdhsa_reserve_vcc 1
		.amdhsa_reserve_flat_scratch 0
		.amdhsa_float_round_mode_32 0
		.amdhsa_float_round_mode_16_64 0
		.amdhsa_float_denorm_mode_32 3
		.amdhsa_float_denorm_mode_16_64 3
		.amdhsa_dx10_clamp 1
		.amdhsa_ieee_mode 1
		.amdhsa_fp16_overflow 0
		.amdhsa_exception_fp_ieee_invalid_op 0
		.amdhsa_exception_fp_denorm_src 0
		.amdhsa_exception_fp_ieee_div_zero 0
		.amdhsa_exception_fp_ieee_overflow 0
		.amdhsa_exception_fp_ieee_underflow 0
		.amdhsa_exception_fp_ieee_inexact 0
		.amdhsa_exception_int_div_zero 0
	.end_amdhsa_kernel
	.section	.text._Z6kernelI14inclusive_scanILN6hipcub18BlockScanAlgorithmE1EEhLj256ELj4ELj100EEvPKT0_PS4_S4_,"axG",@progbits,_Z6kernelI14inclusive_scanILN6hipcub18BlockScanAlgorithmE1EEhLj256ELj4ELj100EEvPKT0_PS4_S4_,comdat
.Lfunc_end44:
	.size	_Z6kernelI14inclusive_scanILN6hipcub18BlockScanAlgorithmE1EEhLj256ELj4ELj100EEvPKT0_PS4_S4_, .Lfunc_end44-_Z6kernelI14inclusive_scanILN6hipcub18BlockScanAlgorithmE1EEhLj256ELj4ELj100EEvPKT0_PS4_S4_
                                        ; -- End function
	.set _Z6kernelI14inclusive_scanILN6hipcub18BlockScanAlgorithmE1EEhLj256ELj4ELj100EEvPKT0_PS4_S4_.num_vgpr, 20
	.set _Z6kernelI14inclusive_scanILN6hipcub18BlockScanAlgorithmE1EEhLj256ELj4ELj100EEvPKT0_PS4_S4_.num_agpr, 0
	.set _Z6kernelI14inclusive_scanILN6hipcub18BlockScanAlgorithmE1EEhLj256ELj4ELj100EEvPKT0_PS4_S4_.numbered_sgpr, 12
	.set _Z6kernelI14inclusive_scanILN6hipcub18BlockScanAlgorithmE1EEhLj256ELj4ELj100EEvPKT0_PS4_S4_.num_named_barrier, 0
	.set _Z6kernelI14inclusive_scanILN6hipcub18BlockScanAlgorithmE1EEhLj256ELj4ELj100EEvPKT0_PS4_S4_.private_seg_size, 0
	.set _Z6kernelI14inclusive_scanILN6hipcub18BlockScanAlgorithmE1EEhLj256ELj4ELj100EEvPKT0_PS4_S4_.uses_vcc, 1
	.set _Z6kernelI14inclusive_scanILN6hipcub18BlockScanAlgorithmE1EEhLj256ELj4ELj100EEvPKT0_PS4_S4_.uses_flat_scratch, 0
	.set _Z6kernelI14inclusive_scanILN6hipcub18BlockScanAlgorithmE1EEhLj256ELj4ELj100EEvPKT0_PS4_S4_.has_dyn_sized_stack, 0
	.set _Z6kernelI14inclusive_scanILN6hipcub18BlockScanAlgorithmE1EEhLj256ELj4ELj100EEvPKT0_PS4_S4_.has_recursion, 0
	.set _Z6kernelI14inclusive_scanILN6hipcub18BlockScanAlgorithmE1EEhLj256ELj4ELj100EEvPKT0_PS4_S4_.has_indirect_call, 0
	.section	.AMDGPU.csdata,"",@progbits
; Kernel info:
; codeLenInByte = 736
; TotalNumSgprs: 16
; NumVgprs: 20
; ScratchSize: 0
; MemoryBound: 0
; FloatMode: 240
; IeeeMode: 1
; LDSByteSize: 264 bytes/workgroup (compile time only)
; SGPRBlocks: 1
; VGPRBlocks: 4
; NumSGPRsForWavesPerEU: 16
; NumVGPRsForWavesPerEU: 20
; Occupancy: 10
; WaveLimiterHint : 0
; COMPUTE_PGM_RSRC2:SCRATCH_EN: 0
; COMPUTE_PGM_RSRC2:USER_SGPR: 6
; COMPUTE_PGM_RSRC2:TRAP_HANDLER: 0
; COMPUTE_PGM_RSRC2:TGID_X_EN: 1
; COMPUTE_PGM_RSRC2:TGID_Y_EN: 0
; COMPUTE_PGM_RSRC2:TGID_Z_EN: 0
; COMPUTE_PGM_RSRC2:TIDIG_COMP_CNT: 0
	.section	.text._Z6kernelI14inclusive_scanILN6hipcub18BlockScanAlgorithmE1EEhLj256ELj8ELj100EEvPKT0_PS4_S4_,"axG",@progbits,_Z6kernelI14inclusive_scanILN6hipcub18BlockScanAlgorithmE1EEhLj256ELj8ELj100EEvPKT0_PS4_S4_,comdat
	.protected	_Z6kernelI14inclusive_scanILN6hipcub18BlockScanAlgorithmE1EEhLj256ELj8ELj100EEvPKT0_PS4_S4_ ; -- Begin function _Z6kernelI14inclusive_scanILN6hipcub18BlockScanAlgorithmE1EEhLj256ELj8ELj100EEvPKT0_PS4_S4_
	.globl	_Z6kernelI14inclusive_scanILN6hipcub18BlockScanAlgorithmE1EEhLj256ELj8ELj100EEvPKT0_PS4_S4_
	.p2align	8
	.type	_Z6kernelI14inclusive_scanILN6hipcub18BlockScanAlgorithmE1EEhLj256ELj8ELj100EEvPKT0_PS4_S4_,@function
_Z6kernelI14inclusive_scanILN6hipcub18BlockScanAlgorithmE1EEhLj256ELj8ELj100EEvPKT0_PS4_S4_: ; @_Z6kernelI14inclusive_scanILN6hipcub18BlockScanAlgorithmE1EEhLj256ELj8ELj100EEvPKT0_PS4_S4_
; %bb.0:
	s_load_dword s0, s[4:5], 0x24
	s_load_dwordx4 s[8:11], s[4:5], 0x0
	v_lshrrev_b32_e32 v3, 5, v0
	v_cmp_gt_u32_e32 vcc, 64, v0
	v_lshlrev_b32_e32 v6, 2, v0
	s_waitcnt lgkmcnt(0)
	s_and_b32 s0, s0, 0xffff
	s_mul_i32 s6, s6, s0
	v_add_lshl_u32 v5, s6, v0, 3
	global_load_dwordx2 v[1:2], v5, s[8:9]
	v_subrev_co_u32_e64 v4, s[0:1], 1, v0
	v_lshrrev_b32_e32 v7, 3, v0
	v_lshrrev_b32_e32 v8, 5, v4
	v_add_u32_e32 v0, v3, v0
	v_mbcnt_lo_u32_b32 v3, -1, 0
	s_xor_b64 s[4:5], s[0:1], -1
	s_movk_i32 s8, 0x64
	v_add_u32_e32 v6, v7, v6
	s_mov_b32 s9, 0xc0c0004
	v_add_u32_e32 v7, v8, v4
	v_mbcnt_hi_u32_b32 v8, -1, v3
.LBB45_1:                               ; =>This Inner Loop Header: Depth=1
	s_waitcnt vmcnt(0)
	v_lshrrev_b32_e32 v10, 8, v1
	v_add_u16_e32 v3, v10, v1
	v_add_u16_sdwa v4, v3, v1 dst_sel:DWORD dst_unused:UNUSED_PAD src0_sel:DWORD src1_sel:WORD_1
	v_add_u16_sdwa v12, v4, v1 dst_sel:DWORD dst_unused:UNUSED_PAD src0_sel:DWORD src1_sel:BYTE_3
	v_lshrrev_b32_e32 v9, 8, v2
	v_add_u16_e32 v11, v12, v2
	v_add_u16_e32 v13, v11, v9
	v_add_u16_sdwa v14, v13, v2 dst_sel:DWORD dst_unused:UNUSED_PAD src0_sel:DWORD src1_sel:WORD_1
	v_add_u16_sdwa v15, v14, v2 dst_sel:DWORD dst_unused:UNUSED_PAD src0_sel:DWORD src1_sel:BYTE_3
	ds_write_b8 v0, v15
	s_waitcnt lgkmcnt(0)
	s_barrier
	s_and_saveexec_b64 s[6:7], vcc
	s_cbranch_execz .LBB45_3
; %bb.2:                                ;   in Loop: Header=BB45_1 Depth=1
	ds_read_u8 v16, v6
	ds_read_u8 v17, v6 offset:1
	ds_read_u8 v18, v6 offset:2
	;; [unrolled: 1-line block ×3, first 2 shown]
	v_and_b32_e32 v20, 15, v8
	v_cmp_ne_u32_e64 s[2:3], 0, v20
	s_waitcnt lgkmcnt(2)
	v_add_u16_e32 v21, v17, v16
	s_waitcnt lgkmcnt(1)
	v_add_u16_e32 v21, v21, v18
	;; [unrolled: 2-line block ×3, first 2 shown]
	v_and_b32_e32 v22, 0xff, v21
	s_nop 1
	v_mov_b32_dpp v22, v22 row_shr:1 row_mask:0xf bank_mask:0xf
	v_cndmask_b32_e64 v22, 0, v22, s[2:3]
	v_add_u16_e32 v21, v22, v21
	v_and_b32_e32 v22, 0xff, v21
	v_cmp_lt_u32_e64 s[2:3], 1, v20
	s_nop 0
	v_mov_b32_dpp v22, v22 row_shr:2 row_mask:0xf bank_mask:0xf
	v_cndmask_b32_e64 v22, 0, v22, s[2:3]
	v_add_u16_e32 v21, v21, v22
	v_and_b32_e32 v22, 0xff, v21
	v_cmp_lt_u32_e64 s[2:3], 3, v20
	;; [unrolled: 6-line block ×3, first 2 shown]
	s_nop 0
	v_mov_b32_dpp v22, v22 row_shr:8 row_mask:0xf bank_mask:0xf
	v_cndmask_b32_e64 v20, 0, v22, s[2:3]
	v_add_u16_e32 v20, v21, v20
	v_and_b32_e32 v21, 0xff, v20
	v_and_b32_e32 v22, 16, v8
	v_cmp_ne_u32_e64 s[2:3], 0, v22
	v_mov_b32_dpp v21, v21 row_bcast:15 row_mask:0xf bank_mask:0xf
	v_cndmask_b32_e64 v21, 0, v21, s[2:3]
	v_add_u16_e32 v20, v20, v21
	v_and_b32_e32 v21, 0xff, v20
	v_cmp_lt_u32_e64 s[2:3], 31, v8
	v_and_b32_e32 v22, 64, v8
	v_mov_b32_dpp v21, v21 row_bcast:31 row_mask:0xf bank_mask:0xf
	v_cndmask_b32_e64 v21, 0, v21, s[2:3]
	v_add_u16_e32 v20, v20, v21
	v_add_u32_e32 v21, -1, v8
	v_cmp_lt_i32_e64 s[2:3], v21, v22
	v_cndmask_b32_e64 v21, v21, v8, s[2:3]
	v_lshlrev_b32_e32 v21, 2, v21
	v_and_b32_e32 v20, 0xff, v20
	ds_bpermute_b32 v20, v21, v20
	s_waitcnt lgkmcnt(0)
	v_add_u16_e32 v16, v16, v20
	v_cndmask_b32_e64 v16, v16, v15, s[0:1]
	ds_write_b8 v6, v16
	v_add_u16_e32 v16, v16, v17
	ds_write_b8 v6, v16 offset:1
	v_add_u16_e32 v16, v16, v18
	ds_write_b8 v6, v16 offset:2
	;; [unrolled: 2-line block ×3, first 2 shown]
.LBB45_3:                               ;   in Loop: Header=BB45_1 Depth=1
	s_or_b64 exec, exec, s[6:7]
	v_perm_b32 v3, v1, v3, s9
	v_perm_b32 v4, v4, v12, s9
	v_lshl_or_b32 v3, v4, 16, v3
	v_perm_b32 v4, v11, v13, s9
	v_perm_b32 v11, v14, v15, s9
	v_lshl_or_b32 v4, v11, 16, v4
	s_waitcnt lgkmcnt(0)
	s_barrier
	s_and_saveexec_b64 s[2:3], s[4:5]
	s_cbranch_execz .LBB45_5
; %bb.4:                                ;   in Loop: Header=BB45_1 Depth=1
	ds_read_u8 v3, v7
	s_waitcnt lgkmcnt(0)
	v_add_u16_e32 v3, v3, v1
	v_add_u16_e32 v4, v3, v10
	v_add_u16_sdwa v10, v4, v1 dst_sel:DWORD dst_unused:UNUSED_PAD src0_sel:DWORD src1_sel:WORD_1
	v_lshlrev_b16_e32 v4, 8, v4
	v_add_u16_sdwa v1, v10, v1 dst_sel:DWORD dst_unused:UNUSED_PAD src0_sel:DWORD src1_sel:BYTE_3
	v_or_b32_sdwa v3, v3, v4 dst_sel:DWORD dst_unused:UNUSED_PAD src0_sel:BYTE_0 src1_sel:DWORD
	v_add_u16_e32 v4, v1, v2
	v_lshlrev_b16_e32 v1, 8, v1
	v_add_u16_e32 v9, v4, v9
	v_or_b32_sdwa v1, v10, v1 dst_sel:WORD_1 dst_unused:UNUSED_PAD src0_sel:BYTE_0 src1_sel:DWORD
	v_add_u16_sdwa v10, v9, v2 dst_sel:DWORD dst_unused:UNUSED_PAD src0_sel:DWORD src1_sel:WORD_1
	v_add_u16_sdwa v2, v10, v2 dst_sel:BYTE_1 dst_unused:UNUSED_PAD src0_sel:DWORD src1_sel:BYTE_3
	v_or_b32_sdwa v3, v3, v1 dst_sel:DWORD dst_unused:UNUSED_PAD src0_sel:WORD_0 src1_sel:DWORD
	v_lshlrev_b16_e32 v1, 8, v9
	v_or_b32_sdwa v1, v4, v1 dst_sel:DWORD dst_unused:UNUSED_PAD src0_sel:BYTE_0 src1_sel:DWORD
	v_or_b32_sdwa v2, v10, v2 dst_sel:WORD_1 dst_unused:UNUSED_PAD src0_sel:BYTE_0 src1_sel:DWORD
	v_or_b32_sdwa v4, v1, v2 dst_sel:DWORD dst_unused:UNUSED_PAD src0_sel:WORD_0 src1_sel:DWORD
.LBB45_5:                               ;   in Loop: Header=BB45_1 Depth=1
	s_or_b64 exec, exec, s[2:3]
	s_add_i32 s8, s8, -1
	s_cmp_lg_u32 s8, 0
	s_cbranch_scc0 .LBB45_7
; %bb.6:                                ;   in Loop: Header=BB45_1 Depth=1
	v_mov_b32_e32 v1, v3
	v_mov_b32_e32 v2, v4
	s_branch .LBB45_1
.LBB45_7:
	v_mov_b32_e32 v1, s11
	v_add_co_u32_e32 v0, vcc, s10, v5
	v_addc_co_u32_e32 v1, vcc, 0, v1, vcc
	global_store_dwordx2 v[0:1], v[3:4], off
	s_endpgm
	.section	.rodata,"a",@progbits
	.p2align	6, 0x0
	.amdhsa_kernel _Z6kernelI14inclusive_scanILN6hipcub18BlockScanAlgorithmE1EEhLj256ELj8ELj100EEvPKT0_PS4_S4_
		.amdhsa_group_segment_fixed_size 264
		.amdhsa_private_segment_fixed_size 0
		.amdhsa_kernarg_size 280
		.amdhsa_user_sgpr_count 6
		.amdhsa_user_sgpr_private_segment_buffer 1
		.amdhsa_user_sgpr_dispatch_ptr 0
		.amdhsa_user_sgpr_queue_ptr 0
		.amdhsa_user_sgpr_kernarg_segment_ptr 1
		.amdhsa_user_sgpr_dispatch_id 0
		.amdhsa_user_sgpr_flat_scratch_init 0
		.amdhsa_user_sgpr_private_segment_size 0
		.amdhsa_uses_dynamic_stack 0
		.amdhsa_system_sgpr_private_segment_wavefront_offset 0
		.amdhsa_system_sgpr_workgroup_id_x 1
		.amdhsa_system_sgpr_workgroup_id_y 0
		.amdhsa_system_sgpr_workgroup_id_z 0
		.amdhsa_system_sgpr_workgroup_info 0
		.amdhsa_system_vgpr_workitem_id 0
		.amdhsa_next_free_vgpr 23
		.amdhsa_next_free_sgpr 12
		.amdhsa_reserve_vcc 1
		.amdhsa_reserve_flat_scratch 0
		.amdhsa_float_round_mode_32 0
		.amdhsa_float_round_mode_16_64 0
		.amdhsa_float_denorm_mode_32 3
		.amdhsa_float_denorm_mode_16_64 3
		.amdhsa_dx10_clamp 1
		.amdhsa_ieee_mode 1
		.amdhsa_fp16_overflow 0
		.amdhsa_exception_fp_ieee_invalid_op 0
		.amdhsa_exception_fp_denorm_src 0
		.amdhsa_exception_fp_ieee_div_zero 0
		.amdhsa_exception_fp_ieee_overflow 0
		.amdhsa_exception_fp_ieee_underflow 0
		.amdhsa_exception_fp_ieee_inexact 0
		.amdhsa_exception_int_div_zero 0
	.end_amdhsa_kernel
	.section	.text._Z6kernelI14inclusive_scanILN6hipcub18BlockScanAlgorithmE1EEhLj256ELj8ELj100EEvPKT0_PS4_S4_,"axG",@progbits,_Z6kernelI14inclusive_scanILN6hipcub18BlockScanAlgorithmE1EEhLj256ELj8ELj100EEvPKT0_PS4_S4_,comdat
.Lfunc_end45:
	.size	_Z6kernelI14inclusive_scanILN6hipcub18BlockScanAlgorithmE1EEhLj256ELj8ELj100EEvPKT0_PS4_S4_, .Lfunc_end45-_Z6kernelI14inclusive_scanILN6hipcub18BlockScanAlgorithmE1EEhLj256ELj8ELj100EEvPKT0_PS4_S4_
                                        ; -- End function
	.set _Z6kernelI14inclusive_scanILN6hipcub18BlockScanAlgorithmE1EEhLj256ELj8ELj100EEvPKT0_PS4_S4_.num_vgpr, 23
	.set _Z6kernelI14inclusive_scanILN6hipcub18BlockScanAlgorithmE1EEhLj256ELj8ELj100EEvPKT0_PS4_S4_.num_agpr, 0
	.set _Z6kernelI14inclusive_scanILN6hipcub18BlockScanAlgorithmE1EEhLj256ELj8ELj100EEvPKT0_PS4_S4_.numbered_sgpr, 12
	.set _Z6kernelI14inclusive_scanILN6hipcub18BlockScanAlgorithmE1EEhLj256ELj8ELj100EEvPKT0_PS4_S4_.num_named_barrier, 0
	.set _Z6kernelI14inclusive_scanILN6hipcub18BlockScanAlgorithmE1EEhLj256ELj8ELj100EEvPKT0_PS4_S4_.private_seg_size, 0
	.set _Z6kernelI14inclusive_scanILN6hipcub18BlockScanAlgorithmE1EEhLj256ELj8ELj100EEvPKT0_PS4_S4_.uses_vcc, 1
	.set _Z6kernelI14inclusive_scanILN6hipcub18BlockScanAlgorithmE1EEhLj256ELj8ELj100EEvPKT0_PS4_S4_.uses_flat_scratch, 0
	.set _Z6kernelI14inclusive_scanILN6hipcub18BlockScanAlgorithmE1EEhLj256ELj8ELj100EEvPKT0_PS4_S4_.has_dyn_sized_stack, 0
	.set _Z6kernelI14inclusive_scanILN6hipcub18BlockScanAlgorithmE1EEhLj256ELj8ELj100EEvPKT0_PS4_S4_.has_recursion, 0
	.set _Z6kernelI14inclusive_scanILN6hipcub18BlockScanAlgorithmE1EEhLj256ELj8ELj100EEvPKT0_PS4_S4_.has_indirect_call, 0
	.section	.AMDGPU.csdata,"",@progbits
; Kernel info:
; codeLenInByte = 840
; TotalNumSgprs: 16
; NumVgprs: 23
; ScratchSize: 0
; MemoryBound: 0
; FloatMode: 240
; IeeeMode: 1
; LDSByteSize: 264 bytes/workgroup (compile time only)
; SGPRBlocks: 1
; VGPRBlocks: 5
; NumSGPRsForWavesPerEU: 16
; NumVGPRsForWavesPerEU: 23
; Occupancy: 10
; WaveLimiterHint : 0
; COMPUTE_PGM_RSRC2:SCRATCH_EN: 0
; COMPUTE_PGM_RSRC2:USER_SGPR: 6
; COMPUTE_PGM_RSRC2:TRAP_HANDLER: 0
; COMPUTE_PGM_RSRC2:TGID_X_EN: 1
; COMPUTE_PGM_RSRC2:TGID_Y_EN: 0
; COMPUTE_PGM_RSRC2:TGID_Z_EN: 0
; COMPUTE_PGM_RSRC2:TIDIG_COMP_CNT: 0
	.section	.text._Z6kernelI14inclusive_scanILN6hipcub18BlockScanAlgorithmE1EEhLj256ELj11ELj100EEvPKT0_PS4_S4_,"axG",@progbits,_Z6kernelI14inclusive_scanILN6hipcub18BlockScanAlgorithmE1EEhLj256ELj11ELj100EEvPKT0_PS4_S4_,comdat
	.protected	_Z6kernelI14inclusive_scanILN6hipcub18BlockScanAlgorithmE1EEhLj256ELj11ELj100EEvPKT0_PS4_S4_ ; -- Begin function _Z6kernelI14inclusive_scanILN6hipcub18BlockScanAlgorithmE1EEhLj256ELj11ELj100EEvPKT0_PS4_S4_
	.globl	_Z6kernelI14inclusive_scanILN6hipcub18BlockScanAlgorithmE1EEhLj256ELj11ELj100EEvPKT0_PS4_S4_
	.p2align	8
	.type	_Z6kernelI14inclusive_scanILN6hipcub18BlockScanAlgorithmE1EEhLj256ELj11ELj100EEvPKT0_PS4_S4_,@function
_Z6kernelI14inclusive_scanILN6hipcub18BlockScanAlgorithmE1EEhLj256ELj11ELj100EEvPKT0_PS4_S4_: ; @_Z6kernelI14inclusive_scanILN6hipcub18BlockScanAlgorithmE1EEhLj256ELj11ELj100EEvPKT0_PS4_S4_
; %bb.0:
	s_load_dword s0, s[4:5], 0x24
	s_load_dwordx4 s[8:11], s[4:5], 0x0
	v_lshrrev_b32_e32 v16, 5, v0
	v_cmp_gt_u32_e32 vcc, 64, v0
	v_lshlrev_b32_e32 v17, 2, v0
	s_waitcnt lgkmcnt(0)
	s_and_b32 s0, s0, 0xffff
	s_mul_i32 s6, s6, s0
	v_add_u32_e32 v1, s6, v0
	v_mul_lo_u32 v10, v1, 11
	v_subrev_co_u32_e64 v19, s[0:1], 1, v0
	v_lshrrev_b32_e32 v24, 3, v0
	v_add_u32_e32 v8, 1, v10
	v_add_u32_e32 v6, 2, v10
	;; [unrolled: 1-line block ×7, first 2 shown]
	global_load_ubyte v12, v10, s[8:9]
	global_load_ubyte v13, v8, s[8:9]
	;; [unrolled: 1-line block ×8, first 2 shown]
	v_add_u32_e32 v11, 8, v10
	v_add_u32_e32 v9, 9, v10
	;; [unrolled: 1-line block ×3, first 2 shown]
	global_load_ubyte v25, v11, s[8:9]
	global_load_ubyte v26, v9, s[8:9]
	;; [unrolled: 1-line block ×3, first 2 shown]
	s_mov_b32 s8, 0xc0c0004
	v_add_u32_e32 v16, v16, v0
	v_lshrrev_b32_e32 v0, 5, v19
	v_mbcnt_lo_u32_b32 v23, -1, 0
	v_add_u32_e32 v19, v0, v19
	s_movk_i32 s9, 0x64
	v_add_u32_e32 v17, v24, v17
	s_xor_b64 s[4:5], s[0:1], -1
	s_waitcnt vmcnt(9)
	v_perm_b32 v0, v12, v13, s8
	s_waitcnt vmcnt(7)
	v_perm_b32 v12, v14, v15, s8
	v_lshl_or_b32 v28, v12, 16, v0
	s_waitcnt vmcnt(5)
	v_perm_b32 v13, v20, v18, s8
	s_waitcnt vmcnt(3)
	v_perm_b32 v14, v22, v21, s8
	v_lshl_or_b32 v29, v14, 16, v13
	v_mbcnt_hi_u32_b32 v21, -1, v23
.LBB46_1:                               ; =>This Inner Loop Header: Depth=1
	v_lshrrev_b32_e32 v31, 8, v28
	v_add_u16_e32 v24, v31, v28
	v_add_u16_sdwa v23, v24, v28 dst_sel:DWORD dst_unused:UNUSED_PAD src0_sel:DWORD src1_sel:WORD_1
	v_add_u16_sdwa v22, v23, v28 dst_sel:DWORD dst_unused:UNUSED_PAD src0_sel:DWORD src1_sel:BYTE_3
	v_lshrrev_b32_e32 v30, 8, v29
	v_add_u16_e32 v20, v22, v29
	v_add_u16_e32 v18, v20, v30
	v_add_u16_sdwa v15, v18, v29 dst_sel:DWORD dst_unused:UNUSED_PAD src0_sel:DWORD src1_sel:WORD_1
	v_add_u16_sdwa v14, v15, v29 dst_sel:DWORD dst_unused:UNUSED_PAD src0_sel:DWORD src1_sel:BYTE_3
	s_waitcnt vmcnt(2)
	v_add_u16_e32 v13, v14, v25
	s_waitcnt vmcnt(1)
	v_add_u16_e32 v12, v13, v26
	;; [unrolled: 2-line block ×3, first 2 shown]
	ds_write_b8 v16, v0
	s_waitcnt lgkmcnt(0)
	s_barrier
	s_and_saveexec_b64 s[6:7], vcc
	s_cbranch_execz .LBB46_3
; %bb.2:                                ;   in Loop: Header=BB46_1 Depth=1
	ds_read_u8 v32, v17
	ds_read_u8 v33, v17 offset:1
	ds_read_u8 v34, v17 offset:2
	;; [unrolled: 1-line block ×3, first 2 shown]
	v_and_b32_e32 v36, 15, v21
	v_cmp_ne_u32_e64 s[2:3], 0, v36
	s_waitcnt lgkmcnt(2)
	v_add_u16_e32 v37, v33, v32
	s_waitcnt lgkmcnt(1)
	v_add_u16_e32 v37, v37, v34
	;; [unrolled: 2-line block ×3, first 2 shown]
	v_and_b32_e32 v38, 0xff, v37
	s_nop 1
	v_mov_b32_dpp v38, v38 row_shr:1 row_mask:0xf bank_mask:0xf
	v_cndmask_b32_e64 v38, 0, v38, s[2:3]
	v_add_u16_e32 v37, v38, v37
	v_and_b32_e32 v38, 0xff, v37
	v_cmp_lt_u32_e64 s[2:3], 1, v36
	s_nop 0
	v_mov_b32_dpp v38, v38 row_shr:2 row_mask:0xf bank_mask:0xf
	v_cndmask_b32_e64 v38, 0, v38, s[2:3]
	v_add_u16_e32 v37, v37, v38
	v_and_b32_e32 v38, 0xff, v37
	v_cmp_lt_u32_e64 s[2:3], 3, v36
	;; [unrolled: 6-line block ×3, first 2 shown]
	s_nop 0
	v_mov_b32_dpp v38, v38 row_shr:8 row_mask:0xf bank_mask:0xf
	v_cndmask_b32_e64 v36, 0, v38, s[2:3]
	v_add_u16_e32 v36, v37, v36
	v_and_b32_e32 v37, 0xff, v36
	v_and_b32_e32 v38, 16, v21
	v_cmp_ne_u32_e64 s[2:3], 0, v38
	v_mov_b32_dpp v37, v37 row_bcast:15 row_mask:0xf bank_mask:0xf
	v_cndmask_b32_e64 v37, 0, v37, s[2:3]
	v_add_u16_e32 v36, v36, v37
	v_and_b32_e32 v37, 0xff, v36
	v_cmp_lt_u32_e64 s[2:3], 31, v21
	v_and_b32_e32 v38, 64, v21
	v_mov_b32_dpp v37, v37 row_bcast:31 row_mask:0xf bank_mask:0xf
	v_cndmask_b32_e64 v37, 0, v37, s[2:3]
	v_add_u16_e32 v36, v36, v37
	v_add_u32_e32 v37, -1, v21
	v_cmp_lt_i32_e64 s[2:3], v37, v38
	v_cndmask_b32_e64 v37, v37, v21, s[2:3]
	v_lshlrev_b32_e32 v37, 2, v37
	v_and_b32_e32 v36, 0xff, v36
	ds_bpermute_b32 v36, v37, v36
	s_waitcnt lgkmcnt(0)
	v_add_u16_e32 v32, v32, v36
	v_cndmask_b32_e64 v32, v32, v0, s[0:1]
	ds_write_b8 v17, v32
	v_add_u16_e32 v32, v32, v33
	ds_write_b8 v17, v32 offset:1
	v_add_u16_e32 v32, v32, v34
	ds_write_b8 v17, v32 offset:2
	;; [unrolled: 2-line block ×3, first 2 shown]
.LBB46_3:                               ;   in Loop: Header=BB46_1 Depth=1
	s_or_b64 exec, exec, s[6:7]
	v_mov_b32_e32 v32, v28
	s_waitcnt lgkmcnt(0)
	s_barrier
	s_and_saveexec_b64 s[2:3], s[4:5]
	s_cbranch_execz .LBB46_5
; %bb.4:                                ;   in Loop: Header=BB46_1 Depth=1
	ds_read_u8 v0, v19
	s_waitcnt lgkmcnt(0)
	v_add_u16_e32 v32, v0, v28
	v_add_u16_e32 v24, v32, v31
	v_add_u16_sdwa v23, v24, v28 dst_sel:DWORD dst_unused:UNUSED_PAD src0_sel:DWORD src1_sel:WORD_1
	v_add_u16_sdwa v22, v23, v28 dst_sel:DWORD dst_unused:UNUSED_PAD src0_sel:DWORD src1_sel:BYTE_3
	v_add_u16_e32 v20, v22, v29
	v_add_u16_e32 v18, v20, v30
	v_add_u16_sdwa v15, v18, v29 dst_sel:DWORD dst_unused:UNUSED_PAD src0_sel:DWORD src1_sel:WORD_1
	v_add_u16_sdwa v14, v15, v29 dst_sel:DWORD dst_unused:UNUSED_PAD src0_sel:DWORD src1_sel:BYTE_3
	v_add_u16_e32 v13, v14, v25
	v_add_u16_e32 v12, v13, v26
	;; [unrolled: 1-line block ×3, first 2 shown]
.LBB46_5:                               ;   in Loop: Header=BB46_1 Depth=1
	s_or_b64 exec, exec, s[2:3]
	v_perm_b32 v25, v32, v24, s8
	v_perm_b32 v26, v23, v22, s8
	v_lshl_or_b32 v28, v26, 16, v25
	v_perm_b32 v25, v20, v18, s8
	v_perm_b32 v26, v15, v14, s8
	s_add_i32 s9, s9, -1
	s_cmp_lg_u32 s9, 0
	v_lshl_or_b32 v29, v26, 16, v25
	s_cbranch_scc0 .LBB46_7
; %bb.6:                                ;   in Loop: Header=BB46_1 Depth=1
	v_mov_b32_e32 v25, v13
	v_mov_b32_e32 v26, v12
	v_mov_b32_e32 v27, v0
	s_branch .LBB46_1
.LBB46_7:
	v_mov_b32_e32 v17, s11
	v_add_co_u32_e32 v16, vcc, s10, v10
	v_addc_co_u32_e32 v17, vcc, 0, v17, vcc
	global_store_byte v[16:17], v32, off
	v_mov_b32_e32 v10, s11
	v_add_co_u32_e32 v16, vcc, s10, v8
	v_addc_co_u32_e32 v17, vcc, 0, v10, vcc
	global_store_byte v[16:17], v24, off
	v_mov_b32_e32 v8, s11
	v_add_co_u32_e32 v16, vcc, s10, v6
	v_addc_co_u32_e32 v17, vcc, 0, v8, vcc
	v_mov_b32_e32 v6, s11
	v_add_co_u32_e32 v5, vcc, s10, v5
	v_addc_co_u32_e32 v6, vcc, 0, v6, vcc
	global_store_byte v[5:6], v22, off
	v_mov_b32_e32 v5, s11
	v_add_co_u32_e32 v4, vcc, s10, v4
	v_addc_co_u32_e32 v5, vcc, 0, v5, vcc
	global_store_byte v[4:5], v20, off
	;; [unrolled: 4-line block ×8, first 2 shown]
	global_store_byte v[1:2], v0, off
	s_endpgm
	.section	.rodata,"a",@progbits
	.p2align	6, 0x0
	.amdhsa_kernel _Z6kernelI14inclusive_scanILN6hipcub18BlockScanAlgorithmE1EEhLj256ELj11ELj100EEvPKT0_PS4_S4_
		.amdhsa_group_segment_fixed_size 264
		.amdhsa_private_segment_fixed_size 0
		.amdhsa_kernarg_size 280
		.amdhsa_user_sgpr_count 6
		.amdhsa_user_sgpr_private_segment_buffer 1
		.amdhsa_user_sgpr_dispatch_ptr 0
		.amdhsa_user_sgpr_queue_ptr 0
		.amdhsa_user_sgpr_kernarg_segment_ptr 1
		.amdhsa_user_sgpr_dispatch_id 0
		.amdhsa_user_sgpr_flat_scratch_init 0
		.amdhsa_user_sgpr_private_segment_size 0
		.amdhsa_uses_dynamic_stack 0
		.amdhsa_system_sgpr_private_segment_wavefront_offset 0
		.amdhsa_system_sgpr_workgroup_id_x 1
		.amdhsa_system_sgpr_workgroup_id_y 0
		.amdhsa_system_sgpr_workgroup_id_z 0
		.amdhsa_system_sgpr_workgroup_info 0
		.amdhsa_system_vgpr_workitem_id 0
		.amdhsa_next_free_vgpr 39
		.amdhsa_next_free_sgpr 12
		.amdhsa_reserve_vcc 1
		.amdhsa_reserve_flat_scratch 0
		.amdhsa_float_round_mode_32 0
		.amdhsa_float_round_mode_16_64 0
		.amdhsa_float_denorm_mode_32 3
		.amdhsa_float_denorm_mode_16_64 3
		.amdhsa_dx10_clamp 1
		.amdhsa_ieee_mode 1
		.amdhsa_fp16_overflow 0
		.amdhsa_exception_fp_ieee_invalid_op 0
		.amdhsa_exception_fp_denorm_src 0
		.amdhsa_exception_fp_ieee_div_zero 0
		.amdhsa_exception_fp_ieee_overflow 0
		.amdhsa_exception_fp_ieee_underflow 0
		.amdhsa_exception_fp_ieee_inexact 0
		.amdhsa_exception_int_div_zero 0
	.end_amdhsa_kernel
	.section	.text._Z6kernelI14inclusive_scanILN6hipcub18BlockScanAlgorithmE1EEhLj256ELj11ELj100EEvPKT0_PS4_S4_,"axG",@progbits,_Z6kernelI14inclusive_scanILN6hipcub18BlockScanAlgorithmE1EEhLj256ELj11ELj100EEvPKT0_PS4_S4_,comdat
.Lfunc_end46:
	.size	_Z6kernelI14inclusive_scanILN6hipcub18BlockScanAlgorithmE1EEhLj256ELj11ELj100EEvPKT0_PS4_S4_, .Lfunc_end46-_Z6kernelI14inclusive_scanILN6hipcub18BlockScanAlgorithmE1EEhLj256ELj11ELj100EEvPKT0_PS4_S4_
                                        ; -- End function
	.set _Z6kernelI14inclusive_scanILN6hipcub18BlockScanAlgorithmE1EEhLj256ELj11ELj100EEvPKT0_PS4_S4_.num_vgpr, 39
	.set _Z6kernelI14inclusive_scanILN6hipcub18BlockScanAlgorithmE1EEhLj256ELj11ELj100EEvPKT0_PS4_S4_.num_agpr, 0
	.set _Z6kernelI14inclusive_scanILN6hipcub18BlockScanAlgorithmE1EEhLj256ELj11ELj100EEvPKT0_PS4_S4_.numbered_sgpr, 12
	.set _Z6kernelI14inclusive_scanILN6hipcub18BlockScanAlgorithmE1EEhLj256ELj11ELj100EEvPKT0_PS4_S4_.num_named_barrier, 0
	.set _Z6kernelI14inclusive_scanILN6hipcub18BlockScanAlgorithmE1EEhLj256ELj11ELj100EEvPKT0_PS4_S4_.private_seg_size, 0
	.set _Z6kernelI14inclusive_scanILN6hipcub18BlockScanAlgorithmE1EEhLj256ELj11ELj100EEvPKT0_PS4_S4_.uses_vcc, 1
	.set _Z6kernelI14inclusive_scanILN6hipcub18BlockScanAlgorithmE1EEhLj256ELj11ELj100EEvPKT0_PS4_S4_.uses_flat_scratch, 0
	.set _Z6kernelI14inclusive_scanILN6hipcub18BlockScanAlgorithmE1EEhLj256ELj11ELj100EEvPKT0_PS4_S4_.has_dyn_sized_stack, 0
	.set _Z6kernelI14inclusive_scanILN6hipcub18BlockScanAlgorithmE1EEhLj256ELj11ELj100EEvPKT0_PS4_S4_.has_recursion, 0
	.set _Z6kernelI14inclusive_scanILN6hipcub18BlockScanAlgorithmE1EEhLj256ELj11ELj100EEvPKT0_PS4_S4_.has_indirect_call, 0
	.section	.AMDGPU.csdata,"",@progbits
; Kernel info:
; codeLenInByte = 1208
; TotalNumSgprs: 16
; NumVgprs: 39
; ScratchSize: 0
; MemoryBound: 0
; FloatMode: 240
; IeeeMode: 1
; LDSByteSize: 264 bytes/workgroup (compile time only)
; SGPRBlocks: 1
; VGPRBlocks: 9
; NumSGPRsForWavesPerEU: 16
; NumVGPRsForWavesPerEU: 39
; Occupancy: 6
; WaveLimiterHint : 0
; COMPUTE_PGM_RSRC2:SCRATCH_EN: 0
; COMPUTE_PGM_RSRC2:USER_SGPR: 6
; COMPUTE_PGM_RSRC2:TRAP_HANDLER: 0
; COMPUTE_PGM_RSRC2:TGID_X_EN: 1
; COMPUTE_PGM_RSRC2:TGID_Y_EN: 0
; COMPUTE_PGM_RSRC2:TGID_Z_EN: 0
; COMPUTE_PGM_RSRC2:TIDIG_COMP_CNT: 0
	.section	.text._Z6kernelI14inclusive_scanILN6hipcub18BlockScanAlgorithmE1EEhLj256ELj16ELj100EEvPKT0_PS4_S4_,"axG",@progbits,_Z6kernelI14inclusive_scanILN6hipcub18BlockScanAlgorithmE1EEhLj256ELj16ELj100EEvPKT0_PS4_S4_,comdat
	.protected	_Z6kernelI14inclusive_scanILN6hipcub18BlockScanAlgorithmE1EEhLj256ELj16ELj100EEvPKT0_PS4_S4_ ; -- Begin function _Z6kernelI14inclusive_scanILN6hipcub18BlockScanAlgorithmE1EEhLj256ELj16ELj100EEvPKT0_PS4_S4_
	.globl	_Z6kernelI14inclusive_scanILN6hipcub18BlockScanAlgorithmE1EEhLj256ELj16ELj100EEvPKT0_PS4_S4_
	.p2align	8
	.type	_Z6kernelI14inclusive_scanILN6hipcub18BlockScanAlgorithmE1EEhLj256ELj16ELj100EEvPKT0_PS4_S4_,@function
_Z6kernelI14inclusive_scanILN6hipcub18BlockScanAlgorithmE1EEhLj256ELj16ELj100EEvPKT0_PS4_S4_: ; @_Z6kernelI14inclusive_scanILN6hipcub18BlockScanAlgorithmE1EEhLj256ELj16ELj100EEvPKT0_PS4_S4_
; %bb.0:
	s_load_dword s0, s[4:5], 0x24
	s_load_dwordx4 s[8:11], s[4:5], 0x0
	v_lshrrev_b32_e32 v5, 5, v0
	v_cmp_gt_u32_e32 vcc, 64, v0
	v_lshlrev_b32_e32 v7, 2, v0
	s_waitcnt lgkmcnt(0)
	s_and_b32 s0, s0, 0xffff
	s_mul_i32 s6, s6, s0
	v_add_lshl_u32 v9, s6, v0, 4
	global_load_dwordx4 v[1:4], v9, s[8:9]
	v_subrev_co_u32_e64 v6, s[0:1], 1, v0
	v_lshrrev_b32_e32 v8, 3, v0
	v_lshrrev_b32_e32 v11, 5, v6
	v_add_u32_e32 v0, v5, v0
	v_mbcnt_lo_u32_b32 v5, -1, 0
	s_xor_b64 s[4:5], s[0:1], -1
	s_movk_i32 s8, 0x64
	v_add_u32_e32 v10, v8, v7
	s_mov_b32 s9, 0xc0c0004
	v_add_u32_e32 v11, v11, v6
	v_mbcnt_hi_u32_b32 v12, -1, v5
.LBB47_1:                               ; =>This Inner Loop Header: Depth=1
	s_waitcnt vmcnt(0)
	v_lshrrev_b32_e32 v16, 8, v1
	v_add_u16_e32 v5, v16, v1
	v_add_u16_sdwa v6, v5, v1 dst_sel:DWORD dst_unused:UNUSED_PAD src0_sel:DWORD src1_sel:WORD_1
	v_add_u16_sdwa v8, v6, v1 dst_sel:DWORD dst_unused:UNUSED_PAD src0_sel:DWORD src1_sel:BYTE_3
	v_lshrrev_b32_e32 v14, 8, v2
	v_add_u16_e32 v7, v8, v2
	v_add_u16_e32 v17, v7, v14
	v_add_u16_sdwa v18, v17, v2 dst_sel:DWORD dst_unused:UNUSED_PAD src0_sel:DWORD src1_sel:WORD_1
	v_add_u16_sdwa v19, v18, v2 dst_sel:DWORD dst_unused:UNUSED_PAD src0_sel:DWORD src1_sel:BYTE_3
	v_lshrrev_b32_e32 v15, 8, v3
	v_add_u16_e32 v20, v19, v3
	;; [unrolled: 5-line block ×3, first 2 shown]
	v_add_u16_e32 v25, v23, v13
	v_add_u16_sdwa v26, v25, v4 dst_sel:DWORD dst_unused:UNUSED_PAD src0_sel:DWORD src1_sel:WORD_1
	v_add_u16_sdwa v27, v26, v4 dst_sel:DWORD dst_unused:UNUSED_PAD src0_sel:DWORD src1_sel:BYTE_3
	ds_write_b8 v0, v27
	s_waitcnt lgkmcnt(0)
	s_barrier
	s_and_saveexec_b64 s[6:7], vcc
	s_cbranch_execz .LBB47_3
; %bb.2:                                ;   in Loop: Header=BB47_1 Depth=1
	ds_read_u8 v28, v10
	ds_read_u8 v29, v10 offset:1
	ds_read_u8 v30, v10 offset:2
	;; [unrolled: 1-line block ×3, first 2 shown]
	v_and_b32_e32 v32, 15, v12
	v_cmp_ne_u32_e64 s[2:3], 0, v32
	s_waitcnt lgkmcnt(2)
	v_add_u16_e32 v33, v29, v28
	s_waitcnt lgkmcnt(1)
	v_add_u16_e32 v33, v33, v30
	;; [unrolled: 2-line block ×3, first 2 shown]
	v_and_b32_e32 v34, 0xff, v33
	s_nop 1
	v_mov_b32_dpp v34, v34 row_shr:1 row_mask:0xf bank_mask:0xf
	v_cndmask_b32_e64 v34, 0, v34, s[2:3]
	v_add_u16_e32 v33, v34, v33
	v_and_b32_e32 v34, 0xff, v33
	v_cmp_lt_u32_e64 s[2:3], 1, v32
	s_nop 0
	v_mov_b32_dpp v34, v34 row_shr:2 row_mask:0xf bank_mask:0xf
	v_cndmask_b32_e64 v34, 0, v34, s[2:3]
	v_add_u16_e32 v33, v33, v34
	v_and_b32_e32 v34, 0xff, v33
	v_cmp_lt_u32_e64 s[2:3], 3, v32
	;; [unrolled: 6-line block ×3, first 2 shown]
	s_nop 0
	v_mov_b32_dpp v34, v34 row_shr:8 row_mask:0xf bank_mask:0xf
	v_cndmask_b32_e64 v32, 0, v34, s[2:3]
	v_add_u16_e32 v32, v33, v32
	v_and_b32_e32 v33, 0xff, v32
	v_and_b32_e32 v34, 16, v12
	v_cmp_ne_u32_e64 s[2:3], 0, v34
	v_mov_b32_dpp v33, v33 row_bcast:15 row_mask:0xf bank_mask:0xf
	v_cndmask_b32_e64 v33, 0, v33, s[2:3]
	v_add_u16_e32 v32, v32, v33
	v_and_b32_e32 v33, 0xff, v32
	v_cmp_lt_u32_e64 s[2:3], 31, v12
	v_and_b32_e32 v34, 64, v12
	v_mov_b32_dpp v33, v33 row_bcast:31 row_mask:0xf bank_mask:0xf
	v_cndmask_b32_e64 v33, 0, v33, s[2:3]
	v_add_u16_e32 v32, v32, v33
	v_add_u32_e32 v33, -1, v12
	v_cmp_lt_i32_e64 s[2:3], v33, v34
	v_cndmask_b32_e64 v33, v33, v12, s[2:3]
	v_lshlrev_b32_e32 v33, 2, v33
	v_and_b32_e32 v32, 0xff, v32
	ds_bpermute_b32 v32, v33, v32
	s_waitcnt lgkmcnt(0)
	v_add_u16_e32 v28, v28, v32
	v_cndmask_b32_e64 v28, v28, v27, s[0:1]
	ds_write_b8 v10, v28
	v_add_u16_e32 v28, v28, v29
	ds_write_b8 v10, v28 offset:1
	v_add_u16_e32 v28, v28, v30
	ds_write_b8 v10, v28 offset:2
	;; [unrolled: 2-line block ×3, first 2 shown]
.LBB47_3:                               ;   in Loop: Header=BB47_1 Depth=1
	s_or_b64 exec, exec, s[6:7]
	v_perm_b32 v5, v1, v5, s9
	v_perm_b32 v6, v6, v8, s9
	v_lshl_or_b32 v5, v6, 16, v5
	v_perm_b32 v6, v7, v17, s9
	v_perm_b32 v7, v18, v19, s9
	v_lshl_or_b32 v6, v7, 16, v6
	;; [unrolled: 3-line block ×4, first 2 shown]
	s_waitcnt lgkmcnt(0)
	s_barrier
	s_and_saveexec_b64 s[2:3], s[4:5]
	s_cbranch_execz .LBB47_5
; %bb.4:                                ;   in Loop: Header=BB47_1 Depth=1
	ds_read_u8 v5, v11
	s_waitcnt lgkmcnt(0)
	v_add_u16_e32 v5, v5, v1
	v_add_u16_e32 v6, v5, v16
	v_add_u16_sdwa v7, v6, v1 dst_sel:DWORD dst_unused:UNUSED_PAD src0_sel:DWORD src1_sel:WORD_1
	v_lshlrev_b16_e32 v6, 8, v6
	v_add_u16_sdwa v1, v7, v1 dst_sel:DWORD dst_unused:UNUSED_PAD src0_sel:DWORD src1_sel:BYTE_3
	v_or_b32_sdwa v5, v5, v6 dst_sel:DWORD dst_unused:UNUSED_PAD src0_sel:BYTE_0 src1_sel:DWORD
	v_add_u16_e32 v6, v1, v2
	v_lshlrev_b16_e32 v1, 8, v1
	v_add_u16_e32 v8, v6, v14
	v_or_b32_sdwa v1, v7, v1 dst_sel:WORD_1 dst_unused:UNUSED_PAD src0_sel:BYTE_0 src1_sel:DWORD
	v_add_u16_sdwa v7, v8, v2 dst_sel:DWORD dst_unused:UNUSED_PAD src0_sel:DWORD src1_sel:WORD_1
	v_add_u16_sdwa v2, v7, v2 dst_sel:DWORD dst_unused:UNUSED_PAD src0_sel:DWORD src1_sel:BYTE_3
	v_add_u16_e32 v14, v2, v3
	v_add_u16_e32 v15, v14, v15
	v_add_u16_sdwa v16, v15, v3 dst_sel:DWORD dst_unused:UNUSED_PAD src0_sel:DWORD src1_sel:WORD_1
	v_add_u16_sdwa v3, v16, v3 dst_sel:DWORD dst_unused:UNUSED_PAD src0_sel:DWORD src1_sel:BYTE_3
	v_or_b32_sdwa v5, v5, v1 dst_sel:DWORD dst_unused:UNUSED_PAD src0_sel:WORD_0 src1_sel:DWORD
	v_lshlrev_b16_e32 v1, 8, v8
	v_lshlrev_b16_e32 v2, 8, v2
	v_add_u16_e32 v17, v3, v4
	v_or_b32_sdwa v1, v6, v1 dst_sel:DWORD dst_unused:UNUSED_PAD src0_sel:BYTE_0 src1_sel:DWORD
	v_or_b32_sdwa v2, v7, v2 dst_sel:WORD_1 dst_unused:UNUSED_PAD src0_sel:BYTE_0 src1_sel:DWORD
	v_add_u16_e32 v13, v17, v13
	v_or_b32_sdwa v6, v1, v2 dst_sel:DWORD dst_unused:UNUSED_PAD src0_sel:WORD_0 src1_sel:DWORD
	v_lshlrev_b16_e32 v1, 8, v15
	v_lshlrev_b16_e32 v2, 8, v3
	v_add_u16_sdwa v18, v13, v4 dst_sel:DWORD dst_unused:UNUSED_PAD src0_sel:DWORD src1_sel:WORD_1
	v_or_b32_sdwa v1, v14, v1 dst_sel:DWORD dst_unused:UNUSED_PAD src0_sel:BYTE_0 src1_sel:DWORD
	v_or_b32_sdwa v2, v16, v2 dst_sel:WORD_1 dst_unused:UNUSED_PAD src0_sel:BYTE_0 src1_sel:DWORD
	v_add_u16_sdwa v4, v18, v4 dst_sel:BYTE_1 dst_unused:UNUSED_PAD src0_sel:DWORD src1_sel:BYTE_3
	v_or_b32_sdwa v7, v1, v2 dst_sel:DWORD dst_unused:UNUSED_PAD src0_sel:WORD_0 src1_sel:DWORD
	v_lshlrev_b16_e32 v1, 8, v13
	v_or_b32_sdwa v1, v17, v1 dst_sel:DWORD dst_unused:UNUSED_PAD src0_sel:BYTE_0 src1_sel:DWORD
	v_or_b32_sdwa v2, v18, v4 dst_sel:WORD_1 dst_unused:UNUSED_PAD src0_sel:BYTE_0 src1_sel:DWORD
	v_or_b32_sdwa v8, v1, v2 dst_sel:DWORD dst_unused:UNUSED_PAD src0_sel:WORD_0 src1_sel:DWORD
.LBB47_5:                               ;   in Loop: Header=BB47_1 Depth=1
	s_or_b64 exec, exec, s[2:3]
	s_add_i32 s8, s8, -1
	s_cmp_lg_u32 s8, 0
	s_cbranch_scc0 .LBB47_7
; %bb.6:                                ;   in Loop: Header=BB47_1 Depth=1
	v_mov_b32_e32 v1, v5
	v_mov_b32_e32 v2, v6
	;; [unrolled: 1-line block ×4, first 2 shown]
	s_branch .LBB47_1
.LBB47_7:
	v_mov_b32_e32 v1, s11
	v_add_co_u32_e32 v0, vcc, s10, v9
	v_addc_co_u32_e32 v1, vcc, 0, v1, vcc
	global_store_dwordx4 v[0:1], v[5:8], off
	s_endpgm
	.section	.rodata,"a",@progbits
	.p2align	6, 0x0
	.amdhsa_kernel _Z6kernelI14inclusive_scanILN6hipcub18BlockScanAlgorithmE1EEhLj256ELj16ELj100EEvPKT0_PS4_S4_
		.amdhsa_group_segment_fixed_size 264
		.amdhsa_private_segment_fixed_size 0
		.amdhsa_kernarg_size 280
		.amdhsa_user_sgpr_count 6
		.amdhsa_user_sgpr_private_segment_buffer 1
		.amdhsa_user_sgpr_dispatch_ptr 0
		.amdhsa_user_sgpr_queue_ptr 0
		.amdhsa_user_sgpr_kernarg_segment_ptr 1
		.amdhsa_user_sgpr_dispatch_id 0
		.amdhsa_user_sgpr_flat_scratch_init 0
		.amdhsa_user_sgpr_private_segment_size 0
		.amdhsa_uses_dynamic_stack 0
		.amdhsa_system_sgpr_private_segment_wavefront_offset 0
		.amdhsa_system_sgpr_workgroup_id_x 1
		.amdhsa_system_sgpr_workgroup_id_y 0
		.amdhsa_system_sgpr_workgroup_id_z 0
		.amdhsa_system_sgpr_workgroup_info 0
		.amdhsa_system_vgpr_workitem_id 0
		.amdhsa_next_free_vgpr 35
		.amdhsa_next_free_sgpr 12
		.amdhsa_reserve_vcc 1
		.amdhsa_reserve_flat_scratch 0
		.amdhsa_float_round_mode_32 0
		.amdhsa_float_round_mode_16_64 0
		.amdhsa_float_denorm_mode_32 3
		.amdhsa_float_denorm_mode_16_64 3
		.amdhsa_dx10_clamp 1
		.amdhsa_ieee_mode 1
		.amdhsa_fp16_overflow 0
		.amdhsa_exception_fp_ieee_invalid_op 0
		.amdhsa_exception_fp_denorm_src 0
		.amdhsa_exception_fp_ieee_div_zero 0
		.amdhsa_exception_fp_ieee_overflow 0
		.amdhsa_exception_fp_ieee_underflow 0
		.amdhsa_exception_fp_ieee_inexact 0
		.amdhsa_exception_int_div_zero 0
	.end_amdhsa_kernel
	.section	.text._Z6kernelI14inclusive_scanILN6hipcub18BlockScanAlgorithmE1EEhLj256ELj16ELj100EEvPKT0_PS4_S4_,"axG",@progbits,_Z6kernelI14inclusive_scanILN6hipcub18BlockScanAlgorithmE1EEhLj256ELj16ELj100EEvPKT0_PS4_S4_,comdat
.Lfunc_end47:
	.size	_Z6kernelI14inclusive_scanILN6hipcub18BlockScanAlgorithmE1EEhLj256ELj16ELj100EEvPKT0_PS4_S4_, .Lfunc_end47-_Z6kernelI14inclusive_scanILN6hipcub18BlockScanAlgorithmE1EEhLj256ELj16ELj100EEvPKT0_PS4_S4_
                                        ; -- End function
	.set _Z6kernelI14inclusive_scanILN6hipcub18BlockScanAlgorithmE1EEhLj256ELj16ELj100EEvPKT0_PS4_S4_.num_vgpr, 35
	.set _Z6kernelI14inclusive_scanILN6hipcub18BlockScanAlgorithmE1EEhLj256ELj16ELj100EEvPKT0_PS4_S4_.num_agpr, 0
	.set _Z6kernelI14inclusive_scanILN6hipcub18BlockScanAlgorithmE1EEhLj256ELj16ELj100EEvPKT0_PS4_S4_.numbered_sgpr, 12
	.set _Z6kernelI14inclusive_scanILN6hipcub18BlockScanAlgorithmE1EEhLj256ELj16ELj100EEvPKT0_PS4_S4_.num_named_barrier, 0
	.set _Z6kernelI14inclusive_scanILN6hipcub18BlockScanAlgorithmE1EEhLj256ELj16ELj100EEvPKT0_PS4_S4_.private_seg_size, 0
	.set _Z6kernelI14inclusive_scanILN6hipcub18BlockScanAlgorithmE1EEhLj256ELj16ELj100EEvPKT0_PS4_S4_.uses_vcc, 1
	.set _Z6kernelI14inclusive_scanILN6hipcub18BlockScanAlgorithmE1EEhLj256ELj16ELj100EEvPKT0_PS4_S4_.uses_flat_scratch, 0
	.set _Z6kernelI14inclusive_scanILN6hipcub18BlockScanAlgorithmE1EEhLj256ELj16ELj100EEvPKT0_PS4_S4_.has_dyn_sized_stack, 0
	.set _Z6kernelI14inclusive_scanILN6hipcub18BlockScanAlgorithmE1EEhLj256ELj16ELj100EEvPKT0_PS4_S4_.has_recursion, 0
	.set _Z6kernelI14inclusive_scanILN6hipcub18BlockScanAlgorithmE1EEhLj256ELj16ELj100EEvPKT0_PS4_S4_.has_indirect_call, 0
	.section	.AMDGPU.csdata,"",@progbits
; Kernel info:
; codeLenInByte = 1064
; TotalNumSgprs: 16
; NumVgprs: 35
; ScratchSize: 0
; MemoryBound: 0
; FloatMode: 240
; IeeeMode: 1
; LDSByteSize: 264 bytes/workgroup (compile time only)
; SGPRBlocks: 1
; VGPRBlocks: 8
; NumSGPRsForWavesPerEU: 16
; NumVGPRsForWavesPerEU: 35
; Occupancy: 7
; WaveLimiterHint : 0
; COMPUTE_PGM_RSRC2:SCRATCH_EN: 0
; COMPUTE_PGM_RSRC2:USER_SGPR: 6
; COMPUTE_PGM_RSRC2:TRAP_HANDLER: 0
; COMPUTE_PGM_RSRC2:TGID_X_EN: 1
; COMPUTE_PGM_RSRC2:TGID_Y_EN: 0
; COMPUTE_PGM_RSRC2:TGID_Z_EN: 0
; COMPUTE_PGM_RSRC2:TIDIG_COMP_CNT: 0
	.section	.text._Z6kernelI14inclusive_scanILN6hipcub18BlockScanAlgorithmE1EEN15benchmark_utils11custom_typeIffEELj256ELj1ELj100EEvPKT0_PS7_S7_,"axG",@progbits,_Z6kernelI14inclusive_scanILN6hipcub18BlockScanAlgorithmE1EEN15benchmark_utils11custom_typeIffEELj256ELj1ELj100EEvPKT0_PS7_S7_,comdat
	.protected	_Z6kernelI14inclusive_scanILN6hipcub18BlockScanAlgorithmE1EEN15benchmark_utils11custom_typeIffEELj256ELj1ELj100EEvPKT0_PS7_S7_ ; -- Begin function _Z6kernelI14inclusive_scanILN6hipcub18BlockScanAlgorithmE1EEN15benchmark_utils11custom_typeIffEELj256ELj1ELj100EEvPKT0_PS7_S7_
	.globl	_Z6kernelI14inclusive_scanILN6hipcub18BlockScanAlgorithmE1EEN15benchmark_utils11custom_typeIffEELj256ELj1ELj100EEvPKT0_PS7_S7_
	.p2align	8
	.type	_Z6kernelI14inclusive_scanILN6hipcub18BlockScanAlgorithmE1EEN15benchmark_utils11custom_typeIffEELj256ELj1ELj100EEvPKT0_PS7_S7_,@function
_Z6kernelI14inclusive_scanILN6hipcub18BlockScanAlgorithmE1EEN15benchmark_utils11custom_typeIffEELj256ELj1ELj100EEvPKT0_PS7_S7_: ; @_Z6kernelI14inclusive_scanILN6hipcub18BlockScanAlgorithmE1EEN15benchmark_utils11custom_typeIffEELj256ELj1ELj100EEvPKT0_PS7_S7_
; %bb.0:
	s_load_dword s0, s[4:5], 0x24
	s_load_dwordx4 s[8:11], s[4:5], 0x0
	v_mov_b32_e32 v2, 0
	s_waitcnt lgkmcnt(0)
	s_and_b32 s0, s0, 0xffff
	s_mul_i32 s6, s6, s0
	v_add_u32_e32 v1, s6, v0
	v_lshlrev_b64 v[8:9], 3, v[1:2]
	v_mov_b32_e32 v2, s9
	v_add_co_u32_e32 v1, vcc, s8, v8
	v_addc_co_u32_e32 v2, vcc, v2, v9, vcc
	global_load_dwordx2 v[10:11], v[1:2], off
	v_lshrrev_b32_e32 v1, 2, v0
	v_and_b32_e32 v1, 56, v1
	v_lshl_add_u32 v12, v0, 3, v1
	v_cmp_gt_u32_e32 vcc, 64, v0
	v_and_b32_e32 v1, 0xf8, v0
	v_lshlrev_b32_e32 v2, 5, v0
	v_cmp_eq_u32_e64 s[0:1], 0, v0
	v_mbcnt_lo_u32_b32 v0, -1, 0
	v_mbcnt_hi_u32_b32 v14, -1, v0
	s_movk_i32 s8, 0x64
	v_add_u32_e32 v13, v1, v2
	v_and_b32_e32 v15, 15, v14
	s_branch .LBB48_3
.LBB48_1:                               ;   in Loop: Header=BB48_3 Depth=1
	s_or_b64 exec, exec, s[6:7]
	v_mov_b32_dpp v18, v16 row_bcast:31 row_mask:0xf bank_mask:0xf
	v_mov_b32_dpp v19, v17 row_bcast:31 row_mask:0xf bank_mask:0xf
	v_add_f32_e32 v19, v17, v19
	v_add_f32_e32 v18, v16, v18
	v_cmp_lt_u32_e64 s[2:3], 31, v14
	v_cndmask_b32_e64 v16, v16, v18, s[2:3]
	v_cndmask_b32_e64 v17, v17, v19, s[2:3]
	v_add_u32_e32 v18, -1, v14
	v_and_b32_e32 v19, 64, v14
	v_cmp_lt_i32_e64 s[2:3], v18, v19
	v_cndmask_b32_e64 v18, v18, v14, s[2:3]
	v_lshlrev_b32_e32 v18, 2, v18
	ds_bpermute_b32 v16, v18, v16
	ds_bpermute_b32 v17, v18, v17
	s_waitcnt lgkmcnt(1)
	v_add_f32_e32 v4, v4, v16
	s_waitcnt lgkmcnt(0)
	v_add_f32_e32 v5, v5, v17
	v_cndmask_b32_e64 v4, v4, v10, s[0:1]
	v_cndmask_b32_e64 v5, v5, v11, s[0:1]
	v_add_f32_e32 v6, v6, v4
	v_add_f32_e32 v7, v7, v5
	;; [unrolled: 1-line block ×6, first 2 shown]
	ds_write2_b64 v13, v[4:5], v[6:7] offset1:1
	ds_write2_b64 v13, v[0:1], v[2:3] offset0:2 offset1:3
.LBB48_2:                               ;   in Loop: Header=BB48_3 Depth=1
	s_or_b64 exec, exec, s[4:5]
	s_waitcnt lgkmcnt(0)
	s_barrier
	ds_read_b64 v[10:11], v12
	s_add_i32 s8, s8, -1
	s_cmp_lg_u32 s8, 0
	s_cbranch_scc0 .LBB48_14
.LBB48_3:                               ; =>This Inner Loop Header: Depth=1
	s_waitcnt vmcnt(0) lgkmcnt(0)
	ds_write_b64 v12, v[10:11]
	s_waitcnt lgkmcnt(0)
	s_barrier
	s_and_saveexec_b64 s[4:5], vcc
	s_cbranch_execz .LBB48_2
; %bb.4:                                ;   in Loop: Header=BB48_3 Depth=1
	ds_read2_b64 v[4:7], v13 offset1:1
	ds_read2_b64 v[0:3], v13 offset0:2 offset1:3
	v_cmp_ne_u32_e64 s[2:3], 0, v15
	s_waitcnt lgkmcnt(1)
	v_add_f32_e32 v16, v4, v6
	v_add_f32_e32 v17, v5, v7
	s_waitcnt lgkmcnt(0)
	v_add_f32_e32 v16, v16, v0
	v_add_f32_e32 v17, v17, v1
	;; [unrolled: 1-line block ×4, first 2 shown]
	s_nop 0
	v_mov_b32_dpp v18, v16 row_shr:1 row_mask:0xf bank_mask:0xf
	v_mov_b32_dpp v19, v17 row_shr:1 row_mask:0xf bank_mask:0xf
	s_and_saveexec_b64 s[6:7], s[2:3]
; %bb.5:                                ;   in Loop: Header=BB48_3 Depth=1
	v_add_f32_e32 v17, v17, v19
	v_add_f32_e32 v16, v16, v18
; %bb.6:                                ;   in Loop: Header=BB48_3 Depth=1
	s_or_b64 exec, exec, s[6:7]
	s_nop 0
	v_mov_b32_dpp v18, v16 row_shr:2 row_mask:0xf bank_mask:0xf
	v_mov_b32_dpp v19, v17 row_shr:2 row_mask:0xf bank_mask:0xf
	v_cmp_lt_u32_e64 s[2:3], 1, v15
	s_and_saveexec_b64 s[6:7], s[2:3]
; %bb.7:                                ;   in Loop: Header=BB48_3 Depth=1
	v_add_f32_e32 v17, v17, v19
	v_add_f32_e32 v16, v16, v18
; %bb.8:                                ;   in Loop: Header=BB48_3 Depth=1
	s_or_b64 exec, exec, s[6:7]
	s_nop 0
	v_mov_b32_dpp v18, v16 row_shr:4 row_mask:0xf bank_mask:0xf
	v_mov_b32_dpp v19, v17 row_shr:4 row_mask:0xf bank_mask:0xf
	v_cmp_lt_u32_e64 s[2:3], 3, v15
	s_and_saveexec_b64 s[6:7], s[2:3]
; %bb.9:                                ;   in Loop: Header=BB48_3 Depth=1
	v_add_f32_e32 v17, v17, v19
	v_add_f32_e32 v16, v16, v18
; %bb.10:                               ;   in Loop: Header=BB48_3 Depth=1
	s_or_b64 exec, exec, s[6:7]
	s_nop 0
	v_mov_b32_dpp v18, v16 row_shr:8 row_mask:0xf bank_mask:0xf
	v_mov_b32_dpp v19, v17 row_shr:8 row_mask:0xf bank_mask:0xf
	v_cmp_lt_u32_e64 s[2:3], 7, v15
	s_and_saveexec_b64 s[6:7], s[2:3]
; %bb.11:                               ;   in Loop: Header=BB48_3 Depth=1
	v_add_f32_e32 v17, v17, v19
	v_add_f32_e32 v16, v16, v18
; %bb.12:                               ;   in Loop: Header=BB48_3 Depth=1
	s_or_b64 exec, exec, s[6:7]
	v_and_b32_e32 v20, 16, v14
	v_mov_b32_dpp v18, v16 row_bcast:15 row_mask:0xf bank_mask:0xf
	v_mov_b32_dpp v19, v17 row_bcast:15 row_mask:0xf bank_mask:0xf
	v_cmp_ne_u32_e64 s[2:3], 0, v20
	s_and_saveexec_b64 s[6:7], s[2:3]
	s_cbranch_execz .LBB48_1
; %bb.13:                               ;   in Loop: Header=BB48_3 Depth=1
	v_add_f32_e32 v17, v17, v19
	v_add_f32_e32 v16, v16, v18
	s_branch .LBB48_1
.LBB48_14:
	v_mov_b32_e32 v1, s11
	v_add_co_u32_e32 v0, vcc, s10, v8
	v_addc_co_u32_e32 v1, vcc, v1, v9, vcc
	s_waitcnt lgkmcnt(0)
	global_store_dwordx2 v[0:1], v[10:11], off
	s_endpgm
	.section	.rodata,"a",@progbits
	.p2align	6, 0x0
	.amdhsa_kernel _Z6kernelI14inclusive_scanILN6hipcub18BlockScanAlgorithmE1EEN15benchmark_utils11custom_typeIffEELj256ELj1ELj100EEvPKT0_PS7_S7_
		.amdhsa_group_segment_fixed_size 2112
		.amdhsa_private_segment_fixed_size 0
		.amdhsa_kernarg_size 280
		.amdhsa_user_sgpr_count 6
		.amdhsa_user_sgpr_private_segment_buffer 1
		.amdhsa_user_sgpr_dispatch_ptr 0
		.amdhsa_user_sgpr_queue_ptr 0
		.amdhsa_user_sgpr_kernarg_segment_ptr 1
		.amdhsa_user_sgpr_dispatch_id 0
		.amdhsa_user_sgpr_flat_scratch_init 0
		.amdhsa_user_sgpr_private_segment_size 0
		.amdhsa_uses_dynamic_stack 0
		.amdhsa_system_sgpr_private_segment_wavefront_offset 0
		.amdhsa_system_sgpr_workgroup_id_x 1
		.amdhsa_system_sgpr_workgroup_id_y 0
		.amdhsa_system_sgpr_workgroup_id_z 0
		.amdhsa_system_sgpr_workgroup_info 0
		.amdhsa_system_vgpr_workitem_id 0
		.amdhsa_next_free_vgpr 21
		.amdhsa_next_free_sgpr 12
		.amdhsa_reserve_vcc 1
		.amdhsa_reserve_flat_scratch 0
		.amdhsa_float_round_mode_32 0
		.amdhsa_float_round_mode_16_64 0
		.amdhsa_float_denorm_mode_32 3
		.amdhsa_float_denorm_mode_16_64 3
		.amdhsa_dx10_clamp 1
		.amdhsa_ieee_mode 1
		.amdhsa_fp16_overflow 0
		.amdhsa_exception_fp_ieee_invalid_op 0
		.amdhsa_exception_fp_denorm_src 0
		.amdhsa_exception_fp_ieee_div_zero 0
		.amdhsa_exception_fp_ieee_overflow 0
		.amdhsa_exception_fp_ieee_underflow 0
		.amdhsa_exception_fp_ieee_inexact 0
		.amdhsa_exception_int_div_zero 0
	.end_amdhsa_kernel
	.section	.text._Z6kernelI14inclusive_scanILN6hipcub18BlockScanAlgorithmE1EEN15benchmark_utils11custom_typeIffEELj256ELj1ELj100EEvPKT0_PS7_S7_,"axG",@progbits,_Z6kernelI14inclusive_scanILN6hipcub18BlockScanAlgorithmE1EEN15benchmark_utils11custom_typeIffEELj256ELj1ELj100EEvPKT0_PS7_S7_,comdat
.Lfunc_end48:
	.size	_Z6kernelI14inclusive_scanILN6hipcub18BlockScanAlgorithmE1EEN15benchmark_utils11custom_typeIffEELj256ELj1ELj100EEvPKT0_PS7_S7_, .Lfunc_end48-_Z6kernelI14inclusive_scanILN6hipcub18BlockScanAlgorithmE1EEN15benchmark_utils11custom_typeIffEELj256ELj1ELj100EEvPKT0_PS7_S7_
                                        ; -- End function
	.set _Z6kernelI14inclusive_scanILN6hipcub18BlockScanAlgorithmE1EEN15benchmark_utils11custom_typeIffEELj256ELj1ELj100EEvPKT0_PS7_S7_.num_vgpr, 21
	.set _Z6kernelI14inclusive_scanILN6hipcub18BlockScanAlgorithmE1EEN15benchmark_utils11custom_typeIffEELj256ELj1ELj100EEvPKT0_PS7_S7_.num_agpr, 0
	.set _Z6kernelI14inclusive_scanILN6hipcub18BlockScanAlgorithmE1EEN15benchmark_utils11custom_typeIffEELj256ELj1ELj100EEvPKT0_PS7_S7_.numbered_sgpr, 12
	.set _Z6kernelI14inclusive_scanILN6hipcub18BlockScanAlgorithmE1EEN15benchmark_utils11custom_typeIffEELj256ELj1ELj100EEvPKT0_PS7_S7_.num_named_barrier, 0
	.set _Z6kernelI14inclusive_scanILN6hipcub18BlockScanAlgorithmE1EEN15benchmark_utils11custom_typeIffEELj256ELj1ELj100EEvPKT0_PS7_S7_.private_seg_size, 0
	.set _Z6kernelI14inclusive_scanILN6hipcub18BlockScanAlgorithmE1EEN15benchmark_utils11custom_typeIffEELj256ELj1ELj100EEvPKT0_PS7_S7_.uses_vcc, 1
	.set _Z6kernelI14inclusive_scanILN6hipcub18BlockScanAlgorithmE1EEN15benchmark_utils11custom_typeIffEELj256ELj1ELj100EEvPKT0_PS7_S7_.uses_flat_scratch, 0
	.set _Z6kernelI14inclusive_scanILN6hipcub18BlockScanAlgorithmE1EEN15benchmark_utils11custom_typeIffEELj256ELj1ELj100EEvPKT0_PS7_S7_.has_dyn_sized_stack, 0
	.set _Z6kernelI14inclusive_scanILN6hipcub18BlockScanAlgorithmE1EEN15benchmark_utils11custom_typeIffEELj256ELj1ELj100EEvPKT0_PS7_S7_.has_recursion, 0
	.set _Z6kernelI14inclusive_scanILN6hipcub18BlockScanAlgorithmE1EEN15benchmark_utils11custom_typeIffEELj256ELj1ELj100EEvPKT0_PS7_S7_.has_indirect_call, 0
	.section	.AMDGPU.csdata,"",@progbits
; Kernel info:
; codeLenInByte = 668
; TotalNumSgprs: 16
; NumVgprs: 21
; ScratchSize: 0
; MemoryBound: 0
; FloatMode: 240
; IeeeMode: 1
; LDSByteSize: 2112 bytes/workgroup (compile time only)
; SGPRBlocks: 1
; VGPRBlocks: 5
; NumSGPRsForWavesPerEU: 16
; NumVGPRsForWavesPerEU: 21
; Occupancy: 10
; WaveLimiterHint : 0
; COMPUTE_PGM_RSRC2:SCRATCH_EN: 0
; COMPUTE_PGM_RSRC2:USER_SGPR: 6
; COMPUTE_PGM_RSRC2:TRAP_HANDLER: 0
; COMPUTE_PGM_RSRC2:TGID_X_EN: 1
; COMPUTE_PGM_RSRC2:TGID_Y_EN: 0
; COMPUTE_PGM_RSRC2:TGID_Z_EN: 0
; COMPUTE_PGM_RSRC2:TIDIG_COMP_CNT: 0
	.section	.text._Z6kernelI14inclusive_scanILN6hipcub18BlockScanAlgorithmE1EEN15benchmark_utils11custom_typeIffEELj256ELj4ELj100EEvPKT0_PS7_S7_,"axG",@progbits,_Z6kernelI14inclusive_scanILN6hipcub18BlockScanAlgorithmE1EEN15benchmark_utils11custom_typeIffEELj256ELj4ELj100EEvPKT0_PS7_S7_,comdat
	.protected	_Z6kernelI14inclusive_scanILN6hipcub18BlockScanAlgorithmE1EEN15benchmark_utils11custom_typeIffEELj256ELj4ELj100EEvPKT0_PS7_S7_ ; -- Begin function _Z6kernelI14inclusive_scanILN6hipcub18BlockScanAlgorithmE1EEN15benchmark_utils11custom_typeIffEELj256ELj4ELj100EEvPKT0_PS7_S7_
	.globl	_Z6kernelI14inclusive_scanILN6hipcub18BlockScanAlgorithmE1EEN15benchmark_utils11custom_typeIffEELj256ELj4ELj100EEvPKT0_PS7_S7_
	.p2align	8
	.type	_Z6kernelI14inclusive_scanILN6hipcub18BlockScanAlgorithmE1EEN15benchmark_utils11custom_typeIffEELj256ELj4ELj100EEvPKT0_PS7_S7_,@function
_Z6kernelI14inclusive_scanILN6hipcub18BlockScanAlgorithmE1EEN15benchmark_utils11custom_typeIffEELj256ELj4ELj100EEvPKT0_PS7_S7_: ; @_Z6kernelI14inclusive_scanILN6hipcub18BlockScanAlgorithmE1EEN15benchmark_utils11custom_typeIffEELj256ELj4ELj100EEvPKT0_PS7_S7_
; %bb.0:
	s_load_dword s0, s[4:5], 0x24
	s_load_dwordx4 s[8:11], s[4:5], 0x0
	v_mov_b32_e32 v2, 0
	v_lshlrev_b32_e32 v11, 5, v0
	s_movk_i32 s12, 0x64
	s_waitcnt lgkmcnt(0)
	s_and_b32 s0, s0, 0xffff
	s_mul_i32 s6, s6, s0
	v_add_lshl_u32 v1, s6, v0, 2
	v_lshlrev_b64 v[21:22], 3, v[1:2]
	v_mov_b32_e32 v1, s9
	v_add_co_u32_e32 v9, vcc, s8, v21
	v_addc_co_u32_e32 v10, vcc, v1, v22, vcc
	global_load_dwordx4 v[1:4], v[9:10], off
	global_load_dwordx4 v[5:8], v[9:10], off offset:16
	v_lshrrev_b32_e32 v9, 2, v0
	v_and_b32_e32 v9, 56, v9
	v_lshl_add_u32 v23, v0, 3, v9
	v_subrev_co_u32_e64 v9, s[0:1], 1, v0
	v_cmp_gt_u32_e32 vcc, 64, v0
	v_and_b32_e32 v10, 0xf8, v0
	v_lshrrev_b32_e32 v0, 2, v9
	v_and_b32_e32 v0, 0x3ffffff8, v0
	v_lshl_add_u32 v0, v9, 3, v0
	v_mbcnt_lo_u32_b32 v9, -1, 0
	s_xor_b64 s[4:5], s[0:1], -1
	v_add_u32_e32 v24, v10, v11
	v_mbcnt_hi_u32_b32 v25, -1, v9
.LBB49_1:                               ; =>This Inner Loop Header: Depth=1
	s_waitcnt vmcnt(1)
	v_add_f32_e32 v26, v3, v1
	v_add_f32_e32 v27, v4, v2
	s_waitcnt vmcnt(0)
	v_add_f32_e32 v9, v5, v26
	v_add_f32_e32 v10, v6, v27
	;; [unrolled: 1-line block ×4, first 2 shown]
	ds_write_b64 v23, v[11:12]
	s_waitcnt lgkmcnt(0)
	s_barrier
	s_and_saveexec_b64 s[6:7], vcc
	s_cbranch_execz .LBB49_13
; %bb.2:                                ;   in Loop: Header=BB49_1 Depth=1
	ds_read2_b64 v[17:20], v24 offset1:1
	ds_read2_b64 v[13:16], v24 offset0:2 offset1:3
	v_and_b32_e32 v30, 15, v25
	v_cmp_ne_u32_e64 s[2:3], 0, v30
	s_waitcnt lgkmcnt(1)
	v_add_f32_e32 v28, v17, v19
	v_add_f32_e32 v29, v18, v20
	s_waitcnt lgkmcnt(0)
	v_add_f32_e32 v28, v28, v13
	v_add_f32_e32 v29, v29, v14
	;; [unrolled: 1-line block ×4, first 2 shown]
	s_nop 0
	v_mov_b32_dpp v31, v28 row_shr:1 row_mask:0xf bank_mask:0xf
	v_mov_b32_dpp v32, v29 row_shr:1 row_mask:0xf bank_mask:0xf
	s_and_saveexec_b64 s[8:9], s[2:3]
; %bb.3:                                ;   in Loop: Header=BB49_1 Depth=1
	v_add_f32_e32 v29, v29, v32
	v_add_f32_e32 v28, v28, v31
; %bb.4:                                ;   in Loop: Header=BB49_1 Depth=1
	s_or_b64 exec, exec, s[8:9]
	s_nop 0
	v_mov_b32_dpp v31, v28 row_shr:2 row_mask:0xf bank_mask:0xf
	v_mov_b32_dpp v32, v29 row_shr:2 row_mask:0xf bank_mask:0xf
	v_cmp_lt_u32_e64 s[2:3], 1, v30
	s_and_saveexec_b64 s[8:9], s[2:3]
; %bb.5:                                ;   in Loop: Header=BB49_1 Depth=1
	v_add_f32_e32 v29, v29, v32
	v_add_f32_e32 v28, v28, v31
; %bb.6:                                ;   in Loop: Header=BB49_1 Depth=1
	s_or_b64 exec, exec, s[8:9]
	s_nop 0
	v_mov_b32_dpp v31, v28 row_shr:4 row_mask:0xf bank_mask:0xf
	v_mov_b32_dpp v32, v29 row_shr:4 row_mask:0xf bank_mask:0xf
	v_cmp_lt_u32_e64 s[2:3], 3, v30
	s_and_saveexec_b64 s[8:9], s[2:3]
; %bb.7:                                ;   in Loop: Header=BB49_1 Depth=1
	v_add_f32_e32 v29, v29, v32
	v_add_f32_e32 v28, v28, v31
; %bb.8:                                ;   in Loop: Header=BB49_1 Depth=1
	s_or_b64 exec, exec, s[8:9]
	s_nop 0
	v_mov_b32_dpp v31, v28 row_shr:8 row_mask:0xf bank_mask:0xf
	v_mov_b32_dpp v32, v29 row_shr:8 row_mask:0xf bank_mask:0xf
	v_cmp_lt_u32_e64 s[2:3], 7, v30
	s_and_saveexec_b64 s[8:9], s[2:3]
; %bb.9:                                ;   in Loop: Header=BB49_1 Depth=1
	v_add_f32_e32 v29, v29, v32
	v_add_f32_e32 v28, v28, v31
; %bb.10:                               ;   in Loop: Header=BB49_1 Depth=1
	s_or_b64 exec, exec, s[8:9]
	v_and_b32_e32 v32, 16, v25
	v_mov_b32_dpp v30, v28 row_bcast:15 row_mask:0xf bank_mask:0xf
	v_mov_b32_dpp v31, v29 row_bcast:15 row_mask:0xf bank_mask:0xf
	v_cmp_ne_u32_e64 s[2:3], 0, v32
	s_and_saveexec_b64 s[8:9], s[2:3]
; %bb.11:                               ;   in Loop: Header=BB49_1 Depth=1
	v_add_f32_e32 v29, v29, v31
	v_add_f32_e32 v28, v28, v30
; %bb.12:                               ;   in Loop: Header=BB49_1 Depth=1
	s_or_b64 exec, exec, s[8:9]
	s_nop 0
	v_mov_b32_dpp v30, v28 row_bcast:31 row_mask:0xf bank_mask:0xf
	v_mov_b32_dpp v31, v29 row_bcast:31 row_mask:0xf bank_mask:0xf
	v_add_f32_e32 v31, v29, v31
	v_add_f32_e32 v30, v28, v30
	v_cmp_lt_u32_e64 s[2:3], 31, v25
	v_cndmask_b32_e64 v28, v28, v30, s[2:3]
	v_cndmask_b32_e64 v29, v29, v31, s[2:3]
	v_add_u32_e32 v30, -1, v25
	v_and_b32_e32 v31, 64, v25
	v_cmp_lt_i32_e64 s[2:3], v30, v31
	v_cndmask_b32_e64 v30, v30, v25, s[2:3]
	v_lshlrev_b32_e32 v30, 2, v30
	ds_bpermute_b32 v28, v30, v28
	ds_bpermute_b32 v29, v30, v29
	s_waitcnt lgkmcnt(1)
	v_add_f32_e32 v17, v17, v28
	s_waitcnt lgkmcnt(0)
	v_add_f32_e32 v18, v18, v29
	v_cndmask_b32_e64 v17, v17, v11, s[0:1]
	v_cndmask_b32_e64 v18, v18, v12, s[0:1]
	v_add_f32_e32 v19, v19, v17
	v_add_f32_e32 v20, v20, v18
	;; [unrolled: 1-line block ×6, first 2 shown]
	ds_write2_b64 v24, v[17:18], v[19:20] offset1:1
	ds_write2_b64 v24, v[13:14], v[15:16] offset0:2 offset1:3
.LBB49_13:                              ;   in Loop: Header=BB49_1 Depth=1
	s_or_b64 exec, exec, s[6:7]
	s_waitcnt lgkmcnt(0)
	s_barrier
	s_and_saveexec_b64 s[2:3], s[4:5]
	s_cbranch_execz .LBB49_15
; %bb.14:                               ;   in Loop: Header=BB49_1 Depth=1
	ds_read_b64 v[9:10], v0
	s_waitcnt lgkmcnt(0)
	v_add_f32_e32 v1, v1, v9
	v_add_f32_e32 v2, v2, v10
	;; [unrolled: 1-line block ×8, first 2 shown]
.LBB49_15:                              ;   in Loop: Header=BB49_1 Depth=1
	s_or_b64 exec, exec, s[2:3]
	s_add_i32 s12, s12, -1
	s_cmp_lg_u32 s12, 0
	s_cbranch_scc0 .LBB49_17
; %bb.16:                               ;   in Loop: Header=BB49_1 Depth=1
	v_mov_b32_e32 v8, v12
	v_mov_b32_e32 v7, v11
	;; [unrolled: 1-line block ×6, first 2 shown]
	s_branch .LBB49_1
.LBB49_17:
	v_mov_b32_e32 v0, s11
	v_add_co_u32_e32 v5, vcc, s10, v21
	v_addc_co_u32_e32 v6, vcc, v0, v22, vcc
	v_mov_b32_e32 v3, v26
	v_mov_b32_e32 v4, v27
	global_store_dwordx4 v[5:6], v[1:4], off
	global_store_dwordx4 v[5:6], v[9:12], off offset:16
	s_endpgm
	.section	.rodata,"a",@progbits
	.p2align	6, 0x0
	.amdhsa_kernel _Z6kernelI14inclusive_scanILN6hipcub18BlockScanAlgorithmE1EEN15benchmark_utils11custom_typeIffEELj256ELj4ELj100EEvPKT0_PS7_S7_
		.amdhsa_group_segment_fixed_size 2112
		.amdhsa_private_segment_fixed_size 0
		.amdhsa_kernarg_size 280
		.amdhsa_user_sgpr_count 6
		.amdhsa_user_sgpr_private_segment_buffer 1
		.amdhsa_user_sgpr_dispatch_ptr 0
		.amdhsa_user_sgpr_queue_ptr 0
		.amdhsa_user_sgpr_kernarg_segment_ptr 1
		.amdhsa_user_sgpr_dispatch_id 0
		.amdhsa_user_sgpr_flat_scratch_init 0
		.amdhsa_user_sgpr_private_segment_size 0
		.amdhsa_uses_dynamic_stack 0
		.amdhsa_system_sgpr_private_segment_wavefront_offset 0
		.amdhsa_system_sgpr_workgroup_id_x 1
		.amdhsa_system_sgpr_workgroup_id_y 0
		.amdhsa_system_sgpr_workgroup_id_z 0
		.amdhsa_system_sgpr_workgroup_info 0
		.amdhsa_system_vgpr_workitem_id 0
		.amdhsa_next_free_vgpr 33
		.amdhsa_next_free_sgpr 13
		.amdhsa_reserve_vcc 1
		.amdhsa_reserve_flat_scratch 0
		.amdhsa_float_round_mode_32 0
		.amdhsa_float_round_mode_16_64 0
		.amdhsa_float_denorm_mode_32 3
		.amdhsa_float_denorm_mode_16_64 3
		.amdhsa_dx10_clamp 1
		.amdhsa_ieee_mode 1
		.amdhsa_fp16_overflow 0
		.amdhsa_exception_fp_ieee_invalid_op 0
		.amdhsa_exception_fp_denorm_src 0
		.amdhsa_exception_fp_ieee_div_zero 0
		.amdhsa_exception_fp_ieee_overflow 0
		.amdhsa_exception_fp_ieee_underflow 0
		.amdhsa_exception_fp_ieee_inexact 0
		.amdhsa_exception_int_div_zero 0
	.end_amdhsa_kernel
	.section	.text._Z6kernelI14inclusive_scanILN6hipcub18BlockScanAlgorithmE1EEN15benchmark_utils11custom_typeIffEELj256ELj4ELj100EEvPKT0_PS7_S7_,"axG",@progbits,_Z6kernelI14inclusive_scanILN6hipcub18BlockScanAlgorithmE1EEN15benchmark_utils11custom_typeIffEELj256ELj4ELj100EEvPKT0_PS7_S7_,comdat
.Lfunc_end49:
	.size	_Z6kernelI14inclusive_scanILN6hipcub18BlockScanAlgorithmE1EEN15benchmark_utils11custom_typeIffEELj256ELj4ELj100EEvPKT0_PS7_S7_, .Lfunc_end49-_Z6kernelI14inclusive_scanILN6hipcub18BlockScanAlgorithmE1EEN15benchmark_utils11custom_typeIffEELj256ELj4ELj100EEvPKT0_PS7_S7_
                                        ; -- End function
	.set _Z6kernelI14inclusive_scanILN6hipcub18BlockScanAlgorithmE1EEN15benchmark_utils11custom_typeIffEELj256ELj4ELj100EEvPKT0_PS7_S7_.num_vgpr, 33
	.set _Z6kernelI14inclusive_scanILN6hipcub18BlockScanAlgorithmE1EEN15benchmark_utils11custom_typeIffEELj256ELj4ELj100EEvPKT0_PS7_S7_.num_agpr, 0
	.set _Z6kernelI14inclusive_scanILN6hipcub18BlockScanAlgorithmE1EEN15benchmark_utils11custom_typeIffEELj256ELj4ELj100EEvPKT0_PS7_S7_.numbered_sgpr, 13
	.set _Z6kernelI14inclusive_scanILN6hipcub18BlockScanAlgorithmE1EEN15benchmark_utils11custom_typeIffEELj256ELj4ELj100EEvPKT0_PS7_S7_.num_named_barrier, 0
	.set _Z6kernelI14inclusive_scanILN6hipcub18BlockScanAlgorithmE1EEN15benchmark_utils11custom_typeIffEELj256ELj4ELj100EEvPKT0_PS7_S7_.private_seg_size, 0
	.set _Z6kernelI14inclusive_scanILN6hipcub18BlockScanAlgorithmE1EEN15benchmark_utils11custom_typeIffEELj256ELj4ELj100EEvPKT0_PS7_S7_.uses_vcc, 1
	.set _Z6kernelI14inclusive_scanILN6hipcub18BlockScanAlgorithmE1EEN15benchmark_utils11custom_typeIffEELj256ELj4ELj100EEvPKT0_PS7_S7_.uses_flat_scratch, 0
	.set _Z6kernelI14inclusive_scanILN6hipcub18BlockScanAlgorithmE1EEN15benchmark_utils11custom_typeIffEELj256ELj4ELj100EEvPKT0_PS7_S7_.has_dyn_sized_stack, 0
	.set _Z6kernelI14inclusive_scanILN6hipcub18BlockScanAlgorithmE1EEN15benchmark_utils11custom_typeIffEELj256ELj4ELj100EEvPKT0_PS7_S7_.has_recursion, 0
	.set _Z6kernelI14inclusive_scanILN6hipcub18BlockScanAlgorithmE1EEN15benchmark_utils11custom_typeIffEELj256ELj4ELj100EEvPKT0_PS7_S7_.has_indirect_call, 0
	.section	.AMDGPU.csdata,"",@progbits
; Kernel info:
; codeLenInByte = 812
; TotalNumSgprs: 17
; NumVgprs: 33
; ScratchSize: 0
; MemoryBound: 0
; FloatMode: 240
; IeeeMode: 1
; LDSByteSize: 2112 bytes/workgroup (compile time only)
; SGPRBlocks: 2
; VGPRBlocks: 8
; NumSGPRsForWavesPerEU: 17
; NumVGPRsForWavesPerEU: 33
; Occupancy: 7
; WaveLimiterHint : 0
; COMPUTE_PGM_RSRC2:SCRATCH_EN: 0
; COMPUTE_PGM_RSRC2:USER_SGPR: 6
; COMPUTE_PGM_RSRC2:TRAP_HANDLER: 0
; COMPUTE_PGM_RSRC2:TGID_X_EN: 1
; COMPUTE_PGM_RSRC2:TGID_Y_EN: 0
; COMPUTE_PGM_RSRC2:TGID_Z_EN: 0
; COMPUTE_PGM_RSRC2:TIDIG_COMP_CNT: 0
	.section	.text._Z6kernelI14inclusive_scanILN6hipcub18BlockScanAlgorithmE1EEN15benchmark_utils11custom_typeIffEELj256ELj8ELj100EEvPKT0_PS7_S7_,"axG",@progbits,_Z6kernelI14inclusive_scanILN6hipcub18BlockScanAlgorithmE1EEN15benchmark_utils11custom_typeIffEELj256ELj8ELj100EEvPKT0_PS7_S7_,comdat
	.protected	_Z6kernelI14inclusive_scanILN6hipcub18BlockScanAlgorithmE1EEN15benchmark_utils11custom_typeIffEELj256ELj8ELj100EEvPKT0_PS7_S7_ ; -- Begin function _Z6kernelI14inclusive_scanILN6hipcub18BlockScanAlgorithmE1EEN15benchmark_utils11custom_typeIffEELj256ELj8ELj100EEvPKT0_PS7_S7_
	.globl	_Z6kernelI14inclusive_scanILN6hipcub18BlockScanAlgorithmE1EEN15benchmark_utils11custom_typeIffEELj256ELj8ELj100EEvPKT0_PS7_S7_
	.p2align	8
	.type	_Z6kernelI14inclusive_scanILN6hipcub18BlockScanAlgorithmE1EEN15benchmark_utils11custom_typeIffEELj256ELj8ELj100EEvPKT0_PS7_S7_,@function
_Z6kernelI14inclusive_scanILN6hipcub18BlockScanAlgorithmE1EEN15benchmark_utils11custom_typeIffEELj256ELj8ELj100EEvPKT0_PS7_S7_: ; @_Z6kernelI14inclusive_scanILN6hipcub18BlockScanAlgorithmE1EEN15benchmark_utils11custom_typeIffEELj256ELj8ELj100EEvPKT0_PS7_S7_
; %bb.0:
	s_load_dword s0, s[4:5], 0x24
	s_load_dwordx4 s[8:11], s[4:5], 0x0
	v_mov_b32_e32 v2, 0
	v_lshlrev_b32_e32 v19, 5, v0
	s_movk_i32 s12, 0x64
	s_waitcnt lgkmcnt(0)
	s_and_b32 s0, s0, 0xffff
	s_mul_i32 s6, s6, s0
	v_add_lshl_u32 v1, s6, v0, 3
	v_lshlrev_b64 v[37:38], 3, v[1:2]
	v_mov_b32_e32 v1, s9
	v_add_co_u32_e32 v17, vcc, s8, v37
	v_addc_co_u32_e32 v18, vcc, v1, v38, vcc
	global_load_dwordx4 v[1:4], v[17:18], off
	global_load_dwordx4 v[5:8], v[17:18], off offset:16
	global_load_dwordx4 v[13:16], v[17:18], off offset:32
	global_load_dwordx4 v[9:12], v[17:18], off offset:48
	v_lshrrev_b32_e32 v17, 2, v0
	v_and_b32_e32 v17, 56, v17
	v_lshl_add_u32 v39, v0, 3, v17
	v_subrev_co_u32_e64 v17, s[0:1], 1, v0
	v_cmp_gt_u32_e32 vcc, 64, v0
	v_and_b32_e32 v18, 0xf8, v0
	v_lshrrev_b32_e32 v0, 2, v17
	v_and_b32_e32 v0, 0x3ffffff8, v0
	v_lshl_add_u32 v0, v17, 3, v0
	v_mbcnt_lo_u32_b32 v17, -1, 0
	s_xor_b64 s[4:5], s[0:1], -1
	v_add_u32_e32 v40, v18, v19
	v_mbcnt_hi_u32_b32 v41, -1, v17
.LBB50_1:                               ; =>This Inner Loop Header: Depth=1
	s_waitcnt vmcnt(3)
	v_add_f32_e32 v42, v3, v1
	v_add_f32_e32 v43, v4, v2
	s_waitcnt vmcnt(2)
	v_add_f32_e32 v17, v5, v42
	v_add_f32_e32 v18, v6, v43
	v_add_f32_e32 v19, v7, v17
	v_add_f32_e32 v20, v8, v18
	s_waitcnt vmcnt(1)
	v_add_f32_e32 v21, v13, v19
	v_add_f32_e32 v22, v14, v20
	;; [unrolled: 5-line block ×3, first 2 shown]
	v_add_f32_e32 v27, v11, v25
	v_add_f32_e32 v28, v12, v26
	ds_write_b64 v39, v[27:28]
	s_waitcnt lgkmcnt(0)
	s_barrier
	s_and_saveexec_b64 s[6:7], vcc
	s_cbranch_execz .LBB50_13
; %bb.2:                                ;   in Loop: Header=BB50_1 Depth=1
	ds_read2_b64 v[33:36], v40 offset1:1
	ds_read2_b64 v[29:32], v40 offset0:2 offset1:3
	v_and_b32_e32 v46, 15, v41
	v_cmp_ne_u32_e64 s[2:3], 0, v46
	s_waitcnt lgkmcnt(1)
	v_add_f32_e32 v44, v33, v35
	v_add_f32_e32 v45, v34, v36
	s_waitcnt lgkmcnt(0)
	v_add_f32_e32 v44, v44, v29
	v_add_f32_e32 v45, v45, v30
	v_add_f32_e32 v44, v44, v31
	v_add_f32_e32 v45, v45, v32
	s_nop 0
	v_mov_b32_dpp v47, v44 row_shr:1 row_mask:0xf bank_mask:0xf
	v_mov_b32_dpp v48, v45 row_shr:1 row_mask:0xf bank_mask:0xf
	s_and_saveexec_b64 s[8:9], s[2:3]
; %bb.3:                                ;   in Loop: Header=BB50_1 Depth=1
	v_add_f32_e32 v45, v45, v48
	v_add_f32_e32 v44, v44, v47
; %bb.4:                                ;   in Loop: Header=BB50_1 Depth=1
	s_or_b64 exec, exec, s[8:9]
	s_nop 0
	v_mov_b32_dpp v47, v44 row_shr:2 row_mask:0xf bank_mask:0xf
	v_mov_b32_dpp v48, v45 row_shr:2 row_mask:0xf bank_mask:0xf
	v_cmp_lt_u32_e64 s[2:3], 1, v46
	s_and_saveexec_b64 s[8:9], s[2:3]
; %bb.5:                                ;   in Loop: Header=BB50_1 Depth=1
	v_add_f32_e32 v45, v45, v48
	v_add_f32_e32 v44, v44, v47
; %bb.6:                                ;   in Loop: Header=BB50_1 Depth=1
	s_or_b64 exec, exec, s[8:9]
	s_nop 0
	v_mov_b32_dpp v47, v44 row_shr:4 row_mask:0xf bank_mask:0xf
	v_mov_b32_dpp v48, v45 row_shr:4 row_mask:0xf bank_mask:0xf
	v_cmp_lt_u32_e64 s[2:3], 3, v46
	;; [unrolled: 10-line block ×3, first 2 shown]
	s_and_saveexec_b64 s[8:9], s[2:3]
; %bb.9:                                ;   in Loop: Header=BB50_1 Depth=1
	v_add_f32_e32 v45, v45, v48
	v_add_f32_e32 v44, v44, v47
; %bb.10:                               ;   in Loop: Header=BB50_1 Depth=1
	s_or_b64 exec, exec, s[8:9]
	v_and_b32_e32 v48, 16, v41
	v_mov_b32_dpp v46, v44 row_bcast:15 row_mask:0xf bank_mask:0xf
	v_mov_b32_dpp v47, v45 row_bcast:15 row_mask:0xf bank_mask:0xf
	v_cmp_ne_u32_e64 s[2:3], 0, v48
	s_and_saveexec_b64 s[8:9], s[2:3]
; %bb.11:                               ;   in Loop: Header=BB50_1 Depth=1
	v_add_f32_e32 v45, v45, v47
	v_add_f32_e32 v44, v44, v46
; %bb.12:                               ;   in Loop: Header=BB50_1 Depth=1
	s_or_b64 exec, exec, s[8:9]
	s_nop 0
	v_mov_b32_dpp v46, v44 row_bcast:31 row_mask:0xf bank_mask:0xf
	v_mov_b32_dpp v47, v45 row_bcast:31 row_mask:0xf bank_mask:0xf
	v_add_f32_e32 v47, v45, v47
	v_add_f32_e32 v46, v44, v46
	v_cmp_lt_u32_e64 s[2:3], 31, v41
	v_cndmask_b32_e64 v44, v44, v46, s[2:3]
	v_cndmask_b32_e64 v45, v45, v47, s[2:3]
	v_add_u32_e32 v46, -1, v41
	v_and_b32_e32 v47, 64, v41
	v_cmp_lt_i32_e64 s[2:3], v46, v47
	v_cndmask_b32_e64 v46, v46, v41, s[2:3]
	v_lshlrev_b32_e32 v46, 2, v46
	ds_bpermute_b32 v44, v46, v44
	ds_bpermute_b32 v45, v46, v45
	s_waitcnt lgkmcnt(1)
	v_add_f32_e32 v33, v33, v44
	s_waitcnt lgkmcnt(0)
	v_add_f32_e32 v34, v34, v45
	v_cndmask_b32_e64 v33, v33, v27, s[0:1]
	v_cndmask_b32_e64 v34, v34, v28, s[0:1]
	v_add_f32_e32 v35, v35, v33
	v_add_f32_e32 v36, v36, v34
	;; [unrolled: 1-line block ×6, first 2 shown]
	ds_write2_b64 v40, v[33:34], v[35:36] offset1:1
	ds_write2_b64 v40, v[29:30], v[31:32] offset0:2 offset1:3
.LBB50_13:                              ;   in Loop: Header=BB50_1 Depth=1
	s_or_b64 exec, exec, s[6:7]
	s_waitcnt lgkmcnt(0)
	s_barrier
	s_and_saveexec_b64 s[2:3], s[4:5]
	s_cbranch_execz .LBB50_15
; %bb.14:                               ;   in Loop: Header=BB50_1 Depth=1
	ds_read_b64 v[17:18], v0
	s_waitcnt lgkmcnt(0)
	v_add_f32_e32 v1, v1, v17
	v_add_f32_e32 v2, v2, v18
	;; [unrolled: 1-line block ×16, first 2 shown]
.LBB50_15:                              ;   in Loop: Header=BB50_1 Depth=1
	s_or_b64 exec, exec, s[2:3]
	s_add_i32 s12, s12, -1
	s_cmp_lg_u32 s12, 0
	s_cbranch_scc0 .LBB50_17
; %bb.16:                               ;   in Loop: Header=BB50_1 Depth=1
	v_mov_b32_e32 v12, v28
	v_mov_b32_e32 v11, v27
	;; [unrolled: 1-line block ×14, first 2 shown]
	s_branch .LBB50_1
.LBB50_17:
	v_mov_b32_e32 v0, s11
	v_add_co_u32_e32 v5, vcc, s10, v37
	v_addc_co_u32_e32 v6, vcc, v0, v38, vcc
	v_mov_b32_e32 v3, v42
	v_mov_b32_e32 v4, v43
	global_store_dwordx4 v[5:6], v[1:4], off
	global_store_dwordx4 v[5:6], v[17:20], off offset:16
	global_store_dwordx4 v[5:6], v[21:24], off offset:32
	;; [unrolled: 1-line block ×3, first 2 shown]
	s_endpgm
	.section	.rodata,"a",@progbits
	.p2align	6, 0x0
	.amdhsa_kernel _Z6kernelI14inclusive_scanILN6hipcub18BlockScanAlgorithmE1EEN15benchmark_utils11custom_typeIffEELj256ELj8ELj100EEvPKT0_PS7_S7_
		.amdhsa_group_segment_fixed_size 2112
		.amdhsa_private_segment_fixed_size 0
		.amdhsa_kernarg_size 280
		.amdhsa_user_sgpr_count 6
		.amdhsa_user_sgpr_private_segment_buffer 1
		.amdhsa_user_sgpr_dispatch_ptr 0
		.amdhsa_user_sgpr_queue_ptr 0
		.amdhsa_user_sgpr_kernarg_segment_ptr 1
		.amdhsa_user_sgpr_dispatch_id 0
		.amdhsa_user_sgpr_flat_scratch_init 0
		.amdhsa_user_sgpr_private_segment_size 0
		.amdhsa_uses_dynamic_stack 0
		.amdhsa_system_sgpr_private_segment_wavefront_offset 0
		.amdhsa_system_sgpr_workgroup_id_x 1
		.amdhsa_system_sgpr_workgroup_id_y 0
		.amdhsa_system_sgpr_workgroup_id_z 0
		.amdhsa_system_sgpr_workgroup_info 0
		.amdhsa_system_vgpr_workitem_id 0
		.amdhsa_next_free_vgpr 49
		.amdhsa_next_free_sgpr 13
		.amdhsa_reserve_vcc 1
		.amdhsa_reserve_flat_scratch 0
		.amdhsa_float_round_mode_32 0
		.amdhsa_float_round_mode_16_64 0
		.amdhsa_float_denorm_mode_32 3
		.amdhsa_float_denorm_mode_16_64 3
		.amdhsa_dx10_clamp 1
		.amdhsa_ieee_mode 1
		.amdhsa_fp16_overflow 0
		.amdhsa_exception_fp_ieee_invalid_op 0
		.amdhsa_exception_fp_denorm_src 0
		.amdhsa_exception_fp_ieee_div_zero 0
		.amdhsa_exception_fp_ieee_overflow 0
		.amdhsa_exception_fp_ieee_underflow 0
		.amdhsa_exception_fp_ieee_inexact 0
		.amdhsa_exception_int_div_zero 0
	.end_amdhsa_kernel
	.section	.text._Z6kernelI14inclusive_scanILN6hipcub18BlockScanAlgorithmE1EEN15benchmark_utils11custom_typeIffEELj256ELj8ELj100EEvPKT0_PS7_S7_,"axG",@progbits,_Z6kernelI14inclusive_scanILN6hipcub18BlockScanAlgorithmE1EEN15benchmark_utils11custom_typeIffEELj256ELj8ELj100EEvPKT0_PS7_S7_,comdat
.Lfunc_end50:
	.size	_Z6kernelI14inclusive_scanILN6hipcub18BlockScanAlgorithmE1EEN15benchmark_utils11custom_typeIffEELj256ELj8ELj100EEvPKT0_PS7_S7_, .Lfunc_end50-_Z6kernelI14inclusive_scanILN6hipcub18BlockScanAlgorithmE1EEN15benchmark_utils11custom_typeIffEELj256ELj8ELj100EEvPKT0_PS7_S7_
                                        ; -- End function
	.set _Z6kernelI14inclusive_scanILN6hipcub18BlockScanAlgorithmE1EEN15benchmark_utils11custom_typeIffEELj256ELj8ELj100EEvPKT0_PS7_S7_.num_vgpr, 49
	.set _Z6kernelI14inclusive_scanILN6hipcub18BlockScanAlgorithmE1EEN15benchmark_utils11custom_typeIffEELj256ELj8ELj100EEvPKT0_PS7_S7_.num_agpr, 0
	.set _Z6kernelI14inclusive_scanILN6hipcub18BlockScanAlgorithmE1EEN15benchmark_utils11custom_typeIffEELj256ELj8ELj100EEvPKT0_PS7_S7_.numbered_sgpr, 13
	.set _Z6kernelI14inclusive_scanILN6hipcub18BlockScanAlgorithmE1EEN15benchmark_utils11custom_typeIffEELj256ELj8ELj100EEvPKT0_PS7_S7_.num_named_barrier, 0
	.set _Z6kernelI14inclusive_scanILN6hipcub18BlockScanAlgorithmE1EEN15benchmark_utils11custom_typeIffEELj256ELj8ELj100EEvPKT0_PS7_S7_.private_seg_size, 0
	.set _Z6kernelI14inclusive_scanILN6hipcub18BlockScanAlgorithmE1EEN15benchmark_utils11custom_typeIffEELj256ELj8ELj100EEvPKT0_PS7_S7_.uses_vcc, 1
	.set _Z6kernelI14inclusive_scanILN6hipcub18BlockScanAlgorithmE1EEN15benchmark_utils11custom_typeIffEELj256ELj8ELj100EEvPKT0_PS7_S7_.uses_flat_scratch, 0
	.set _Z6kernelI14inclusive_scanILN6hipcub18BlockScanAlgorithmE1EEN15benchmark_utils11custom_typeIffEELj256ELj8ELj100EEvPKT0_PS7_S7_.has_dyn_sized_stack, 0
	.set _Z6kernelI14inclusive_scanILN6hipcub18BlockScanAlgorithmE1EEN15benchmark_utils11custom_typeIffEELj256ELj8ELj100EEvPKT0_PS7_S7_.has_recursion, 0
	.set _Z6kernelI14inclusive_scanILN6hipcub18BlockScanAlgorithmE1EEN15benchmark_utils11custom_typeIffEELj256ELj8ELj100EEvPKT0_PS7_S7_.has_indirect_call, 0
	.section	.AMDGPU.csdata,"",@progbits
; Kernel info:
; codeLenInByte = 948
; TotalNumSgprs: 17
; NumVgprs: 49
; ScratchSize: 0
; MemoryBound: 0
; FloatMode: 240
; IeeeMode: 1
; LDSByteSize: 2112 bytes/workgroup (compile time only)
; SGPRBlocks: 2
; VGPRBlocks: 12
; NumSGPRsForWavesPerEU: 17
; NumVGPRsForWavesPerEU: 49
; Occupancy: 4
; WaveLimiterHint : 0
; COMPUTE_PGM_RSRC2:SCRATCH_EN: 0
; COMPUTE_PGM_RSRC2:USER_SGPR: 6
; COMPUTE_PGM_RSRC2:TRAP_HANDLER: 0
; COMPUTE_PGM_RSRC2:TGID_X_EN: 1
; COMPUTE_PGM_RSRC2:TGID_Y_EN: 0
; COMPUTE_PGM_RSRC2:TGID_Z_EN: 0
; COMPUTE_PGM_RSRC2:TIDIG_COMP_CNT: 0
	.section	.text._Z6kernelI14inclusive_scanILN6hipcub18BlockScanAlgorithmE1EEN15benchmark_utils11custom_typeIddEELj256ELj1ELj100EEvPKT0_PS7_S7_,"axG",@progbits,_Z6kernelI14inclusive_scanILN6hipcub18BlockScanAlgorithmE1EEN15benchmark_utils11custom_typeIddEELj256ELj1ELj100EEvPKT0_PS7_S7_,comdat
	.protected	_Z6kernelI14inclusive_scanILN6hipcub18BlockScanAlgorithmE1EEN15benchmark_utils11custom_typeIddEELj256ELj1ELj100EEvPKT0_PS7_S7_ ; -- Begin function _Z6kernelI14inclusive_scanILN6hipcub18BlockScanAlgorithmE1EEN15benchmark_utils11custom_typeIddEELj256ELj1ELj100EEvPKT0_PS7_S7_
	.globl	_Z6kernelI14inclusive_scanILN6hipcub18BlockScanAlgorithmE1EEN15benchmark_utils11custom_typeIddEELj256ELj1ELj100EEvPKT0_PS7_S7_
	.p2align	8
	.type	_Z6kernelI14inclusive_scanILN6hipcub18BlockScanAlgorithmE1EEN15benchmark_utils11custom_typeIddEELj256ELj1ELj100EEvPKT0_PS7_S7_,@function
_Z6kernelI14inclusive_scanILN6hipcub18BlockScanAlgorithmE1EEN15benchmark_utils11custom_typeIddEELj256ELj1ELj100EEvPKT0_PS7_S7_: ; @_Z6kernelI14inclusive_scanILN6hipcub18BlockScanAlgorithmE1EEN15benchmark_utils11custom_typeIddEELj256ELj1ELj100EEvPKT0_PS7_S7_
; %bb.0:
	s_load_dword s0, s[4:5], 0x2c
	s_load_dwordx4 s[8:11], s[4:5], 0x0
	v_mov_b32_e32 v2, 0
	v_lshrrev_b32_e32 v5, 1, v0
	v_and_b32_e32 v5, 0x70, v5
	s_waitcnt lgkmcnt(0)
	s_and_b32 s0, s0, 0xffff
	s_mul_i32 s6, s6, s0
	v_add_u32_e32 v1, s6, v0
	v_lshlrev_b64 v[21:22], 4, v[1:2]
	v_mov_b32_e32 v2, s9
	v_add_co_u32_e32 v1, vcc, s8, v21
	v_addc_co_u32_e32 v2, vcc, v2, v22, vcc
	global_load_dwordx4 v[1:4], v[1:2], off
	v_lshl_add_u32 v31, v0, 4, v5
	v_lshlrev_b32_e32 v5, 1, v0
	v_and_b32_e32 v5, 0x1f0, v5
	v_lshlrev_b32_e32 v6, 6, v0
	v_cmp_gt_u32_e32 vcc, 64, v0
	v_cmp_eq_u32_e64 s[0:1], 0, v0
	v_add_u32_e32 v0, v5, v6
	v_mbcnt_lo_u32_b32 v5, -1, 0
	v_mbcnt_hi_u32_b32 v32, -1, v5
	s_movk_i32 s8, 0x64
	v_and_b32_e32 v33, 15, v32
	s_branch .LBB51_3
.LBB51_1:                               ;   in Loop: Header=BB51_3 Depth=1
	s_or_b64 exec, exec, s[6:7]
	v_add_u32_e32 v27, -1, v32
	v_and_b32_e32 v28, 64, v32
	v_cmp_lt_i32_e64 s[2:3], v27, v28
	v_cndmask_b32_e64 v27, v27, v32, s[2:3]
	v_lshlrev_b32_e32 v27, 2, v27
	ds_bpermute_b32 v25, v27, v25
	ds_bpermute_b32 v26, v27, v26
	;; [unrolled: 1-line block ×4, first 2 shown]
	s_waitcnt lgkmcnt(2)
	v_add_f64 v[15:16], v[15:16], v[25:26]
	s_waitcnt lgkmcnt(0)
	v_add_f64 v[13:14], v[13:14], v[23:24]
	v_cndmask_b32_e64 v4, v16, v4, s[0:1]
	v_cndmask_b32_e64 v3, v15, v3, s[0:1]
	;; [unrolled: 1-line block ×4, first 2 shown]
	v_add_f64 v[5:6], v[5:6], v[1:2]
	v_add_f64 v[7:8], v[7:8], v[3:4]
	;; [unrolled: 1-line block ×6, first 2 shown]
	ds_write2_b64 v0, v[1:2], v[3:4] offset1:1
	ds_write2_b64 v0, v[5:6], v[7:8] offset0:2 offset1:3
	ds_write2_b64 v0, v[13:14], v[15:16] offset0:4 offset1:5
	;; [unrolled: 1-line block ×3, first 2 shown]
.LBB51_2:                               ;   in Loop: Header=BB51_3 Depth=1
	s_or_b64 exec, exec, s[4:5]
	s_waitcnt lgkmcnt(0)
	s_barrier
	ds_read2_b64 v[1:4], v31 offset1:1
	s_add_i32 s8, s8, -1
	s_cmp_lg_u32 s8, 0
	s_cbranch_scc0 .LBB51_16
.LBB51_3:                               ; =>This Inner Loop Header: Depth=1
	s_waitcnt vmcnt(0) lgkmcnt(0)
	ds_write2_b64 v31, v[1:2], v[3:4] offset1:1
	s_waitcnt lgkmcnt(0)
	s_barrier
	s_and_saveexec_b64 s[4:5], vcc
	s_cbranch_execz .LBB51_2
; %bb.4:                                ;   in Loop: Header=BB51_3 Depth=1
	ds_read2_b64 v[13:16], v0 offset1:1
	ds_read2_b64 v[5:8], v0 offset0:2 offset1:3
	ds_read2_b64 v[17:20], v0 offset0:4 offset1:5
	;; [unrolled: 1-line block ×3, first 2 shown]
	v_cmp_ne_u32_e64 s[2:3], 0, v33
	s_waitcnt lgkmcnt(2)
	v_add_f64 v[23:24], v[13:14], v[5:6]
	v_add_f64 v[25:26], v[15:16], v[7:8]
	s_waitcnt lgkmcnt(1)
	v_add_f64 v[23:24], v[23:24], v[17:18]
	v_add_f64 v[25:26], v[25:26], v[19:20]
	;; [unrolled: 3-line block ×3, first 2 shown]
	s_nop 0
	v_mov_b32_dpp v27, v23 row_shr:1 row_mask:0xf bank_mask:0xf
	v_mov_b32_dpp v28, v24 row_shr:1 row_mask:0xf bank_mask:0xf
	;; [unrolled: 1-line block ×4, first 2 shown]
	s_and_saveexec_b64 s[6:7], s[2:3]
	s_cbranch_execz .LBB51_6
; %bb.5:                                ;   in Loop: Header=BB51_3 Depth=1
	v_add_f64 v[25:26], v[25:26], v[29:30]
	v_add_f64 v[23:24], v[23:24], v[27:28]
.LBB51_6:                               ;   in Loop: Header=BB51_3 Depth=1
	s_or_b64 exec, exec, s[6:7]
	s_nop 0
	v_mov_b32_dpp v27, v23 row_shr:2 row_mask:0xf bank_mask:0xf
	v_mov_b32_dpp v28, v24 row_shr:2 row_mask:0xf bank_mask:0xf
	;; [unrolled: 1-line block ×4, first 2 shown]
	v_cmp_lt_u32_e64 s[2:3], 1, v33
	s_and_saveexec_b64 s[6:7], s[2:3]
	s_cbranch_execz .LBB51_8
; %bb.7:                                ;   in Loop: Header=BB51_3 Depth=1
	v_add_f64 v[25:26], v[25:26], v[29:30]
	v_add_f64 v[23:24], v[23:24], v[27:28]
.LBB51_8:                               ;   in Loop: Header=BB51_3 Depth=1
	s_or_b64 exec, exec, s[6:7]
	s_nop 0
	v_mov_b32_dpp v27, v23 row_shr:4 row_mask:0xf bank_mask:0xf
	v_mov_b32_dpp v28, v24 row_shr:4 row_mask:0xf bank_mask:0xf
	;; [unrolled: 1-line block ×4, first 2 shown]
	v_cmp_lt_u32_e64 s[2:3], 3, v33
	s_and_saveexec_b64 s[6:7], s[2:3]
	s_cbranch_execz .LBB51_10
; %bb.9:                                ;   in Loop: Header=BB51_3 Depth=1
	v_add_f64 v[25:26], v[25:26], v[29:30]
	v_add_f64 v[23:24], v[23:24], v[27:28]
.LBB51_10:                              ;   in Loop: Header=BB51_3 Depth=1
	s_or_b64 exec, exec, s[6:7]
	s_nop 0
	v_mov_b32_dpp v27, v23 row_shr:8 row_mask:0xf bank_mask:0xf
	v_mov_b32_dpp v28, v24 row_shr:8 row_mask:0xf bank_mask:0xf
	;; [unrolled: 1-line block ×4, first 2 shown]
	v_cmp_lt_u32_e64 s[2:3], 7, v33
	s_and_saveexec_b64 s[6:7], s[2:3]
	s_cbranch_execz .LBB51_12
; %bb.11:                               ;   in Loop: Header=BB51_3 Depth=1
	v_add_f64 v[25:26], v[25:26], v[29:30]
	v_add_f64 v[23:24], v[23:24], v[27:28]
.LBB51_12:                              ;   in Loop: Header=BB51_3 Depth=1
	s_or_b64 exec, exec, s[6:7]
	v_and_b32_e32 v34, 16, v32
	v_mov_b32_dpp v27, v23 row_bcast:15 row_mask:0xf bank_mask:0xf
	v_mov_b32_dpp v28, v24 row_bcast:15 row_mask:0xf bank_mask:0xf
	;; [unrolled: 1-line block ×4, first 2 shown]
	v_cmp_ne_u32_e64 s[2:3], 0, v34
	s_and_saveexec_b64 s[6:7], s[2:3]
	s_cbranch_execz .LBB51_14
; %bb.13:                               ;   in Loop: Header=BB51_3 Depth=1
	v_add_f64 v[25:26], v[25:26], v[29:30]
	v_add_f64 v[23:24], v[23:24], v[27:28]
.LBB51_14:                              ;   in Loop: Header=BB51_3 Depth=1
	s_or_b64 exec, exec, s[6:7]
	s_nop 0
	v_mov_b32_dpp v27, v23 row_bcast:31 row_mask:0xf bank_mask:0xf
	v_mov_b32_dpp v28, v24 row_bcast:31 row_mask:0xf bank_mask:0xf
	;; [unrolled: 1-line block ×4, first 2 shown]
	v_cmp_lt_u32_e64 s[2:3], 31, v32
	s_and_saveexec_b64 s[6:7], s[2:3]
	s_cbranch_execz .LBB51_1
; %bb.15:                               ;   in Loop: Header=BB51_3 Depth=1
	v_add_f64 v[25:26], v[25:26], v[29:30]
	v_add_f64 v[23:24], v[23:24], v[27:28]
	s_branch .LBB51_1
.LBB51_16:
	v_mov_b32_e32 v0, s11
	v_add_co_u32_e32 v5, vcc, s10, v21
	v_addc_co_u32_e32 v6, vcc, v0, v22, vcc
	s_waitcnt lgkmcnt(0)
	global_store_dwordx4 v[5:6], v[1:4], off
	s_endpgm
	.section	.rodata,"a",@progbits
	.p2align	6, 0x0
	.amdhsa_kernel _Z6kernelI14inclusive_scanILN6hipcub18BlockScanAlgorithmE1EEN15benchmark_utils11custom_typeIddEELj256ELj1ELj100EEvPKT0_PS7_S7_
		.amdhsa_group_segment_fixed_size 4224
		.amdhsa_private_segment_fixed_size 0
		.amdhsa_kernarg_size 288
		.amdhsa_user_sgpr_count 6
		.amdhsa_user_sgpr_private_segment_buffer 1
		.amdhsa_user_sgpr_dispatch_ptr 0
		.amdhsa_user_sgpr_queue_ptr 0
		.amdhsa_user_sgpr_kernarg_segment_ptr 1
		.amdhsa_user_sgpr_dispatch_id 0
		.amdhsa_user_sgpr_flat_scratch_init 0
		.amdhsa_user_sgpr_private_segment_size 0
		.amdhsa_uses_dynamic_stack 0
		.amdhsa_system_sgpr_private_segment_wavefront_offset 0
		.amdhsa_system_sgpr_workgroup_id_x 1
		.amdhsa_system_sgpr_workgroup_id_y 0
		.amdhsa_system_sgpr_workgroup_id_z 0
		.amdhsa_system_sgpr_workgroup_info 0
		.amdhsa_system_vgpr_workitem_id 0
		.amdhsa_next_free_vgpr 35
		.amdhsa_next_free_sgpr 12
		.amdhsa_reserve_vcc 1
		.amdhsa_reserve_flat_scratch 0
		.amdhsa_float_round_mode_32 0
		.amdhsa_float_round_mode_16_64 0
		.amdhsa_float_denorm_mode_32 3
		.amdhsa_float_denorm_mode_16_64 3
		.amdhsa_dx10_clamp 1
		.amdhsa_ieee_mode 1
		.amdhsa_fp16_overflow 0
		.amdhsa_exception_fp_ieee_invalid_op 0
		.amdhsa_exception_fp_denorm_src 0
		.amdhsa_exception_fp_ieee_div_zero 0
		.amdhsa_exception_fp_ieee_overflow 0
		.amdhsa_exception_fp_ieee_underflow 0
		.amdhsa_exception_fp_ieee_inexact 0
		.amdhsa_exception_int_div_zero 0
	.end_amdhsa_kernel
	.section	.text._Z6kernelI14inclusive_scanILN6hipcub18BlockScanAlgorithmE1EEN15benchmark_utils11custom_typeIddEELj256ELj1ELj100EEvPKT0_PS7_S7_,"axG",@progbits,_Z6kernelI14inclusive_scanILN6hipcub18BlockScanAlgorithmE1EEN15benchmark_utils11custom_typeIddEELj256ELj1ELj100EEvPKT0_PS7_S7_,comdat
.Lfunc_end51:
	.size	_Z6kernelI14inclusive_scanILN6hipcub18BlockScanAlgorithmE1EEN15benchmark_utils11custom_typeIddEELj256ELj1ELj100EEvPKT0_PS7_S7_, .Lfunc_end51-_Z6kernelI14inclusive_scanILN6hipcub18BlockScanAlgorithmE1EEN15benchmark_utils11custom_typeIddEELj256ELj1ELj100EEvPKT0_PS7_S7_
                                        ; -- End function
	.set _Z6kernelI14inclusive_scanILN6hipcub18BlockScanAlgorithmE1EEN15benchmark_utils11custom_typeIddEELj256ELj1ELj100EEvPKT0_PS7_S7_.num_vgpr, 35
	.set _Z6kernelI14inclusive_scanILN6hipcub18BlockScanAlgorithmE1EEN15benchmark_utils11custom_typeIddEELj256ELj1ELj100EEvPKT0_PS7_S7_.num_agpr, 0
	.set _Z6kernelI14inclusive_scanILN6hipcub18BlockScanAlgorithmE1EEN15benchmark_utils11custom_typeIddEELj256ELj1ELj100EEvPKT0_PS7_S7_.numbered_sgpr, 12
	.set _Z6kernelI14inclusive_scanILN6hipcub18BlockScanAlgorithmE1EEN15benchmark_utils11custom_typeIddEELj256ELj1ELj100EEvPKT0_PS7_S7_.num_named_barrier, 0
	.set _Z6kernelI14inclusive_scanILN6hipcub18BlockScanAlgorithmE1EEN15benchmark_utils11custom_typeIddEELj256ELj1ELj100EEvPKT0_PS7_S7_.private_seg_size, 0
	.set _Z6kernelI14inclusive_scanILN6hipcub18BlockScanAlgorithmE1EEN15benchmark_utils11custom_typeIddEELj256ELj1ELj100EEvPKT0_PS7_S7_.uses_vcc, 1
	.set _Z6kernelI14inclusive_scanILN6hipcub18BlockScanAlgorithmE1EEN15benchmark_utils11custom_typeIddEELj256ELj1ELj100EEvPKT0_PS7_S7_.uses_flat_scratch, 0
	.set _Z6kernelI14inclusive_scanILN6hipcub18BlockScanAlgorithmE1EEN15benchmark_utils11custom_typeIddEELj256ELj1ELj100EEvPKT0_PS7_S7_.has_dyn_sized_stack, 0
	.set _Z6kernelI14inclusive_scanILN6hipcub18BlockScanAlgorithmE1EEN15benchmark_utils11custom_typeIddEELj256ELj1ELj100EEvPKT0_PS7_S7_.has_recursion, 0
	.set _Z6kernelI14inclusive_scanILN6hipcub18BlockScanAlgorithmE1EEN15benchmark_utils11custom_typeIddEELj256ELj1ELj100EEvPKT0_PS7_S7_.has_indirect_call, 0
	.section	.AMDGPU.csdata,"",@progbits
; Kernel info:
; codeLenInByte = 960
; TotalNumSgprs: 16
; NumVgprs: 35
; ScratchSize: 0
; MemoryBound: 0
; FloatMode: 240
; IeeeMode: 1
; LDSByteSize: 4224 bytes/workgroup (compile time only)
; SGPRBlocks: 1
; VGPRBlocks: 8
; NumSGPRsForWavesPerEU: 16
; NumVGPRsForWavesPerEU: 35
; Occupancy: 7
; WaveLimiterHint : 0
; COMPUTE_PGM_RSRC2:SCRATCH_EN: 0
; COMPUTE_PGM_RSRC2:USER_SGPR: 6
; COMPUTE_PGM_RSRC2:TRAP_HANDLER: 0
; COMPUTE_PGM_RSRC2:TGID_X_EN: 1
; COMPUTE_PGM_RSRC2:TGID_Y_EN: 0
; COMPUTE_PGM_RSRC2:TGID_Z_EN: 0
; COMPUTE_PGM_RSRC2:TIDIG_COMP_CNT: 0
	.section	.text._Z6kernelI14inclusive_scanILN6hipcub18BlockScanAlgorithmE1EEN15benchmark_utils11custom_typeIddEELj256ELj4ELj100EEvPKT0_PS7_S7_,"axG",@progbits,_Z6kernelI14inclusive_scanILN6hipcub18BlockScanAlgorithmE1EEN15benchmark_utils11custom_typeIddEELj256ELj4ELj100EEvPKT0_PS7_S7_,comdat
	.protected	_Z6kernelI14inclusive_scanILN6hipcub18BlockScanAlgorithmE1EEN15benchmark_utils11custom_typeIddEELj256ELj4ELj100EEvPKT0_PS7_S7_ ; -- Begin function _Z6kernelI14inclusive_scanILN6hipcub18BlockScanAlgorithmE1EEN15benchmark_utils11custom_typeIddEELj256ELj4ELj100EEvPKT0_PS7_S7_
	.globl	_Z6kernelI14inclusive_scanILN6hipcub18BlockScanAlgorithmE1EEN15benchmark_utils11custom_typeIddEELj256ELj4ELj100EEvPKT0_PS7_S7_
	.p2align	8
	.type	_Z6kernelI14inclusive_scanILN6hipcub18BlockScanAlgorithmE1EEN15benchmark_utils11custom_typeIddEELj256ELj4ELj100EEvPKT0_PS7_S7_,@function
_Z6kernelI14inclusive_scanILN6hipcub18BlockScanAlgorithmE1EEN15benchmark_utils11custom_typeIddEELj256ELj4ELj100EEvPKT0_PS7_S7_: ; @_Z6kernelI14inclusive_scanILN6hipcub18BlockScanAlgorithmE1EEN15benchmark_utils11custom_typeIddEELj256ELj4ELj100EEvPKT0_PS7_S7_
; %bb.0:
	s_load_dword s0, s[4:5], 0x2c
	s_load_dwordx4 s[8:11], s[4:5], 0x0
	v_mov_b32_e32 v2, 0
	v_lshlrev_b32_e32 v19, 6, v0
	s_movk_i32 s12, 0x64
	s_waitcnt lgkmcnt(0)
	s_and_b32 s0, s0, 0xffff
	s_mul_i32 s6, s6, s0
	v_add_lshl_u32 v1, s6, v0, 2
	v_lshlrev_b64 v[45:46], 4, v[1:2]
	v_mov_b32_e32 v1, s9
	v_add_co_u32_e32 v17, vcc, s8, v45
	v_addc_co_u32_e32 v18, vcc, v1, v46, vcc
	global_load_dwordx4 v[5:8], v[17:18], off offset:48
	global_load_dwordx4 v[9:12], v[17:18], off offset:32
	;; [unrolled: 1-line block ×3, first 2 shown]
	global_load_dwordx4 v[1:4], v[17:18], off
	v_lshrrev_b32_e32 v17, 1, v0
	v_and_b32_e32 v17, 0x70, v17
	v_lshl_add_u32 v55, v0, 4, v17
	v_subrev_co_u32_e64 v17, s[0:1], 1, v0
	v_cmp_gt_u32_e32 vcc, 64, v0
	v_lshlrev_b32_e32 v18, 1, v0
	v_lshrrev_b32_e32 v0, 1, v17
	v_and_b32_e32 v0, 0x7ffffff0, v0
	v_lshl_add_u32 v0, v17, 4, v0
	v_mbcnt_lo_u32_b32 v17, -1, 0
	v_and_b32_e32 v18, 0x1f0, v18
	v_mbcnt_hi_u32_b32 v57, -1, v17
	s_xor_b64 s[4:5], s[0:1], -1
	v_add_u32_e32 v56, v18, v19
	v_and_b32_e32 v58, 15, v57
.LBB52_1:                               ; =>This Inner Loop Header: Depth=1
	s_waitcnt vmcnt(0)
	v_add_f64 v[17:18], v[13:14], v[1:2]
	v_add_f64 v[19:20], v[15:16], v[3:4]
	;; [unrolled: 1-line block ×6, first 2 shown]
	ds_write2_b64 v55, v[25:26], v[27:28] offset1:1
	s_waitcnt lgkmcnt(0)
	s_barrier
	s_and_saveexec_b64 s[6:7], vcc
	s_cbranch_execz .LBB52_15
; %bb.2:                                ;   in Loop: Header=BB52_1 Depth=1
	ds_read2_b64 v[41:44], v56 offset1:1
	ds_read2_b64 v[29:32], v56 offset0:2 offset1:3
	ds_read2_b64 v[33:36], v56 offset0:4 offset1:5
	v_cmp_ne_u32_e64 s[2:3], 0, v58
	s_waitcnt lgkmcnt(1)
	v_add_f64 v[37:38], v[41:42], v[29:30]
	v_add_f64 v[39:40], v[43:44], v[31:32]
	s_waitcnt lgkmcnt(0)
	v_add_f64 v[47:48], v[37:38], v[33:34]
	v_add_f64 v[49:50], v[39:40], v[35:36]
	ds_read2_b64 v[37:40], v56 offset0:6 offset1:7
	s_waitcnt lgkmcnt(0)
	v_add_f64 v[47:48], v[47:48], v[37:38]
	v_add_f64 v[49:50], v[49:50], v[39:40]
	s_nop 0
	v_mov_b32_dpp v51, v47 row_shr:1 row_mask:0xf bank_mask:0xf
	v_mov_b32_dpp v52, v48 row_shr:1 row_mask:0xf bank_mask:0xf
	;; [unrolled: 1-line block ×4, first 2 shown]
	s_and_saveexec_b64 s[8:9], s[2:3]
	s_cbranch_execz .LBB52_4
; %bb.3:                                ;   in Loop: Header=BB52_1 Depth=1
	v_add_f64 v[49:50], v[49:50], v[53:54]
	v_add_f64 v[47:48], v[47:48], v[51:52]
.LBB52_4:                               ;   in Loop: Header=BB52_1 Depth=1
	s_or_b64 exec, exec, s[8:9]
	s_nop 0
	v_mov_b32_dpp v51, v47 row_shr:2 row_mask:0xf bank_mask:0xf
	v_mov_b32_dpp v52, v48 row_shr:2 row_mask:0xf bank_mask:0xf
	v_mov_b32_dpp v53, v49 row_shr:2 row_mask:0xf bank_mask:0xf
	v_mov_b32_dpp v54, v50 row_shr:2 row_mask:0xf bank_mask:0xf
	v_cmp_lt_u32_e64 s[2:3], 1, v58
	s_and_saveexec_b64 s[8:9], s[2:3]
	s_cbranch_execz .LBB52_6
; %bb.5:                                ;   in Loop: Header=BB52_1 Depth=1
	v_add_f64 v[49:50], v[49:50], v[53:54]
	v_add_f64 v[47:48], v[47:48], v[51:52]
.LBB52_6:                               ;   in Loop: Header=BB52_1 Depth=1
	s_or_b64 exec, exec, s[8:9]
	s_nop 0
	v_mov_b32_dpp v51, v47 row_shr:4 row_mask:0xf bank_mask:0xf
	v_mov_b32_dpp v52, v48 row_shr:4 row_mask:0xf bank_mask:0xf
	v_mov_b32_dpp v53, v49 row_shr:4 row_mask:0xf bank_mask:0xf
	v_mov_b32_dpp v54, v50 row_shr:4 row_mask:0xf bank_mask:0xf
	v_cmp_lt_u32_e64 s[2:3], 3, v58
	;; [unrolled: 13-line block ×3, first 2 shown]
	s_and_saveexec_b64 s[8:9], s[2:3]
	s_cbranch_execz .LBB52_10
; %bb.9:                                ;   in Loop: Header=BB52_1 Depth=1
	v_add_f64 v[49:50], v[49:50], v[53:54]
	v_add_f64 v[47:48], v[47:48], v[51:52]
.LBB52_10:                              ;   in Loop: Header=BB52_1 Depth=1
	s_or_b64 exec, exec, s[8:9]
	v_and_b32_e32 v59, 16, v57
	v_mov_b32_dpp v51, v47 row_bcast:15 row_mask:0xf bank_mask:0xf
	v_mov_b32_dpp v52, v48 row_bcast:15 row_mask:0xf bank_mask:0xf
	;; [unrolled: 1-line block ×4, first 2 shown]
	v_cmp_ne_u32_e64 s[2:3], 0, v59
	s_and_saveexec_b64 s[8:9], s[2:3]
	s_cbranch_execz .LBB52_12
; %bb.11:                               ;   in Loop: Header=BB52_1 Depth=1
	v_add_f64 v[49:50], v[49:50], v[53:54]
	v_add_f64 v[47:48], v[47:48], v[51:52]
.LBB52_12:                              ;   in Loop: Header=BB52_1 Depth=1
	s_or_b64 exec, exec, s[8:9]
	s_nop 0
	v_mov_b32_dpp v51, v47 row_bcast:31 row_mask:0xf bank_mask:0xf
	v_mov_b32_dpp v52, v48 row_bcast:31 row_mask:0xf bank_mask:0xf
	;; [unrolled: 1-line block ×4, first 2 shown]
	v_cmp_lt_u32_e64 s[2:3], 31, v57
	s_and_saveexec_b64 s[8:9], s[2:3]
	s_cbranch_execz .LBB52_14
; %bb.13:                               ;   in Loop: Header=BB52_1 Depth=1
	v_add_f64 v[49:50], v[49:50], v[53:54]
	v_add_f64 v[47:48], v[47:48], v[51:52]
.LBB52_14:                              ;   in Loop: Header=BB52_1 Depth=1
	s_or_b64 exec, exec, s[8:9]
	v_add_u32_e32 v51, -1, v57
	v_and_b32_e32 v52, 64, v57
	v_cmp_lt_i32_e64 s[2:3], v51, v52
	v_cndmask_b32_e64 v51, v51, v57, s[2:3]
	v_lshlrev_b32_e32 v51, 2, v51
	ds_bpermute_b32 v49, v51, v49
	ds_bpermute_b32 v50, v51, v50
	;; [unrolled: 1-line block ×4, first 2 shown]
	s_waitcnt lgkmcnt(2)
	v_add_f64 v[43:44], v[43:44], v[49:50]
	s_waitcnt lgkmcnt(0)
	v_add_f64 v[41:42], v[41:42], v[47:48]
	v_cndmask_b32_e64 v44, v44, v28, s[0:1]
	v_cndmask_b32_e64 v43, v43, v27, s[0:1]
	;; [unrolled: 1-line block ×4, first 2 shown]
	v_add_f64 v[29:30], v[29:30], v[41:42]
	v_add_f64 v[31:32], v[31:32], v[43:44]
	;; [unrolled: 1-line block ×6, first 2 shown]
	ds_write2_b64 v56, v[41:42], v[43:44] offset1:1
	ds_write2_b64 v56, v[29:30], v[31:32] offset0:2 offset1:3
	ds_write2_b64 v56, v[33:34], v[35:36] offset0:4 offset1:5
	;; [unrolled: 1-line block ×3, first 2 shown]
.LBB52_15:                              ;   in Loop: Header=BB52_1 Depth=1
	s_or_b64 exec, exec, s[6:7]
	s_waitcnt lgkmcnt(0)
	s_barrier
	s_and_saveexec_b64 s[2:3], s[4:5]
	s_cbranch_execz .LBB52_17
; %bb.16:                               ;   in Loop: Header=BB52_1 Depth=1
	ds_read2_b64 v[17:20], v0 offset1:1
	s_waitcnt lgkmcnt(0)
	v_add_f64 v[1:2], v[1:2], v[17:18]
	v_add_f64 v[3:4], v[3:4], v[19:20]
	;; [unrolled: 1-line block ×8, first 2 shown]
.LBB52_17:                              ;   in Loop: Header=BB52_1 Depth=1
	s_or_b64 exec, exec, s[2:3]
	s_add_i32 s12, s12, -1
	s_cmp_lg_u32 s12, 0
	s_cbranch_scc0 .LBB52_19
; %bb.18:                               ;   in Loop: Header=BB52_1 Depth=1
	v_mov_b32_e32 v7, v27
	v_mov_b32_e32 v5, v25
	;; [unrolled: 1-line block ×12, first 2 shown]
	s_branch .LBB52_1
.LBB52_19:
	v_mov_b32_e32 v0, s11
	v_add_co_u32_e32 v5, vcc, s10, v45
	v_addc_co_u32_e32 v6, vcc, v0, v46, vcc
	global_store_dwordx4 v[5:6], v[1:4], off
	global_store_dwordx4 v[5:6], v[17:20], off offset:16
	global_store_dwordx4 v[5:6], v[21:24], off offset:32
	;; [unrolled: 1-line block ×3, first 2 shown]
	s_endpgm
	.section	.rodata,"a",@progbits
	.p2align	6, 0x0
	.amdhsa_kernel _Z6kernelI14inclusive_scanILN6hipcub18BlockScanAlgorithmE1EEN15benchmark_utils11custom_typeIddEELj256ELj4ELj100EEvPKT0_PS7_S7_
		.amdhsa_group_segment_fixed_size 4224
		.amdhsa_private_segment_fixed_size 0
		.amdhsa_kernarg_size 288
		.amdhsa_user_sgpr_count 6
		.amdhsa_user_sgpr_private_segment_buffer 1
		.amdhsa_user_sgpr_dispatch_ptr 0
		.amdhsa_user_sgpr_queue_ptr 0
		.amdhsa_user_sgpr_kernarg_segment_ptr 1
		.amdhsa_user_sgpr_dispatch_id 0
		.amdhsa_user_sgpr_flat_scratch_init 0
		.amdhsa_user_sgpr_private_segment_size 0
		.amdhsa_uses_dynamic_stack 0
		.amdhsa_system_sgpr_private_segment_wavefront_offset 0
		.amdhsa_system_sgpr_workgroup_id_x 1
		.amdhsa_system_sgpr_workgroup_id_y 0
		.amdhsa_system_sgpr_workgroup_id_z 0
		.amdhsa_system_sgpr_workgroup_info 0
		.amdhsa_system_vgpr_workitem_id 0
		.amdhsa_next_free_vgpr 60
		.amdhsa_next_free_sgpr 13
		.amdhsa_reserve_vcc 1
		.amdhsa_reserve_flat_scratch 0
		.amdhsa_float_round_mode_32 0
		.amdhsa_float_round_mode_16_64 0
		.amdhsa_float_denorm_mode_32 3
		.amdhsa_float_denorm_mode_16_64 3
		.amdhsa_dx10_clamp 1
		.amdhsa_ieee_mode 1
		.amdhsa_fp16_overflow 0
		.amdhsa_exception_fp_ieee_invalid_op 0
		.amdhsa_exception_fp_denorm_src 0
		.amdhsa_exception_fp_ieee_div_zero 0
		.amdhsa_exception_fp_ieee_overflow 0
		.amdhsa_exception_fp_ieee_underflow 0
		.amdhsa_exception_fp_ieee_inexact 0
		.amdhsa_exception_int_div_zero 0
	.end_amdhsa_kernel
	.section	.text._Z6kernelI14inclusive_scanILN6hipcub18BlockScanAlgorithmE1EEN15benchmark_utils11custom_typeIddEELj256ELj4ELj100EEvPKT0_PS7_S7_,"axG",@progbits,_Z6kernelI14inclusive_scanILN6hipcub18BlockScanAlgorithmE1EEN15benchmark_utils11custom_typeIddEELj256ELj4ELj100EEvPKT0_PS7_S7_,comdat
.Lfunc_end52:
	.size	_Z6kernelI14inclusive_scanILN6hipcub18BlockScanAlgorithmE1EEN15benchmark_utils11custom_typeIddEELj256ELj4ELj100EEvPKT0_PS7_S7_, .Lfunc_end52-_Z6kernelI14inclusive_scanILN6hipcub18BlockScanAlgorithmE1EEN15benchmark_utils11custom_typeIddEELj256ELj4ELj100EEvPKT0_PS7_S7_
                                        ; -- End function
	.set _Z6kernelI14inclusive_scanILN6hipcub18BlockScanAlgorithmE1EEN15benchmark_utils11custom_typeIddEELj256ELj4ELj100EEvPKT0_PS7_S7_.num_vgpr, 60
	.set _Z6kernelI14inclusive_scanILN6hipcub18BlockScanAlgorithmE1EEN15benchmark_utils11custom_typeIddEELj256ELj4ELj100EEvPKT0_PS7_S7_.num_agpr, 0
	.set _Z6kernelI14inclusive_scanILN6hipcub18BlockScanAlgorithmE1EEN15benchmark_utils11custom_typeIddEELj256ELj4ELj100EEvPKT0_PS7_S7_.numbered_sgpr, 13
	.set _Z6kernelI14inclusive_scanILN6hipcub18BlockScanAlgorithmE1EEN15benchmark_utils11custom_typeIddEELj256ELj4ELj100EEvPKT0_PS7_S7_.num_named_barrier, 0
	.set _Z6kernelI14inclusive_scanILN6hipcub18BlockScanAlgorithmE1EEN15benchmark_utils11custom_typeIddEELj256ELj4ELj100EEvPKT0_PS7_S7_.private_seg_size, 0
	.set _Z6kernelI14inclusive_scanILN6hipcub18BlockScanAlgorithmE1EEN15benchmark_utils11custom_typeIddEELj256ELj4ELj100EEvPKT0_PS7_S7_.uses_vcc, 1
	.set _Z6kernelI14inclusive_scanILN6hipcub18BlockScanAlgorithmE1EEN15benchmark_utils11custom_typeIddEELj256ELj4ELj100EEvPKT0_PS7_S7_.uses_flat_scratch, 0
	.set _Z6kernelI14inclusive_scanILN6hipcub18BlockScanAlgorithmE1EEN15benchmark_utils11custom_typeIddEELj256ELj4ELj100EEvPKT0_PS7_S7_.has_dyn_sized_stack, 0
	.set _Z6kernelI14inclusive_scanILN6hipcub18BlockScanAlgorithmE1EEN15benchmark_utils11custom_typeIddEELj256ELj4ELj100EEvPKT0_PS7_S7_.has_recursion, 0
	.set _Z6kernelI14inclusive_scanILN6hipcub18BlockScanAlgorithmE1EEN15benchmark_utils11custom_typeIddEELj256ELj4ELj100EEvPKT0_PS7_S7_.has_indirect_call, 0
	.section	.AMDGPU.csdata,"",@progbits
; Kernel info:
; codeLenInByte = 1204
; TotalNumSgprs: 17
; NumVgprs: 60
; ScratchSize: 0
; MemoryBound: 0
; FloatMode: 240
; IeeeMode: 1
; LDSByteSize: 4224 bytes/workgroup (compile time only)
; SGPRBlocks: 2
; VGPRBlocks: 14
; NumSGPRsForWavesPerEU: 17
; NumVGPRsForWavesPerEU: 60
; Occupancy: 4
; WaveLimiterHint : 0
; COMPUTE_PGM_RSRC2:SCRATCH_EN: 0
; COMPUTE_PGM_RSRC2:USER_SGPR: 6
; COMPUTE_PGM_RSRC2:TRAP_HANDLER: 0
; COMPUTE_PGM_RSRC2:TGID_X_EN: 1
; COMPUTE_PGM_RSRC2:TGID_Y_EN: 0
; COMPUTE_PGM_RSRC2:TGID_Z_EN: 0
; COMPUTE_PGM_RSRC2:TIDIG_COMP_CNT: 0
	.section	.text._Z6kernelI14inclusive_scanILN6hipcub18BlockScanAlgorithmE1EEN15benchmark_utils11custom_typeIddEELj256ELj8ELj100EEvPKT0_PS7_S7_,"axG",@progbits,_Z6kernelI14inclusive_scanILN6hipcub18BlockScanAlgorithmE1EEN15benchmark_utils11custom_typeIddEELj256ELj8ELj100EEvPKT0_PS7_S7_,comdat
	.protected	_Z6kernelI14inclusive_scanILN6hipcub18BlockScanAlgorithmE1EEN15benchmark_utils11custom_typeIddEELj256ELj8ELj100EEvPKT0_PS7_S7_ ; -- Begin function _Z6kernelI14inclusive_scanILN6hipcub18BlockScanAlgorithmE1EEN15benchmark_utils11custom_typeIddEELj256ELj8ELj100EEvPKT0_PS7_S7_
	.globl	_Z6kernelI14inclusive_scanILN6hipcub18BlockScanAlgorithmE1EEN15benchmark_utils11custom_typeIddEELj256ELj8ELj100EEvPKT0_PS7_S7_
	.p2align	8
	.type	_Z6kernelI14inclusive_scanILN6hipcub18BlockScanAlgorithmE1EEN15benchmark_utils11custom_typeIddEELj256ELj8ELj100EEvPKT0_PS7_S7_,@function
_Z6kernelI14inclusive_scanILN6hipcub18BlockScanAlgorithmE1EEN15benchmark_utils11custom_typeIddEELj256ELj8ELj100EEvPKT0_PS7_S7_: ; @_Z6kernelI14inclusive_scanILN6hipcub18BlockScanAlgorithmE1EEN15benchmark_utils11custom_typeIddEELj256ELj8ELj100EEvPKT0_PS7_S7_
; %bb.0:
	s_load_dword s0, s[4:5], 0x2c
	s_load_dwordx4 s[8:11], s[4:5], 0x0
	v_mov_b32_e32 v2, 0
	v_lshlrev_b32_e32 v27, 6, v0
	s_movk_i32 s12, 0x64
	s_waitcnt lgkmcnt(0)
	s_and_b32 s0, s0, 0xffff
	s_mul_i32 s6, s6, s0
	v_add_lshl_u32 v1, s6, v0, 3
	v_lshlrev_b64 v[77:78], 4, v[1:2]
	v_mov_b32_e32 v1, s9
	v_add_co_u32_e32 v25, vcc, s8, v77
	v_addc_co_u32_e32 v26, vcc, v1, v78, vcc
	global_load_dwordx4 v[1:4], v[25:26], off offset:48
	global_load_dwordx4 v[5:8], v[25:26], off offset:32
	;; [unrolled: 1-line block ×3, first 2 shown]
	global_load_dwordx4 v[9:12], v[25:26], off
	global_load_dwordx4 v[13:16], v[25:26], off offset:112
	global_load_dwordx4 v[17:20], v[25:26], off offset:96
	;; [unrolled: 1-line block ×4, first 2 shown]
	v_lshrrev_b32_e32 v25, 1, v0
	v_and_b32_e32 v25, 0x70, v25
	v_lshl_add_u32 v87, v0, 4, v25
	v_subrev_co_u32_e64 v25, s[0:1], 1, v0
	v_cmp_gt_u32_e32 vcc, 64, v0
	v_lshlrev_b32_e32 v26, 1, v0
	v_lshrrev_b32_e32 v0, 1, v25
	v_and_b32_e32 v0, 0x7ffffff0, v0
	v_and_b32_e32 v26, 0x1f0, v26
	v_lshl_add_u32 v0, v25, 4, v0
	v_mbcnt_lo_u32_b32 v25, -1, 0
	s_xor_b64 s[4:5], s[0:1], -1
	v_add_u32_e32 v88, v26, v27
	v_mbcnt_hi_u32_b32 v89, -1, v25
.LBB53_1:                               ; =>This Inner Loop Header: Depth=1
	s_waitcnt vmcnt(4)
	v_add_f64 v[25:26], v[57:58], v[9:10]
	v_add_f64 v[27:28], v[59:60], v[11:12]
	;; [unrolled: 1-line block ×6, first 2 shown]
	s_waitcnt vmcnt(0)
	v_add_f64 v[37:38], v[41:42], v[33:34]
	v_add_f64 v[39:40], v[43:44], v[35:36]
	;; [unrolled: 1-line block ×8, first 2 shown]
	ds_write2_b64 v87, v[53:54], v[55:56] offset1:1
	s_waitcnt lgkmcnt(0)
	s_barrier
	s_and_saveexec_b64 s[6:7], vcc
	s_cbranch_execz .LBB53_15
; %bb.2:                                ;   in Loop: Header=BB53_1 Depth=1
	ds_read2_b64 v[73:76], v88 offset1:1
	ds_read2_b64 v[61:64], v88 offset0:2 offset1:3
	ds_read2_b64 v[65:68], v88 offset0:4 offset1:5
	v_and_b32_e32 v90, 15, v89
	v_cmp_ne_u32_e64 s[2:3], 0, v90
	s_waitcnt lgkmcnt(1)
	v_add_f64 v[69:70], v[73:74], v[61:62]
	v_add_f64 v[71:72], v[75:76], v[63:64]
	s_waitcnt lgkmcnt(0)
	v_add_f64 v[79:80], v[69:70], v[65:66]
	v_add_f64 v[81:82], v[71:72], v[67:68]
	ds_read2_b64 v[69:72], v88 offset0:6 offset1:7
	s_waitcnt lgkmcnt(0)
	v_add_f64 v[79:80], v[79:80], v[69:70]
	v_add_f64 v[81:82], v[81:82], v[71:72]
	s_nop 0
	v_mov_b32_dpp v83, v79 row_shr:1 row_mask:0xf bank_mask:0xf
	v_mov_b32_dpp v84, v80 row_shr:1 row_mask:0xf bank_mask:0xf
	;; [unrolled: 1-line block ×4, first 2 shown]
	s_and_saveexec_b64 s[8:9], s[2:3]
	s_cbranch_execz .LBB53_4
; %bb.3:                                ;   in Loop: Header=BB53_1 Depth=1
	v_add_f64 v[81:82], v[81:82], v[85:86]
	v_add_f64 v[79:80], v[79:80], v[83:84]
.LBB53_4:                               ;   in Loop: Header=BB53_1 Depth=1
	s_or_b64 exec, exec, s[8:9]
	s_nop 0
	v_mov_b32_dpp v83, v79 row_shr:2 row_mask:0xf bank_mask:0xf
	v_mov_b32_dpp v84, v80 row_shr:2 row_mask:0xf bank_mask:0xf
	v_mov_b32_dpp v85, v81 row_shr:2 row_mask:0xf bank_mask:0xf
	v_mov_b32_dpp v86, v82 row_shr:2 row_mask:0xf bank_mask:0xf
	v_cmp_lt_u32_e64 s[2:3], 1, v90
	s_and_saveexec_b64 s[8:9], s[2:3]
	s_cbranch_execz .LBB53_6
; %bb.5:                                ;   in Loop: Header=BB53_1 Depth=1
	v_add_f64 v[81:82], v[81:82], v[85:86]
	v_add_f64 v[79:80], v[79:80], v[83:84]
.LBB53_6:                               ;   in Loop: Header=BB53_1 Depth=1
	s_or_b64 exec, exec, s[8:9]
	s_nop 0
	v_mov_b32_dpp v83, v79 row_shr:4 row_mask:0xf bank_mask:0xf
	v_mov_b32_dpp v84, v80 row_shr:4 row_mask:0xf bank_mask:0xf
	v_mov_b32_dpp v85, v81 row_shr:4 row_mask:0xf bank_mask:0xf
	v_mov_b32_dpp v86, v82 row_shr:4 row_mask:0xf bank_mask:0xf
	v_cmp_lt_u32_e64 s[2:3], 3, v90
	;; [unrolled: 13-line block ×3, first 2 shown]
	s_and_saveexec_b64 s[8:9], s[2:3]
	s_cbranch_execz .LBB53_10
; %bb.9:                                ;   in Loop: Header=BB53_1 Depth=1
	v_add_f64 v[81:82], v[81:82], v[85:86]
	v_add_f64 v[79:80], v[79:80], v[83:84]
.LBB53_10:                              ;   in Loop: Header=BB53_1 Depth=1
	s_or_b64 exec, exec, s[8:9]
	v_and_b32_e32 v90, 16, v89
	v_mov_b32_dpp v83, v79 row_bcast:15 row_mask:0xf bank_mask:0xf
	v_mov_b32_dpp v84, v80 row_bcast:15 row_mask:0xf bank_mask:0xf
	v_mov_b32_dpp v85, v81 row_bcast:15 row_mask:0xf bank_mask:0xf
	v_mov_b32_dpp v86, v82 row_bcast:15 row_mask:0xf bank_mask:0xf
	v_cmp_ne_u32_e64 s[2:3], 0, v90
	s_and_saveexec_b64 s[8:9], s[2:3]
	s_cbranch_execz .LBB53_12
; %bb.11:                               ;   in Loop: Header=BB53_1 Depth=1
	v_add_f64 v[81:82], v[81:82], v[85:86]
	v_add_f64 v[79:80], v[79:80], v[83:84]
.LBB53_12:                              ;   in Loop: Header=BB53_1 Depth=1
	s_or_b64 exec, exec, s[8:9]
	s_nop 0
	v_mov_b32_dpp v83, v79 row_bcast:31 row_mask:0xf bank_mask:0xf
	v_mov_b32_dpp v84, v80 row_bcast:31 row_mask:0xf bank_mask:0xf
	v_mov_b32_dpp v85, v81 row_bcast:31 row_mask:0xf bank_mask:0xf
	v_mov_b32_dpp v86, v82 row_bcast:31 row_mask:0xf bank_mask:0xf
	v_cmp_lt_u32_e64 s[2:3], 31, v89
	s_and_saveexec_b64 s[8:9], s[2:3]
	s_cbranch_execz .LBB53_14
; %bb.13:                               ;   in Loop: Header=BB53_1 Depth=1
	v_add_f64 v[81:82], v[81:82], v[85:86]
	v_add_f64 v[79:80], v[79:80], v[83:84]
.LBB53_14:                              ;   in Loop: Header=BB53_1 Depth=1
	s_or_b64 exec, exec, s[8:9]
	v_add_u32_e32 v83, -1, v89
	v_and_b32_e32 v84, 64, v89
	v_cmp_lt_i32_e64 s[2:3], v83, v84
	v_cndmask_b32_e64 v83, v83, v89, s[2:3]
	v_lshlrev_b32_e32 v83, 2, v83
	ds_bpermute_b32 v81, v83, v81
	ds_bpermute_b32 v82, v83, v82
	;; [unrolled: 1-line block ×4, first 2 shown]
	s_waitcnt lgkmcnt(2)
	v_add_f64 v[75:76], v[75:76], v[81:82]
	s_waitcnt lgkmcnt(0)
	v_add_f64 v[73:74], v[73:74], v[79:80]
	v_cndmask_b32_e64 v76, v76, v56, s[0:1]
	v_cndmask_b32_e64 v75, v75, v55, s[0:1]
	;; [unrolled: 1-line block ×4, first 2 shown]
	v_add_f64 v[61:62], v[61:62], v[73:74]
	v_add_f64 v[63:64], v[63:64], v[75:76]
	;; [unrolled: 1-line block ×6, first 2 shown]
	ds_write2_b64 v88, v[73:74], v[75:76] offset1:1
	ds_write2_b64 v88, v[61:62], v[63:64] offset0:2 offset1:3
	ds_write2_b64 v88, v[65:66], v[67:68] offset0:4 offset1:5
	;; [unrolled: 1-line block ×3, first 2 shown]
.LBB53_15:                              ;   in Loop: Header=BB53_1 Depth=1
	s_or_b64 exec, exec, s[6:7]
	s_waitcnt lgkmcnt(0)
	s_barrier
	s_and_saveexec_b64 s[2:3], s[4:5]
	s_cbranch_execz .LBB53_17
; %bb.16:                               ;   in Loop: Header=BB53_1 Depth=1
	ds_read2_b64 v[25:28], v0 offset1:1
	s_waitcnt lgkmcnt(0)
	v_add_f64 v[9:10], v[9:10], v[25:26]
	v_add_f64 v[11:12], v[11:12], v[27:28]
	v_add_f64 v[25:26], v[57:58], v[9:10]
	v_add_f64 v[27:28], v[59:60], v[11:12]
	v_add_f64 v[29:30], v[5:6], v[25:26]
	v_add_f64 v[31:32], v[7:8], v[27:28]
	v_add_f64 v[33:34], v[1:2], v[29:30]
	v_add_f64 v[35:36], v[3:4], v[31:32]
	v_add_f64 v[37:38], v[41:42], v[33:34]
	v_add_f64 v[39:40], v[43:44], v[35:36]
	v_add_f64 v[45:46], v[21:22], v[37:38]
	v_add_f64 v[47:48], v[23:24], v[39:40]
	v_add_f64 v[49:50], v[17:18], v[45:46]
	v_add_f64 v[51:52], v[19:20], v[47:48]
	v_add_f64 v[53:54], v[13:14], v[49:50]
	v_add_f64 v[55:56], v[15:16], v[51:52]
.LBB53_17:                              ;   in Loop: Header=BB53_1 Depth=1
	s_or_b64 exec, exec, s[2:3]
	s_add_i32 s12, s12, -1
	s_cmp_lg_u32 s12, 0
	s_cbranch_scc0 .LBB53_19
; %bb.18:                               ;   in Loop: Header=BB53_1 Depth=1
	v_mov_b32_e32 v15, v55
	v_mov_b32_e32 v13, v53
	;; [unrolled: 1-line block ×28, first 2 shown]
	s_branch .LBB53_1
.LBB53_19:
	v_mov_b32_e32 v1, s11
	v_add_co_u32_e32 v0, vcc, s10, v77
	v_addc_co_u32_e32 v1, vcc, v1, v78, vcc
	global_store_dwordx4 v[0:1], v[9:12], off
	global_store_dwordx4 v[0:1], v[25:28], off offset:16
	global_store_dwordx4 v[0:1], v[29:32], off offset:32
	;; [unrolled: 1-line block ×7, first 2 shown]
	s_endpgm
	.section	.rodata,"a",@progbits
	.p2align	6, 0x0
	.amdhsa_kernel _Z6kernelI14inclusive_scanILN6hipcub18BlockScanAlgorithmE1EEN15benchmark_utils11custom_typeIddEELj256ELj8ELj100EEvPKT0_PS7_S7_
		.amdhsa_group_segment_fixed_size 4224
		.amdhsa_private_segment_fixed_size 0
		.amdhsa_kernarg_size 288
		.amdhsa_user_sgpr_count 6
		.amdhsa_user_sgpr_private_segment_buffer 1
		.amdhsa_user_sgpr_dispatch_ptr 0
		.amdhsa_user_sgpr_queue_ptr 0
		.amdhsa_user_sgpr_kernarg_segment_ptr 1
		.amdhsa_user_sgpr_dispatch_id 0
		.amdhsa_user_sgpr_flat_scratch_init 0
		.amdhsa_user_sgpr_private_segment_size 0
		.amdhsa_uses_dynamic_stack 0
		.amdhsa_system_sgpr_private_segment_wavefront_offset 0
		.amdhsa_system_sgpr_workgroup_id_x 1
		.amdhsa_system_sgpr_workgroup_id_y 0
		.amdhsa_system_sgpr_workgroup_id_z 0
		.amdhsa_system_sgpr_workgroup_info 0
		.amdhsa_system_vgpr_workitem_id 0
		.amdhsa_next_free_vgpr 91
		.amdhsa_next_free_sgpr 13
		.amdhsa_reserve_vcc 1
		.amdhsa_reserve_flat_scratch 0
		.amdhsa_float_round_mode_32 0
		.amdhsa_float_round_mode_16_64 0
		.amdhsa_float_denorm_mode_32 3
		.amdhsa_float_denorm_mode_16_64 3
		.amdhsa_dx10_clamp 1
		.amdhsa_ieee_mode 1
		.amdhsa_fp16_overflow 0
		.amdhsa_exception_fp_ieee_invalid_op 0
		.amdhsa_exception_fp_denorm_src 0
		.amdhsa_exception_fp_ieee_div_zero 0
		.amdhsa_exception_fp_ieee_overflow 0
		.amdhsa_exception_fp_ieee_underflow 0
		.amdhsa_exception_fp_ieee_inexact 0
		.amdhsa_exception_int_div_zero 0
	.end_amdhsa_kernel
	.section	.text._Z6kernelI14inclusive_scanILN6hipcub18BlockScanAlgorithmE1EEN15benchmark_utils11custom_typeIddEELj256ELj8ELj100EEvPKT0_PS7_S7_,"axG",@progbits,_Z6kernelI14inclusive_scanILN6hipcub18BlockScanAlgorithmE1EEN15benchmark_utils11custom_typeIddEELj256ELj8ELj100EEvPKT0_PS7_S7_,comdat
.Lfunc_end53:
	.size	_Z6kernelI14inclusive_scanILN6hipcub18BlockScanAlgorithmE1EEN15benchmark_utils11custom_typeIddEELj256ELj8ELj100EEvPKT0_PS7_S7_, .Lfunc_end53-_Z6kernelI14inclusive_scanILN6hipcub18BlockScanAlgorithmE1EEN15benchmark_utils11custom_typeIddEELj256ELj8ELj100EEvPKT0_PS7_S7_
                                        ; -- End function
	.set _Z6kernelI14inclusive_scanILN6hipcub18BlockScanAlgorithmE1EEN15benchmark_utils11custom_typeIddEELj256ELj8ELj100EEvPKT0_PS7_S7_.num_vgpr, 91
	.set _Z6kernelI14inclusive_scanILN6hipcub18BlockScanAlgorithmE1EEN15benchmark_utils11custom_typeIddEELj256ELj8ELj100EEvPKT0_PS7_S7_.num_agpr, 0
	.set _Z6kernelI14inclusive_scanILN6hipcub18BlockScanAlgorithmE1EEN15benchmark_utils11custom_typeIddEELj256ELj8ELj100EEvPKT0_PS7_S7_.numbered_sgpr, 13
	.set _Z6kernelI14inclusive_scanILN6hipcub18BlockScanAlgorithmE1EEN15benchmark_utils11custom_typeIddEELj256ELj8ELj100EEvPKT0_PS7_S7_.num_named_barrier, 0
	.set _Z6kernelI14inclusive_scanILN6hipcub18BlockScanAlgorithmE1EEN15benchmark_utils11custom_typeIddEELj256ELj8ELj100EEvPKT0_PS7_S7_.private_seg_size, 0
	.set _Z6kernelI14inclusive_scanILN6hipcub18BlockScanAlgorithmE1EEN15benchmark_utils11custom_typeIddEELj256ELj8ELj100EEvPKT0_PS7_S7_.uses_vcc, 1
	.set _Z6kernelI14inclusive_scanILN6hipcub18BlockScanAlgorithmE1EEN15benchmark_utils11custom_typeIddEELj256ELj8ELj100EEvPKT0_PS7_S7_.uses_flat_scratch, 0
	.set _Z6kernelI14inclusive_scanILN6hipcub18BlockScanAlgorithmE1EEN15benchmark_utils11custom_typeIddEELj256ELj8ELj100EEvPKT0_PS7_S7_.has_dyn_sized_stack, 0
	.set _Z6kernelI14inclusive_scanILN6hipcub18BlockScanAlgorithmE1EEN15benchmark_utils11custom_typeIddEELj256ELj8ELj100EEvPKT0_PS7_S7_.has_recursion, 0
	.set _Z6kernelI14inclusive_scanILN6hipcub18BlockScanAlgorithmE1EEN15benchmark_utils11custom_typeIddEELj256ELj8ELj100EEvPKT0_PS7_S7_.has_indirect_call, 0
	.section	.AMDGPU.csdata,"",@progbits
; Kernel info:
; codeLenInByte = 1464
; TotalNumSgprs: 17
; NumVgprs: 91
; ScratchSize: 0
; MemoryBound: 1
; FloatMode: 240
; IeeeMode: 1
; LDSByteSize: 4224 bytes/workgroup (compile time only)
; SGPRBlocks: 2
; VGPRBlocks: 22
; NumSGPRsForWavesPerEU: 17
; NumVGPRsForWavesPerEU: 91
; Occupancy: 2
; WaveLimiterHint : 0
; COMPUTE_PGM_RSRC2:SCRATCH_EN: 0
; COMPUTE_PGM_RSRC2:USER_SGPR: 6
; COMPUTE_PGM_RSRC2:TRAP_HANDLER: 0
; COMPUTE_PGM_RSRC2:TGID_X_EN: 1
; COMPUTE_PGM_RSRC2:TGID_Y_EN: 0
; COMPUTE_PGM_RSRC2:TGID_Z_EN: 0
; COMPUTE_PGM_RSRC2:TIDIG_COMP_CNT: 0
	.section	.text._Z6kernelI14inclusive_scanILN6hipcub18BlockScanAlgorithmE0EEiLj64ELj1ELj100EEvPKT0_PS4_S4_,"axG",@progbits,_Z6kernelI14inclusive_scanILN6hipcub18BlockScanAlgorithmE0EEiLj64ELj1ELj100EEvPKT0_PS4_S4_,comdat
	.protected	_Z6kernelI14inclusive_scanILN6hipcub18BlockScanAlgorithmE0EEiLj64ELj1ELj100EEvPKT0_PS4_S4_ ; -- Begin function _Z6kernelI14inclusive_scanILN6hipcub18BlockScanAlgorithmE0EEiLj64ELj1ELj100EEvPKT0_PS4_S4_
	.globl	_Z6kernelI14inclusive_scanILN6hipcub18BlockScanAlgorithmE0EEiLj64ELj1ELj100EEvPKT0_PS4_S4_
	.p2align	8
	.type	_Z6kernelI14inclusive_scanILN6hipcub18BlockScanAlgorithmE0EEiLj64ELj1ELj100EEvPKT0_PS4_S4_,@function
_Z6kernelI14inclusive_scanILN6hipcub18BlockScanAlgorithmE0EEiLj64ELj1ELj100EEvPKT0_PS4_S4_: ; @_Z6kernelI14inclusive_scanILN6hipcub18BlockScanAlgorithmE0EEiLj64ELj1ELj100EEvPKT0_PS4_S4_
; %bb.0:
	s_load_dword s0, s[4:5], 0x24
	s_load_dwordx4 s[12:15], s[4:5], 0x0
	v_mov_b32_e32 v2, 0
	v_cmp_eq_u32_e64 s[10:11], 63, v0
	s_movk_i32 s16, 0x64
	s_waitcnt lgkmcnt(0)
	s_and_b32 s0, s0, 0xffff
	s_mul_i32 s6, s6, s0
	v_add_u32_e32 v1, s6, v0
	v_lshlrev_b64 v[3:4], 2, v[1:2]
	v_mov_b32_e32 v1, s13
	v_add_co_u32_e32 v5, vcc, s12, v3
	v_addc_co_u32_e32 v6, vcc, v1, v4, vcc
	global_load_dword v1, v[5:6], off
	v_mbcnt_lo_u32_b32 v5, -1, 0
	v_mbcnt_hi_u32_b32 v5, -1, v5
	v_and_b32_e32 v6, 15, v5
	v_cmp_eq_u32_e32 vcc, 0, v6
	v_cmp_lt_u32_e64 s[0:1], 1, v6
	v_cmp_lt_u32_e64 s[2:3], 3, v6
	;; [unrolled: 1-line block ×3, first 2 shown]
	v_and_b32_e32 v6, 16, v5
	v_cmp_eq_u32_e64 s[6:7], 0, v6
	v_cmp_lt_u32_e64 s[8:9], 31, v5
	s_branch .LBB54_2
.LBB54_1:                               ;   in Loop: Header=BB54_2 Depth=1
	s_or_b64 exec, exec, s[12:13]
	s_add_i32 s16, s16, -1
	s_cmp_lg_u32 s16, 0
	s_waitcnt lgkmcnt(0)
	; wave barrier
	s_cbranch_scc0 .LBB54_4
.LBB54_2:                               ; =>This Inner Loop Header: Depth=1
	s_waitcnt vmcnt(0)
	v_mov_b32_dpp v0, v1 row_shr:1 row_mask:0xf bank_mask:0xf
	v_cndmask_b32_e64 v0, v0, 0, vcc
	v_add_u32_e32 v0, v0, v1
	s_nop 1
	v_mov_b32_dpp v1, v0 row_shr:2 row_mask:0xf bank_mask:0xf
	v_cndmask_b32_e64 v1, 0, v1, s[0:1]
	v_add_u32_e32 v0, v0, v1
	s_nop 1
	v_mov_b32_dpp v1, v0 row_shr:4 row_mask:0xf bank_mask:0xf
	v_cndmask_b32_e64 v1, 0, v1, s[2:3]
	;; [unrolled: 4-line block ×3, first 2 shown]
	v_add_u32_e32 v0, v0, v1
	s_nop 1
	v_mov_b32_dpp v1, v0 row_bcast:15 row_mask:0xf bank_mask:0xf
	v_cndmask_b32_e64 v1, v1, 0, s[6:7]
	v_add_u32_e32 v0, v0, v1
	s_nop 1
	v_mov_b32_dpp v1, v0 row_bcast:31 row_mask:0xf bank_mask:0xf
	v_cndmask_b32_e64 v1, 0, v1, s[8:9]
	v_add_u32_e32 v1, v0, v1
	s_and_saveexec_b64 s[12:13], s[10:11]
	s_cbranch_execz .LBB54_1
; %bb.3:                                ;   in Loop: Header=BB54_2 Depth=1
	ds_write_b32 v2, v1
	s_branch .LBB54_1
.LBB54_4:
	v_mov_b32_e32 v0, s15
	v_add_co_u32_e32 v2, vcc, s14, v3
	v_addc_co_u32_e32 v3, vcc, v0, v4, vcc
	global_store_dword v[2:3], v1, off
	s_endpgm
	.section	.rodata,"a",@progbits
	.p2align	6, 0x0
	.amdhsa_kernel _Z6kernelI14inclusive_scanILN6hipcub18BlockScanAlgorithmE0EEiLj64ELj1ELj100EEvPKT0_PS4_S4_
		.amdhsa_group_segment_fixed_size 4
		.amdhsa_private_segment_fixed_size 0
		.amdhsa_kernarg_size 280
		.amdhsa_user_sgpr_count 6
		.amdhsa_user_sgpr_private_segment_buffer 1
		.amdhsa_user_sgpr_dispatch_ptr 0
		.amdhsa_user_sgpr_queue_ptr 0
		.amdhsa_user_sgpr_kernarg_segment_ptr 1
		.amdhsa_user_sgpr_dispatch_id 0
		.amdhsa_user_sgpr_flat_scratch_init 0
		.amdhsa_user_sgpr_private_segment_size 0
		.amdhsa_uses_dynamic_stack 0
		.amdhsa_system_sgpr_private_segment_wavefront_offset 0
		.amdhsa_system_sgpr_workgroup_id_x 1
		.amdhsa_system_sgpr_workgroup_id_y 0
		.amdhsa_system_sgpr_workgroup_id_z 0
		.amdhsa_system_sgpr_workgroup_info 0
		.amdhsa_system_vgpr_workitem_id 0
		.amdhsa_next_free_vgpr 7
		.amdhsa_next_free_sgpr 17
		.amdhsa_reserve_vcc 1
		.amdhsa_reserve_flat_scratch 0
		.amdhsa_float_round_mode_32 0
		.amdhsa_float_round_mode_16_64 0
		.amdhsa_float_denorm_mode_32 3
		.amdhsa_float_denorm_mode_16_64 3
		.amdhsa_dx10_clamp 1
		.amdhsa_ieee_mode 1
		.amdhsa_fp16_overflow 0
		.amdhsa_exception_fp_ieee_invalid_op 0
		.amdhsa_exception_fp_denorm_src 0
		.amdhsa_exception_fp_ieee_div_zero 0
		.amdhsa_exception_fp_ieee_overflow 0
		.amdhsa_exception_fp_ieee_underflow 0
		.amdhsa_exception_fp_ieee_inexact 0
		.amdhsa_exception_int_div_zero 0
	.end_amdhsa_kernel
	.section	.text._Z6kernelI14inclusive_scanILN6hipcub18BlockScanAlgorithmE0EEiLj64ELj1ELj100EEvPKT0_PS4_S4_,"axG",@progbits,_Z6kernelI14inclusive_scanILN6hipcub18BlockScanAlgorithmE0EEiLj64ELj1ELj100EEvPKT0_PS4_S4_,comdat
.Lfunc_end54:
	.size	_Z6kernelI14inclusive_scanILN6hipcub18BlockScanAlgorithmE0EEiLj64ELj1ELj100EEvPKT0_PS4_S4_, .Lfunc_end54-_Z6kernelI14inclusive_scanILN6hipcub18BlockScanAlgorithmE0EEiLj64ELj1ELj100EEvPKT0_PS4_S4_
                                        ; -- End function
	.set _Z6kernelI14inclusive_scanILN6hipcub18BlockScanAlgorithmE0EEiLj64ELj1ELj100EEvPKT0_PS4_S4_.num_vgpr, 7
	.set _Z6kernelI14inclusive_scanILN6hipcub18BlockScanAlgorithmE0EEiLj64ELj1ELj100EEvPKT0_PS4_S4_.num_agpr, 0
	.set _Z6kernelI14inclusive_scanILN6hipcub18BlockScanAlgorithmE0EEiLj64ELj1ELj100EEvPKT0_PS4_S4_.numbered_sgpr, 17
	.set _Z6kernelI14inclusive_scanILN6hipcub18BlockScanAlgorithmE0EEiLj64ELj1ELj100EEvPKT0_PS4_S4_.num_named_barrier, 0
	.set _Z6kernelI14inclusive_scanILN6hipcub18BlockScanAlgorithmE0EEiLj64ELj1ELj100EEvPKT0_PS4_S4_.private_seg_size, 0
	.set _Z6kernelI14inclusive_scanILN6hipcub18BlockScanAlgorithmE0EEiLj64ELj1ELj100EEvPKT0_PS4_S4_.uses_vcc, 1
	.set _Z6kernelI14inclusive_scanILN6hipcub18BlockScanAlgorithmE0EEiLj64ELj1ELj100EEvPKT0_PS4_S4_.uses_flat_scratch, 0
	.set _Z6kernelI14inclusive_scanILN6hipcub18BlockScanAlgorithmE0EEiLj64ELj1ELj100EEvPKT0_PS4_S4_.has_dyn_sized_stack, 0
	.set _Z6kernelI14inclusive_scanILN6hipcub18BlockScanAlgorithmE0EEiLj64ELj1ELj100EEvPKT0_PS4_S4_.has_recursion, 0
	.set _Z6kernelI14inclusive_scanILN6hipcub18BlockScanAlgorithmE0EEiLj64ELj1ELj100EEvPKT0_PS4_S4_.has_indirect_call, 0
	.section	.AMDGPU.csdata,"",@progbits
; Kernel info:
; codeLenInByte = 360
; TotalNumSgprs: 21
; NumVgprs: 7
; ScratchSize: 0
; MemoryBound: 0
; FloatMode: 240
; IeeeMode: 1
; LDSByteSize: 4 bytes/workgroup (compile time only)
; SGPRBlocks: 2
; VGPRBlocks: 1
; NumSGPRsForWavesPerEU: 21
; NumVGPRsForWavesPerEU: 7
; Occupancy: 10
; WaveLimiterHint : 0
; COMPUTE_PGM_RSRC2:SCRATCH_EN: 0
; COMPUTE_PGM_RSRC2:USER_SGPR: 6
; COMPUTE_PGM_RSRC2:TRAP_HANDLER: 0
; COMPUTE_PGM_RSRC2:TGID_X_EN: 1
; COMPUTE_PGM_RSRC2:TGID_Y_EN: 0
; COMPUTE_PGM_RSRC2:TGID_Z_EN: 0
; COMPUTE_PGM_RSRC2:TIDIG_COMP_CNT: 0
	.section	.text._Z6kernelI14inclusive_scanILN6hipcub18BlockScanAlgorithmE0EEiLj64ELj3ELj100EEvPKT0_PS4_S4_,"axG",@progbits,_Z6kernelI14inclusive_scanILN6hipcub18BlockScanAlgorithmE0EEiLj64ELj3ELj100EEvPKT0_PS4_S4_,comdat
	.protected	_Z6kernelI14inclusive_scanILN6hipcub18BlockScanAlgorithmE0EEiLj64ELj3ELj100EEvPKT0_PS4_S4_ ; -- Begin function _Z6kernelI14inclusive_scanILN6hipcub18BlockScanAlgorithmE0EEiLj64ELj3ELj100EEvPKT0_PS4_S4_
	.globl	_Z6kernelI14inclusive_scanILN6hipcub18BlockScanAlgorithmE0EEiLj64ELj3ELj100EEvPKT0_PS4_S4_
	.p2align	8
	.type	_Z6kernelI14inclusive_scanILN6hipcub18BlockScanAlgorithmE0EEiLj64ELj3ELj100EEvPKT0_PS4_S4_,@function
_Z6kernelI14inclusive_scanILN6hipcub18BlockScanAlgorithmE0EEiLj64ELj3ELj100EEvPKT0_PS4_S4_: ; @_Z6kernelI14inclusive_scanILN6hipcub18BlockScanAlgorithmE0EEiLj64ELj3ELj100EEvPKT0_PS4_S4_
; %bb.0:
	s_load_dword s0, s[4:5], 0x24
	s_load_dwordx4 s[12:15], s[4:5], 0x0
	v_mov_b32_e32 v2, 0
	v_mov_b32_e32 v6, v2
	v_cmp_eq_u32_e64 s[10:11], 63, v0
	s_waitcnt lgkmcnt(0)
	s_and_b32 s0, s0, 0xffff
	s_mul_i32 s6, s6, s0
	v_add_u32_e32 v1, s6, v0
	v_lshl_add_u32 v1, v1, 1, v1
	v_lshlrev_b64 v[3:4], 2, v[1:2]
	v_mov_b32_e32 v5, s13
	v_add_co_u32_e32 v11, vcc, s12, v3
	v_addc_co_u32_e32 v12, vcc, v5, v4, vcc
	v_add_u32_e32 v5, 1, v1
	v_lshlrev_b64 v[5:6], 2, v[5:6]
	v_mov_b32_e32 v7, s13
	v_add_co_u32_e32 v13, vcc, s12, v5
	v_add_u32_e32 v1, 2, v1
	v_addc_co_u32_e32 v14, vcc, v7, v6, vcc
	v_lshlrev_b64 v[7:8], 2, v[1:2]
	v_mov_b32_e32 v1, s13
	v_add_co_u32_e32 v15, vcc, s12, v7
	v_addc_co_u32_e32 v16, vcc, v1, v8, vcc
	global_load_dword v10, v[11:12], off
	global_load_dword v9, v[13:14], off
	;; [unrolled: 1-line block ×3, first 2 shown]
	v_mbcnt_lo_u32_b32 v11, -1, 0
	v_mbcnt_hi_u32_b32 v11, -1, v11
	v_and_b32_e32 v12, 15, v11
	v_cmp_eq_u32_e32 vcc, 0, v12
	v_cmp_lt_u32_e64 s[0:1], 1, v12
	v_cmp_lt_u32_e64 s[2:3], 3, v12
	;; [unrolled: 1-line block ×3, first 2 shown]
	v_and_b32_e32 v12, 16, v11
	v_cmp_eq_u32_e64 s[6:7], 0, v12
	v_add_u32_e32 v12, -1, v11
	v_and_b32_e32 v13, 64, v11
	v_cmp_lt_i32_e64 s[12:13], v12, v13
	v_cmp_lt_u32_e64 s[8:9], 31, v11
	v_cndmask_b32_e64 v11, v12, v11, s[12:13]
	v_lshlrev_b32_e32 v11, 2, v11
	v_cmp_eq_u32_e64 s[12:13], 0, v0
	s_movk_i32 s18, 0x64
	s_branch .LBB55_2
.LBB55_1:                               ;   in Loop: Header=BB55_2 Depth=1
	s_or_b64 exec, exec, s[16:17]
	ds_bpermute_b32 v0, v11, v0
	s_add_i32 s18, s18, -1
	s_cmp_lg_u32 s18, 0
	s_waitcnt lgkmcnt(0)
	; wave barrier
	v_cndmask_b32_e64 v0, v0, 0, s[12:13]
	v_add_u32_e32 v10, v0, v10
	v_add_u32_e32 v9, v10, v9
	;; [unrolled: 1-line block ×3, first 2 shown]
	s_cbranch_scc0 .LBB55_4
.LBB55_2:                               ; =>This Inner Loop Header: Depth=1
	s_waitcnt vmcnt(0)
	v_add3_u32 v0, v9, v10, v1
	s_nop 1
	v_mov_b32_dpp v12, v0 row_shr:1 row_mask:0xf bank_mask:0xf
	v_cndmask_b32_e64 v12, v12, 0, vcc
	v_add_u32_e32 v0, v0, v12
	s_nop 1
	v_mov_b32_dpp v12, v0 row_shr:2 row_mask:0xf bank_mask:0xf
	v_cndmask_b32_e64 v12, 0, v12, s[0:1]
	v_add_u32_e32 v0, v0, v12
	s_nop 1
	v_mov_b32_dpp v12, v0 row_shr:4 row_mask:0xf bank_mask:0xf
	v_cndmask_b32_e64 v12, 0, v12, s[2:3]
	;; [unrolled: 4-line block ×3, first 2 shown]
	v_add_u32_e32 v0, v0, v12
	s_nop 1
	v_mov_b32_dpp v12, v0 row_bcast:15 row_mask:0xf bank_mask:0xf
	v_cndmask_b32_e64 v12, v12, 0, s[6:7]
	v_add_u32_e32 v0, v0, v12
	s_nop 1
	v_mov_b32_dpp v12, v0 row_bcast:31 row_mask:0xf bank_mask:0xf
	v_cndmask_b32_e64 v12, 0, v12, s[8:9]
	v_add_u32_e32 v0, v0, v12
	s_and_saveexec_b64 s[16:17], s[10:11]
	s_cbranch_execz .LBB55_1
; %bb.3:                                ;   in Loop: Header=BB55_2 Depth=1
	ds_write_b32 v2, v0
	s_branch .LBB55_1
.LBB55_4:
	v_mov_b32_e32 v0, s15
	v_add_co_u32_e32 v2, vcc, s14, v3
	v_addc_co_u32_e32 v3, vcc, v0, v4, vcc
	global_store_dword v[2:3], v10, off
	v_add_co_u32_e32 v2, vcc, s14, v5
	v_addc_co_u32_e32 v3, vcc, v0, v6, vcc
	global_store_dword v[2:3], v9, off
	;; [unrolled: 3-line block ×3, first 2 shown]
	s_endpgm
	.section	.rodata,"a",@progbits
	.p2align	6, 0x0
	.amdhsa_kernel _Z6kernelI14inclusive_scanILN6hipcub18BlockScanAlgorithmE0EEiLj64ELj3ELj100EEvPKT0_PS4_S4_
		.amdhsa_group_segment_fixed_size 4
		.amdhsa_private_segment_fixed_size 0
		.amdhsa_kernarg_size 280
		.amdhsa_user_sgpr_count 6
		.amdhsa_user_sgpr_private_segment_buffer 1
		.amdhsa_user_sgpr_dispatch_ptr 0
		.amdhsa_user_sgpr_queue_ptr 0
		.amdhsa_user_sgpr_kernarg_segment_ptr 1
		.amdhsa_user_sgpr_dispatch_id 0
		.amdhsa_user_sgpr_flat_scratch_init 0
		.amdhsa_user_sgpr_private_segment_size 0
		.amdhsa_uses_dynamic_stack 0
		.amdhsa_system_sgpr_private_segment_wavefront_offset 0
		.amdhsa_system_sgpr_workgroup_id_x 1
		.amdhsa_system_sgpr_workgroup_id_y 0
		.amdhsa_system_sgpr_workgroup_id_z 0
		.amdhsa_system_sgpr_workgroup_info 0
		.amdhsa_system_vgpr_workitem_id 0
		.amdhsa_next_free_vgpr 17
		.amdhsa_next_free_sgpr 19
		.amdhsa_reserve_vcc 1
		.amdhsa_reserve_flat_scratch 0
		.amdhsa_float_round_mode_32 0
		.amdhsa_float_round_mode_16_64 0
		.amdhsa_float_denorm_mode_32 3
		.amdhsa_float_denorm_mode_16_64 3
		.amdhsa_dx10_clamp 1
		.amdhsa_ieee_mode 1
		.amdhsa_fp16_overflow 0
		.amdhsa_exception_fp_ieee_invalid_op 0
		.amdhsa_exception_fp_denorm_src 0
		.amdhsa_exception_fp_ieee_div_zero 0
		.amdhsa_exception_fp_ieee_overflow 0
		.amdhsa_exception_fp_ieee_underflow 0
		.amdhsa_exception_fp_ieee_inexact 0
		.amdhsa_exception_int_div_zero 0
	.end_amdhsa_kernel
	.section	.text._Z6kernelI14inclusive_scanILN6hipcub18BlockScanAlgorithmE0EEiLj64ELj3ELj100EEvPKT0_PS4_S4_,"axG",@progbits,_Z6kernelI14inclusive_scanILN6hipcub18BlockScanAlgorithmE0EEiLj64ELj3ELj100EEvPKT0_PS4_S4_,comdat
.Lfunc_end55:
	.size	_Z6kernelI14inclusive_scanILN6hipcub18BlockScanAlgorithmE0EEiLj64ELj3ELj100EEvPKT0_PS4_S4_, .Lfunc_end55-_Z6kernelI14inclusive_scanILN6hipcub18BlockScanAlgorithmE0EEiLj64ELj3ELj100EEvPKT0_PS4_S4_
                                        ; -- End function
	.set _Z6kernelI14inclusive_scanILN6hipcub18BlockScanAlgorithmE0EEiLj64ELj3ELj100EEvPKT0_PS4_S4_.num_vgpr, 17
	.set _Z6kernelI14inclusive_scanILN6hipcub18BlockScanAlgorithmE0EEiLj64ELj3ELj100EEvPKT0_PS4_S4_.num_agpr, 0
	.set _Z6kernelI14inclusive_scanILN6hipcub18BlockScanAlgorithmE0EEiLj64ELj3ELj100EEvPKT0_PS4_S4_.numbered_sgpr, 19
	.set _Z6kernelI14inclusive_scanILN6hipcub18BlockScanAlgorithmE0EEiLj64ELj3ELj100EEvPKT0_PS4_S4_.num_named_barrier, 0
	.set _Z6kernelI14inclusive_scanILN6hipcub18BlockScanAlgorithmE0EEiLj64ELj3ELj100EEvPKT0_PS4_S4_.private_seg_size, 0
	.set _Z6kernelI14inclusive_scanILN6hipcub18BlockScanAlgorithmE0EEiLj64ELj3ELj100EEvPKT0_PS4_S4_.uses_vcc, 1
	.set _Z6kernelI14inclusive_scanILN6hipcub18BlockScanAlgorithmE0EEiLj64ELj3ELj100EEvPKT0_PS4_S4_.uses_flat_scratch, 0
	.set _Z6kernelI14inclusive_scanILN6hipcub18BlockScanAlgorithmE0EEiLj64ELj3ELj100EEvPKT0_PS4_S4_.has_dyn_sized_stack, 0
	.set _Z6kernelI14inclusive_scanILN6hipcub18BlockScanAlgorithmE0EEiLj64ELj3ELj100EEvPKT0_PS4_S4_.has_recursion, 0
	.set _Z6kernelI14inclusive_scanILN6hipcub18BlockScanAlgorithmE0EEiLj64ELj3ELj100EEvPKT0_PS4_S4_.has_indirect_call, 0
	.section	.AMDGPU.csdata,"",@progbits
; Kernel info:
; codeLenInByte = 544
; TotalNumSgprs: 23
; NumVgprs: 17
; ScratchSize: 0
; MemoryBound: 0
; FloatMode: 240
; IeeeMode: 1
; LDSByteSize: 4 bytes/workgroup (compile time only)
; SGPRBlocks: 2
; VGPRBlocks: 4
; NumSGPRsForWavesPerEU: 23
; NumVGPRsForWavesPerEU: 17
; Occupancy: 10
; WaveLimiterHint : 0
; COMPUTE_PGM_RSRC2:SCRATCH_EN: 0
; COMPUTE_PGM_RSRC2:USER_SGPR: 6
; COMPUTE_PGM_RSRC2:TRAP_HANDLER: 0
; COMPUTE_PGM_RSRC2:TGID_X_EN: 1
; COMPUTE_PGM_RSRC2:TGID_Y_EN: 0
; COMPUTE_PGM_RSRC2:TGID_Z_EN: 0
; COMPUTE_PGM_RSRC2:TIDIG_COMP_CNT: 0
	.section	.text._Z6kernelI14inclusive_scanILN6hipcub18BlockScanAlgorithmE0EEiLj64ELj4ELj100EEvPKT0_PS4_S4_,"axG",@progbits,_Z6kernelI14inclusive_scanILN6hipcub18BlockScanAlgorithmE0EEiLj64ELj4ELj100EEvPKT0_PS4_S4_,comdat
	.protected	_Z6kernelI14inclusive_scanILN6hipcub18BlockScanAlgorithmE0EEiLj64ELj4ELj100EEvPKT0_PS4_S4_ ; -- Begin function _Z6kernelI14inclusive_scanILN6hipcub18BlockScanAlgorithmE0EEiLj64ELj4ELj100EEvPKT0_PS4_S4_
	.globl	_Z6kernelI14inclusive_scanILN6hipcub18BlockScanAlgorithmE0EEiLj64ELj4ELj100EEvPKT0_PS4_S4_
	.p2align	8
	.type	_Z6kernelI14inclusive_scanILN6hipcub18BlockScanAlgorithmE0EEiLj64ELj4ELj100EEvPKT0_PS4_S4_,@function
_Z6kernelI14inclusive_scanILN6hipcub18BlockScanAlgorithmE0EEiLj64ELj4ELj100EEvPKT0_PS4_S4_: ; @_Z6kernelI14inclusive_scanILN6hipcub18BlockScanAlgorithmE0EEiLj64ELj4ELj100EEvPKT0_PS4_S4_
; %bb.0:
	s_load_dword s0, s[4:5], 0x24
	s_load_dwordx4 s[12:15], s[4:5], 0x0
	v_mov_b32_e32 v5, 0
	v_mbcnt_lo_u32_b32 v8, -1, 0
	v_mbcnt_hi_u32_b32 v8, -1, v8
	s_waitcnt lgkmcnt(0)
	s_and_b32 s0, s0, 0xffff
	s_mul_i32 s6, s6, s0
	v_add_lshl_u32 v4, s6, v0, 2
	v_lshlrev_b64 v[6:7], 2, v[4:5]
	v_mov_b32_e32 v2, s13
	v_add_co_u32_e32 v1, vcc, s12, v6
	v_addc_co_u32_e32 v2, vcc, v2, v7, vcc
	global_load_dwordx4 v[1:4], v[1:2], off
	v_and_b32_e32 v9, 15, v8
	v_cmp_eq_u32_e32 vcc, 0, v9
	v_cmp_lt_u32_e64 s[0:1], 1, v9
	v_cmp_lt_u32_e64 s[2:3], 3, v9
	;; [unrolled: 1-line block ×3, first 2 shown]
	v_and_b32_e32 v9, 16, v8
	v_cmp_eq_u32_e64 s[6:7], 0, v9
	v_add_u32_e32 v9, -1, v8
	v_and_b32_e32 v10, 64, v8
	v_cmp_lt_i32_e64 s[12:13], v9, v10
	v_cmp_lt_u32_e64 s[8:9], 31, v8
	v_cndmask_b32_e64 v8, v9, v8, s[12:13]
	v_cmp_eq_u32_e64 s[10:11], 63, v0
	v_lshlrev_b32_e32 v8, 2, v8
	v_cmp_eq_u32_e64 s[12:13], 0, v0
	s_movk_i32 s18, 0x64
	s_branch .LBB56_2
.LBB56_1:                               ;   in Loop: Header=BB56_2 Depth=1
	s_or_b64 exec, exec, s[16:17]
	ds_bpermute_b32 v0, v8, v0
	s_add_i32 s18, s18, -1
	s_cmp_lg_u32 s18, 0
	s_waitcnt lgkmcnt(0)
	; wave barrier
	v_cndmask_b32_e64 v0, v0, 0, s[12:13]
	v_add_u32_e32 v1, v0, v1
	v_add_u32_e32 v2, v1, v2
	;; [unrolled: 1-line block ×4, first 2 shown]
	s_cbranch_scc0 .LBB56_4
.LBB56_2:                               ; =>This Inner Loop Header: Depth=1
	s_waitcnt vmcnt(0)
	v_add_u32_e32 v0, v2, v1
	v_add3_u32 v0, v0, v3, v4
	s_nop 1
	v_mov_b32_dpp v9, v0 row_shr:1 row_mask:0xf bank_mask:0xf
	v_cndmask_b32_e64 v9, v9, 0, vcc
	v_add_u32_e32 v0, v0, v9
	s_nop 1
	v_mov_b32_dpp v9, v0 row_shr:2 row_mask:0xf bank_mask:0xf
	v_cndmask_b32_e64 v9, 0, v9, s[0:1]
	v_add_u32_e32 v0, v0, v9
	s_nop 1
	v_mov_b32_dpp v9, v0 row_shr:4 row_mask:0xf bank_mask:0xf
	v_cndmask_b32_e64 v9, 0, v9, s[2:3]
	;; [unrolled: 4-line block ×3, first 2 shown]
	v_add_u32_e32 v0, v0, v9
	s_nop 1
	v_mov_b32_dpp v9, v0 row_bcast:15 row_mask:0xf bank_mask:0xf
	v_cndmask_b32_e64 v9, v9, 0, s[6:7]
	v_add_u32_e32 v0, v0, v9
	s_nop 1
	v_mov_b32_dpp v9, v0 row_bcast:31 row_mask:0xf bank_mask:0xf
	v_cndmask_b32_e64 v9, 0, v9, s[8:9]
	v_add_u32_e32 v0, v0, v9
	s_and_saveexec_b64 s[16:17], s[10:11]
	s_cbranch_execz .LBB56_1
; %bb.3:                                ;   in Loop: Header=BB56_2 Depth=1
	ds_write_b32 v5, v0
	s_branch .LBB56_1
.LBB56_4:
	v_mov_b32_e32 v0, s15
	v_add_co_u32_e32 v5, vcc, s14, v6
	v_addc_co_u32_e32 v6, vcc, v0, v7, vcc
	global_store_dwordx4 v[5:6], v[1:4], off
	s_endpgm
	.section	.rodata,"a",@progbits
	.p2align	6, 0x0
	.amdhsa_kernel _Z6kernelI14inclusive_scanILN6hipcub18BlockScanAlgorithmE0EEiLj64ELj4ELj100EEvPKT0_PS4_S4_
		.amdhsa_group_segment_fixed_size 4
		.amdhsa_private_segment_fixed_size 0
		.amdhsa_kernarg_size 280
		.amdhsa_user_sgpr_count 6
		.amdhsa_user_sgpr_private_segment_buffer 1
		.amdhsa_user_sgpr_dispatch_ptr 0
		.amdhsa_user_sgpr_queue_ptr 0
		.amdhsa_user_sgpr_kernarg_segment_ptr 1
		.amdhsa_user_sgpr_dispatch_id 0
		.amdhsa_user_sgpr_flat_scratch_init 0
		.amdhsa_user_sgpr_private_segment_size 0
		.amdhsa_uses_dynamic_stack 0
		.amdhsa_system_sgpr_private_segment_wavefront_offset 0
		.amdhsa_system_sgpr_workgroup_id_x 1
		.amdhsa_system_sgpr_workgroup_id_y 0
		.amdhsa_system_sgpr_workgroup_id_z 0
		.amdhsa_system_sgpr_workgroup_info 0
		.amdhsa_system_vgpr_workitem_id 0
		.amdhsa_next_free_vgpr 11
		.amdhsa_next_free_sgpr 19
		.amdhsa_reserve_vcc 1
		.amdhsa_reserve_flat_scratch 0
		.amdhsa_float_round_mode_32 0
		.amdhsa_float_round_mode_16_64 0
		.amdhsa_float_denorm_mode_32 3
		.amdhsa_float_denorm_mode_16_64 3
		.amdhsa_dx10_clamp 1
		.amdhsa_ieee_mode 1
		.amdhsa_fp16_overflow 0
		.amdhsa_exception_fp_ieee_invalid_op 0
		.amdhsa_exception_fp_denorm_src 0
		.amdhsa_exception_fp_ieee_div_zero 0
		.amdhsa_exception_fp_ieee_overflow 0
		.amdhsa_exception_fp_ieee_underflow 0
		.amdhsa_exception_fp_ieee_inexact 0
		.amdhsa_exception_int_div_zero 0
	.end_amdhsa_kernel
	.section	.text._Z6kernelI14inclusive_scanILN6hipcub18BlockScanAlgorithmE0EEiLj64ELj4ELj100EEvPKT0_PS4_S4_,"axG",@progbits,_Z6kernelI14inclusive_scanILN6hipcub18BlockScanAlgorithmE0EEiLj64ELj4ELj100EEvPKT0_PS4_S4_,comdat
.Lfunc_end56:
	.size	_Z6kernelI14inclusive_scanILN6hipcub18BlockScanAlgorithmE0EEiLj64ELj4ELj100EEvPKT0_PS4_S4_, .Lfunc_end56-_Z6kernelI14inclusive_scanILN6hipcub18BlockScanAlgorithmE0EEiLj64ELj4ELj100EEvPKT0_PS4_S4_
                                        ; -- End function
	.set _Z6kernelI14inclusive_scanILN6hipcub18BlockScanAlgorithmE0EEiLj64ELj4ELj100EEvPKT0_PS4_S4_.num_vgpr, 11
	.set _Z6kernelI14inclusive_scanILN6hipcub18BlockScanAlgorithmE0EEiLj64ELj4ELj100EEvPKT0_PS4_S4_.num_agpr, 0
	.set _Z6kernelI14inclusive_scanILN6hipcub18BlockScanAlgorithmE0EEiLj64ELj4ELj100EEvPKT0_PS4_S4_.numbered_sgpr, 19
	.set _Z6kernelI14inclusive_scanILN6hipcub18BlockScanAlgorithmE0EEiLj64ELj4ELj100EEvPKT0_PS4_S4_.num_named_barrier, 0
	.set _Z6kernelI14inclusive_scanILN6hipcub18BlockScanAlgorithmE0EEiLj64ELj4ELj100EEvPKT0_PS4_S4_.private_seg_size, 0
	.set _Z6kernelI14inclusive_scanILN6hipcub18BlockScanAlgorithmE0EEiLj64ELj4ELj100EEvPKT0_PS4_S4_.uses_vcc, 1
	.set _Z6kernelI14inclusive_scanILN6hipcub18BlockScanAlgorithmE0EEiLj64ELj4ELj100EEvPKT0_PS4_S4_.uses_flat_scratch, 0
	.set _Z6kernelI14inclusive_scanILN6hipcub18BlockScanAlgorithmE0EEiLj64ELj4ELj100EEvPKT0_PS4_S4_.has_dyn_sized_stack, 0
	.set _Z6kernelI14inclusive_scanILN6hipcub18BlockScanAlgorithmE0EEiLj64ELj4ELj100EEvPKT0_PS4_S4_.has_recursion, 0
	.set _Z6kernelI14inclusive_scanILN6hipcub18BlockScanAlgorithmE0EEiLj64ELj4ELj100EEvPKT0_PS4_S4_.has_indirect_call, 0
	.section	.AMDGPU.csdata,"",@progbits
; Kernel info:
; codeLenInByte = 448
; TotalNumSgprs: 23
; NumVgprs: 11
; ScratchSize: 0
; MemoryBound: 0
; FloatMode: 240
; IeeeMode: 1
; LDSByteSize: 4 bytes/workgroup (compile time only)
; SGPRBlocks: 2
; VGPRBlocks: 2
; NumSGPRsForWavesPerEU: 23
; NumVGPRsForWavesPerEU: 11
; Occupancy: 10
; WaveLimiterHint : 0
; COMPUTE_PGM_RSRC2:SCRATCH_EN: 0
; COMPUTE_PGM_RSRC2:USER_SGPR: 6
; COMPUTE_PGM_RSRC2:TRAP_HANDLER: 0
; COMPUTE_PGM_RSRC2:TGID_X_EN: 1
; COMPUTE_PGM_RSRC2:TGID_Y_EN: 0
; COMPUTE_PGM_RSRC2:TGID_Z_EN: 0
; COMPUTE_PGM_RSRC2:TIDIG_COMP_CNT: 0
	.section	.text._Z6kernelI14inclusive_scanILN6hipcub18BlockScanAlgorithmE0EEiLj64ELj8ELj100EEvPKT0_PS4_S4_,"axG",@progbits,_Z6kernelI14inclusive_scanILN6hipcub18BlockScanAlgorithmE0EEiLj64ELj8ELj100EEvPKT0_PS4_S4_,comdat
	.protected	_Z6kernelI14inclusive_scanILN6hipcub18BlockScanAlgorithmE0EEiLj64ELj8ELj100EEvPKT0_PS4_S4_ ; -- Begin function _Z6kernelI14inclusive_scanILN6hipcub18BlockScanAlgorithmE0EEiLj64ELj8ELj100EEvPKT0_PS4_S4_
	.globl	_Z6kernelI14inclusive_scanILN6hipcub18BlockScanAlgorithmE0EEiLj64ELj8ELj100EEvPKT0_PS4_S4_
	.p2align	8
	.type	_Z6kernelI14inclusive_scanILN6hipcub18BlockScanAlgorithmE0EEiLj64ELj8ELj100EEvPKT0_PS4_S4_,@function
_Z6kernelI14inclusive_scanILN6hipcub18BlockScanAlgorithmE0EEiLj64ELj8ELj100EEvPKT0_PS4_S4_: ; @_Z6kernelI14inclusive_scanILN6hipcub18BlockScanAlgorithmE0EEiLj64ELj8ELj100EEvPKT0_PS4_S4_
; %bb.0:
	s_load_dword s0, s[4:5], 0x24
	s_load_dwordx4 s[12:15], s[4:5], 0x0
	v_mov_b32_e32 v9, 0
	v_cmp_eq_u32_e64 s[10:11], 63, v0
	s_movk_i32 s18, 0x64
	s_waitcnt lgkmcnt(0)
	s_and_b32 s0, s0, 0xffff
	s_mul_i32 s6, s6, s0
	v_add_lshl_u32 v8, s6, v0, 3
	v_lshlrev_b64 v[10:11], 2, v[8:9]
	v_mov_b32_e32 v1, s13
	v_add_co_u32_e32 v12, vcc, s12, v10
	v_addc_co_u32_e32 v13, vcc, v1, v11, vcc
	global_load_dwordx4 v[5:8], v[12:13], off
	global_load_dwordx4 v[1:4], v[12:13], off offset:16
	v_mbcnt_lo_u32_b32 v12, -1, 0
	v_mbcnt_hi_u32_b32 v12, -1, v12
	v_and_b32_e32 v13, 15, v12
	v_cmp_eq_u32_e32 vcc, 0, v13
	v_cmp_lt_u32_e64 s[0:1], 1, v13
	v_cmp_lt_u32_e64 s[2:3], 3, v13
	;; [unrolled: 1-line block ×3, first 2 shown]
	v_and_b32_e32 v13, 16, v12
	v_cmp_eq_u32_e64 s[6:7], 0, v13
	v_add_u32_e32 v13, -1, v12
	v_and_b32_e32 v14, 64, v12
	v_cmp_lt_i32_e64 s[12:13], v13, v14
	v_cmp_lt_u32_e64 s[8:9], 31, v12
	v_cndmask_b32_e64 v12, v13, v12, s[12:13]
	v_lshlrev_b32_e32 v12, 2, v12
	v_cmp_eq_u32_e64 s[12:13], 0, v0
	s_branch .LBB57_2
.LBB57_1:                               ;   in Loop: Header=BB57_2 Depth=1
	s_or_b64 exec, exec, s[16:17]
	ds_bpermute_b32 v0, v12, v0
	s_add_i32 s18, s18, -1
	s_cmp_lg_u32 s18, 0
	s_waitcnt lgkmcnt(0)
	; wave barrier
	v_cndmask_b32_e64 v0, v0, 0, s[12:13]
	v_add_u32_e32 v5, v0, v5
	v_add_u32_e32 v6, v5, v6
	;; [unrolled: 1-line block ×8, first 2 shown]
	s_cbranch_scc0 .LBB57_4
.LBB57_2:                               ; =>This Inner Loop Header: Depth=1
	s_waitcnt vmcnt(1)
	v_add_u32_e32 v0, v6, v5
	v_add3_u32 v0, v0, v7, v8
	s_waitcnt vmcnt(0)
	v_add3_u32 v0, v0, v1, v2
	v_add3_u32 v0, v0, v3, v4
	s_nop 1
	v_mov_b32_dpp v13, v0 row_shr:1 row_mask:0xf bank_mask:0xf
	v_cndmask_b32_e64 v13, v13, 0, vcc
	v_add_u32_e32 v0, v0, v13
	s_nop 1
	v_mov_b32_dpp v13, v0 row_shr:2 row_mask:0xf bank_mask:0xf
	v_cndmask_b32_e64 v13, 0, v13, s[0:1]
	v_add_u32_e32 v0, v0, v13
	s_nop 1
	v_mov_b32_dpp v13, v0 row_shr:4 row_mask:0xf bank_mask:0xf
	v_cndmask_b32_e64 v13, 0, v13, s[2:3]
	v_add_u32_e32 v0, v0, v13
	s_nop 1
	v_mov_b32_dpp v13, v0 row_shr:8 row_mask:0xf bank_mask:0xf
	v_cndmask_b32_e64 v13, 0, v13, s[4:5]
	v_add_u32_e32 v0, v0, v13
	s_nop 1
	v_mov_b32_dpp v13, v0 row_bcast:15 row_mask:0xf bank_mask:0xf
	v_cndmask_b32_e64 v13, v13, 0, s[6:7]
	v_add_u32_e32 v0, v0, v13
	s_nop 1
	v_mov_b32_dpp v13, v0 row_bcast:31 row_mask:0xf bank_mask:0xf
	v_cndmask_b32_e64 v13, 0, v13, s[8:9]
	v_add_u32_e32 v0, v0, v13
	s_and_saveexec_b64 s[16:17], s[10:11]
	s_cbranch_execz .LBB57_1
; %bb.3:                                ;   in Loop: Header=BB57_2 Depth=1
	ds_write_b32 v9, v0
	s_branch .LBB57_1
.LBB57_4:
	v_mov_b32_e32 v0, s15
	v_add_co_u32_e32 v9, vcc, s14, v10
	v_addc_co_u32_e32 v10, vcc, v0, v11, vcc
	global_store_dwordx4 v[9:10], v[5:8], off
	global_store_dwordx4 v[9:10], v[1:4], off offset:16
	s_endpgm
	.section	.rodata,"a",@progbits
	.p2align	6, 0x0
	.amdhsa_kernel _Z6kernelI14inclusive_scanILN6hipcub18BlockScanAlgorithmE0EEiLj64ELj8ELj100EEvPKT0_PS4_S4_
		.amdhsa_group_segment_fixed_size 4
		.amdhsa_private_segment_fixed_size 0
		.amdhsa_kernarg_size 280
		.amdhsa_user_sgpr_count 6
		.amdhsa_user_sgpr_private_segment_buffer 1
		.amdhsa_user_sgpr_dispatch_ptr 0
		.amdhsa_user_sgpr_queue_ptr 0
		.amdhsa_user_sgpr_kernarg_segment_ptr 1
		.amdhsa_user_sgpr_dispatch_id 0
		.amdhsa_user_sgpr_flat_scratch_init 0
		.amdhsa_user_sgpr_private_segment_size 0
		.amdhsa_uses_dynamic_stack 0
		.amdhsa_system_sgpr_private_segment_wavefront_offset 0
		.amdhsa_system_sgpr_workgroup_id_x 1
		.amdhsa_system_sgpr_workgroup_id_y 0
		.amdhsa_system_sgpr_workgroup_id_z 0
		.amdhsa_system_sgpr_workgroup_info 0
		.amdhsa_system_vgpr_workitem_id 0
		.amdhsa_next_free_vgpr 15
		.amdhsa_next_free_sgpr 19
		.amdhsa_reserve_vcc 1
		.amdhsa_reserve_flat_scratch 0
		.amdhsa_float_round_mode_32 0
		.amdhsa_float_round_mode_16_64 0
		.amdhsa_float_denorm_mode_32 3
		.amdhsa_float_denorm_mode_16_64 3
		.amdhsa_dx10_clamp 1
		.amdhsa_ieee_mode 1
		.amdhsa_fp16_overflow 0
		.amdhsa_exception_fp_ieee_invalid_op 0
		.amdhsa_exception_fp_denorm_src 0
		.amdhsa_exception_fp_ieee_div_zero 0
		.amdhsa_exception_fp_ieee_overflow 0
		.amdhsa_exception_fp_ieee_underflow 0
		.amdhsa_exception_fp_ieee_inexact 0
		.amdhsa_exception_int_div_zero 0
	.end_amdhsa_kernel
	.section	.text._Z6kernelI14inclusive_scanILN6hipcub18BlockScanAlgorithmE0EEiLj64ELj8ELj100EEvPKT0_PS4_S4_,"axG",@progbits,_Z6kernelI14inclusive_scanILN6hipcub18BlockScanAlgorithmE0EEiLj64ELj8ELj100EEvPKT0_PS4_S4_,comdat
.Lfunc_end57:
	.size	_Z6kernelI14inclusive_scanILN6hipcub18BlockScanAlgorithmE0EEiLj64ELj8ELj100EEvPKT0_PS4_S4_, .Lfunc_end57-_Z6kernelI14inclusive_scanILN6hipcub18BlockScanAlgorithmE0EEiLj64ELj8ELj100EEvPKT0_PS4_S4_
                                        ; -- End function
	.set _Z6kernelI14inclusive_scanILN6hipcub18BlockScanAlgorithmE0EEiLj64ELj8ELj100EEvPKT0_PS4_S4_.num_vgpr, 15
	.set _Z6kernelI14inclusive_scanILN6hipcub18BlockScanAlgorithmE0EEiLj64ELj8ELj100EEvPKT0_PS4_S4_.num_agpr, 0
	.set _Z6kernelI14inclusive_scanILN6hipcub18BlockScanAlgorithmE0EEiLj64ELj8ELj100EEvPKT0_PS4_S4_.numbered_sgpr, 19
	.set _Z6kernelI14inclusive_scanILN6hipcub18BlockScanAlgorithmE0EEiLj64ELj8ELj100EEvPKT0_PS4_S4_.num_named_barrier, 0
	.set _Z6kernelI14inclusive_scanILN6hipcub18BlockScanAlgorithmE0EEiLj64ELj8ELj100EEvPKT0_PS4_S4_.private_seg_size, 0
	.set _Z6kernelI14inclusive_scanILN6hipcub18BlockScanAlgorithmE0EEiLj64ELj8ELj100EEvPKT0_PS4_S4_.uses_vcc, 1
	.set _Z6kernelI14inclusive_scanILN6hipcub18BlockScanAlgorithmE0EEiLj64ELj8ELj100EEvPKT0_PS4_S4_.uses_flat_scratch, 0
	.set _Z6kernelI14inclusive_scanILN6hipcub18BlockScanAlgorithmE0EEiLj64ELj8ELj100EEvPKT0_PS4_S4_.has_dyn_sized_stack, 0
	.set _Z6kernelI14inclusive_scanILN6hipcub18BlockScanAlgorithmE0EEiLj64ELj8ELj100EEvPKT0_PS4_S4_.has_recursion, 0
	.set _Z6kernelI14inclusive_scanILN6hipcub18BlockScanAlgorithmE0EEiLj64ELj8ELj100EEvPKT0_PS4_S4_.has_indirect_call, 0
	.section	.AMDGPU.csdata,"",@progbits
; Kernel info:
; codeLenInByte = 500
; TotalNumSgprs: 23
; NumVgprs: 15
; ScratchSize: 0
; MemoryBound: 0
; FloatMode: 240
; IeeeMode: 1
; LDSByteSize: 4 bytes/workgroup (compile time only)
; SGPRBlocks: 2
; VGPRBlocks: 3
; NumSGPRsForWavesPerEU: 23
; NumVGPRsForWavesPerEU: 15
; Occupancy: 10
; WaveLimiterHint : 0
; COMPUTE_PGM_RSRC2:SCRATCH_EN: 0
; COMPUTE_PGM_RSRC2:USER_SGPR: 6
; COMPUTE_PGM_RSRC2:TRAP_HANDLER: 0
; COMPUTE_PGM_RSRC2:TGID_X_EN: 1
; COMPUTE_PGM_RSRC2:TGID_Y_EN: 0
; COMPUTE_PGM_RSRC2:TGID_Z_EN: 0
; COMPUTE_PGM_RSRC2:TIDIG_COMP_CNT: 0
	.section	.text._Z6kernelI14inclusive_scanILN6hipcub18BlockScanAlgorithmE0EEiLj64ELj11ELj100EEvPKT0_PS4_S4_,"axG",@progbits,_Z6kernelI14inclusive_scanILN6hipcub18BlockScanAlgorithmE0EEiLj64ELj11ELj100EEvPKT0_PS4_S4_,comdat
	.protected	_Z6kernelI14inclusive_scanILN6hipcub18BlockScanAlgorithmE0EEiLj64ELj11ELj100EEvPKT0_PS4_S4_ ; -- Begin function _Z6kernelI14inclusive_scanILN6hipcub18BlockScanAlgorithmE0EEiLj64ELj11ELj100EEvPKT0_PS4_S4_
	.globl	_Z6kernelI14inclusive_scanILN6hipcub18BlockScanAlgorithmE0EEiLj64ELj11ELj100EEvPKT0_PS4_S4_
	.p2align	8
	.type	_Z6kernelI14inclusive_scanILN6hipcub18BlockScanAlgorithmE0EEiLj64ELj11ELj100EEvPKT0_PS4_S4_,@function
_Z6kernelI14inclusive_scanILN6hipcub18BlockScanAlgorithmE0EEiLj64ELj11ELj100EEvPKT0_PS4_S4_: ; @_Z6kernelI14inclusive_scanILN6hipcub18BlockScanAlgorithmE0EEiLj64ELj11ELj100EEvPKT0_PS4_S4_
; %bb.0:
	s_load_dword s0, s[4:5], 0x24
	s_load_dwordx4 s[12:15], s[4:5], 0x0
	v_mov_b32_e32 v2, 0
	v_mov_b32_e32 v8, v2
	;; [unrolled: 1-line block ×3, first 2 shown]
	s_waitcnt lgkmcnt(0)
	s_and_b32 s0, s0, 0xffff
	s_mul_i32 s6, s6, s0
	v_add_u32_e32 v1, s6, v0
	v_mul_lo_u32 v1, v1, 11
	v_mov_b32_e32 v6, s13
	v_mov_b32_e32 v7, s13
	;; [unrolled: 1-line block ×3, first 2 shown]
	v_lshlrev_b64 v[3:4], 2, v[1:2]
	v_add_u32_e32 v5, 1, v1
	v_add_co_u32_e32 v19, vcc, s12, v3
	v_addc_co_u32_e32 v20, vcc, v6, v4, vcc
	v_mov_b32_e32 v6, v2
	v_lshlrev_b64 v[5:6], 2, v[5:6]
	v_mov_b32_e32 v11, s13
	v_add_co_u32_e32 v21, vcc, s12, v5
	v_addc_co_u32_e32 v22, vcc, v7, v6, vcc
	v_add_u32_e32 v7, 2, v1
	v_lshlrev_b64 v[7:8], 2, v[7:8]
	v_mov_b32_e32 v12, v2
	v_add_co_u32_e32 v23, vcc, s12, v7
	v_addc_co_u32_e32 v24, vcc, v9, v8, vcc
	v_add_u32_e32 v9, 3, v1
	;; [unrolled: 5-line block ×5, first 2 shown]
	v_mov_b32_e32 v16, v2
	v_lshlrev_b64 v[15:16], 2, v[15:16]
	v_mov_b32_e32 v17, s13
	v_add_co_u32_e32 v39, vcc, s12, v15
	v_addc_co_u32_e32 v40, vcc, v17, v16, vcc
	v_add_u32_e32 v17, 7, v1
	v_mov_b32_e32 v18, v2
	v_lshlrev_b64 v[17:18], 2, v[17:18]
	v_mov_b32_e32 v27, s13
	v_add_co_u32_e32 v41, vcc, s12, v17
	v_addc_co_u32_e32 v42, vcc, v27, v18, vcc
	global_load_dword v34, v[19:20], off
	global_load_dword v33, v[21:22], off
	;; [unrolled: 1-line block ×5, first 2 shown]
                                        ; kill: killed $vgpr25 killed $vgpr26
                                        ; kill: killed $vgpr21 killed $vgpr22
                                        ; kill: killed $vgpr23 killed $vgpr24
                                        ; kill: killed $vgpr35 killed $vgpr36
                                        ; kill: killed $vgpr19 killed $vgpr20
	global_load_dword v27, v[37:38], off
	s_nop 0
	global_load_dword v26, v[39:40], off
	global_load_dword v25, v[41:42], off
	v_add_u32_e32 v19, 8, v1
	v_mov_b32_e32 v20, v2
	v_lshlrev_b64 v[19:20], 2, v[19:20]
	v_mov_b32_e32 v21, s13
	v_add_co_u32_e32 v35, vcc, s12, v19
	v_addc_co_u32_e32 v36, vcc, v21, v20, vcc
	v_add_u32_e32 v21, 9, v1
	v_mov_b32_e32 v22, v2
	v_lshlrev_b64 v[21:22], 2, v[21:22]
	v_mov_b32_e32 v23, s13
	v_add_co_u32_e32 v37, vcc, s12, v21
	v_add_u32_e32 v1, 10, v1
	v_addc_co_u32_e32 v38, vcc, v23, v22, vcc
	v_lshlrev_b64 v[23:24], 2, v[1:2]
	v_mov_b32_e32 v30, s13
	v_add_co_u32_e32 v39, vcc, s12, v23
	v_addc_co_u32_e32 v40, vcc, v30, v24, vcc
	global_load_dword v32, v[35:36], off
	global_load_dword v30, v[37:38], off
                                        ; kill: killed $vgpr37 killed $vgpr38
                                        ; kill: killed $vgpr35 killed $vgpr36
	global_load_dword v1, v[39:40], off
	v_mbcnt_lo_u32_b32 v35, -1, 0
	v_mbcnt_hi_u32_b32 v35, -1, v35
	v_and_b32_e32 v36, 15, v35
	v_cmp_eq_u32_e32 vcc, 0, v36
	v_cmp_lt_u32_e64 s[0:1], 1, v36
	v_cmp_lt_u32_e64 s[2:3], 3, v36
	;; [unrolled: 1-line block ×3, first 2 shown]
	v_and_b32_e32 v36, 16, v35
	v_cmp_eq_u32_e64 s[6:7], 0, v36
	v_add_u32_e32 v36, -1, v35
	v_and_b32_e32 v37, 64, v35
	v_cmp_lt_i32_e64 s[10:11], v36, v37
	v_cmp_lt_u32_e64 s[8:9], 31, v35
	v_cndmask_b32_e64 v35, v36, v35, s[10:11]
	v_cmp_eq_u32_e64 s[10:11], 63, v0
	v_cmp_eq_u32_e64 s[12:13], 0, v0
	v_lshlrev_b32_e32 v0, 2, v35
	s_movk_i32 s18, 0x64
	s_branch .LBB58_2
.LBB58_1:                               ;   in Loop: Header=BB58_2 Depth=1
	s_or_b64 exec, exec, s[16:17]
	ds_bpermute_b32 v35, v0, v35
	s_add_i32 s18, s18, -1
	s_cmp_lg_u32 s18, 0
	s_waitcnt lgkmcnt(0)
	; wave barrier
	v_cndmask_b32_e64 v35, v35, 0, s[12:13]
	v_add_u32_e32 v34, v35, v34
	v_add_u32_e32 v33, v34, v33
	;; [unrolled: 1-line block ×11, first 2 shown]
	s_cbranch_scc0 .LBB58_4
.LBB58_2:                               ; =>This Inner Loop Header: Depth=1
	s_waitcnt vmcnt(0)
	v_add3_u32 v35, v30, v1, v32
	v_add3_u32 v35, v35, v25, v26
	;; [unrolled: 1-line block ×5, first 2 shown]
	s_nop 1
	v_mov_b32_dpp v36, v35 row_shr:1 row_mask:0xf bank_mask:0xf
	v_cndmask_b32_e64 v36, v36, 0, vcc
	v_add_u32_e32 v35, v35, v36
	s_nop 1
	v_mov_b32_dpp v36, v35 row_shr:2 row_mask:0xf bank_mask:0xf
	v_cndmask_b32_e64 v36, 0, v36, s[0:1]
	v_add_u32_e32 v35, v35, v36
	s_nop 1
	v_mov_b32_dpp v36, v35 row_shr:4 row_mask:0xf bank_mask:0xf
	v_cndmask_b32_e64 v36, 0, v36, s[2:3]
	;; [unrolled: 4-line block ×3, first 2 shown]
	v_add_u32_e32 v35, v35, v36
	s_nop 1
	v_mov_b32_dpp v36, v35 row_bcast:15 row_mask:0xf bank_mask:0xf
	v_cndmask_b32_e64 v36, v36, 0, s[6:7]
	v_add_u32_e32 v35, v35, v36
	s_nop 1
	v_mov_b32_dpp v36, v35 row_bcast:31 row_mask:0xf bank_mask:0xf
	v_cndmask_b32_e64 v36, 0, v36, s[8:9]
	v_add_u32_e32 v35, v35, v36
	s_and_saveexec_b64 s[16:17], s[10:11]
	s_cbranch_execz .LBB58_1
; %bb.3:                                ;   in Loop: Header=BB58_2 Depth=1
	ds_write_b32 v2, v35
	s_branch .LBB58_1
.LBB58_4:
	v_mov_b32_e32 v0, s15
	v_add_co_u32_e32 v2, vcc, s14, v3
	v_addc_co_u32_e32 v3, vcc, v0, v4, vcc
	global_store_dword v[2:3], v34, off
	v_add_co_u32_e32 v2, vcc, s14, v5
	v_addc_co_u32_e32 v3, vcc, v0, v6, vcc
	global_store_dword v[2:3], v33, off
	v_add_co_u32_e32 v2, vcc, s14, v7
	v_addc_co_u32_e32 v3, vcc, v0, v8, vcc
	global_store_dword v[2:3], v31, off
	v_add_co_u32_e32 v2, vcc, s14, v9
	v_addc_co_u32_e32 v3, vcc, v0, v10, vcc
	global_store_dword v[2:3], v29, off
	v_add_co_u32_e32 v2, vcc, s14, v11
	v_addc_co_u32_e32 v3, vcc, v0, v12, vcc
	global_store_dword v[2:3], v28, off
	v_add_co_u32_e32 v2, vcc, s14, v13
	v_addc_co_u32_e32 v3, vcc, v0, v14, vcc
	global_store_dword v[2:3], v27, off
	v_add_co_u32_e32 v2, vcc, s14, v15
	v_addc_co_u32_e32 v3, vcc, v0, v16, vcc
	global_store_dword v[2:3], v26, off
	v_add_co_u32_e32 v2, vcc, s14, v17
	v_addc_co_u32_e32 v3, vcc, v0, v18, vcc
	global_store_dword v[2:3], v25, off
	v_add_co_u32_e32 v2, vcc, s14, v19
	v_addc_co_u32_e32 v3, vcc, v0, v20, vcc
	global_store_dword v[2:3], v32, off
	v_add_co_u32_e32 v2, vcc, s14, v21
	v_addc_co_u32_e32 v3, vcc, v0, v22, vcc
	global_store_dword v[2:3], v30, off
	v_add_co_u32_e32 v2, vcc, s14, v23
	v_addc_co_u32_e32 v3, vcc, v0, v24, vcc
	global_store_dword v[2:3], v1, off
	s_endpgm
	.section	.rodata,"a",@progbits
	.p2align	6, 0x0
	.amdhsa_kernel _Z6kernelI14inclusive_scanILN6hipcub18BlockScanAlgorithmE0EEiLj64ELj11ELj100EEvPKT0_PS4_S4_
		.amdhsa_group_segment_fixed_size 4
		.amdhsa_private_segment_fixed_size 0
		.amdhsa_kernarg_size 280
		.amdhsa_user_sgpr_count 6
		.amdhsa_user_sgpr_private_segment_buffer 1
		.amdhsa_user_sgpr_dispatch_ptr 0
		.amdhsa_user_sgpr_queue_ptr 0
		.amdhsa_user_sgpr_kernarg_segment_ptr 1
		.amdhsa_user_sgpr_dispatch_id 0
		.amdhsa_user_sgpr_flat_scratch_init 0
		.amdhsa_user_sgpr_private_segment_size 0
		.amdhsa_uses_dynamic_stack 0
		.amdhsa_system_sgpr_private_segment_wavefront_offset 0
		.amdhsa_system_sgpr_workgroup_id_x 1
		.amdhsa_system_sgpr_workgroup_id_y 0
		.amdhsa_system_sgpr_workgroup_id_z 0
		.amdhsa_system_sgpr_workgroup_info 0
		.amdhsa_system_vgpr_workitem_id 0
		.amdhsa_next_free_vgpr 43
		.amdhsa_next_free_sgpr 19
		.amdhsa_reserve_vcc 1
		.amdhsa_reserve_flat_scratch 0
		.amdhsa_float_round_mode_32 0
		.amdhsa_float_round_mode_16_64 0
		.amdhsa_float_denorm_mode_32 3
		.amdhsa_float_denorm_mode_16_64 3
		.amdhsa_dx10_clamp 1
		.amdhsa_ieee_mode 1
		.amdhsa_fp16_overflow 0
		.amdhsa_exception_fp_ieee_invalid_op 0
		.amdhsa_exception_fp_denorm_src 0
		.amdhsa_exception_fp_ieee_div_zero 0
		.amdhsa_exception_fp_ieee_overflow 0
		.amdhsa_exception_fp_ieee_underflow 0
		.amdhsa_exception_fp_ieee_inexact 0
		.amdhsa_exception_int_div_zero 0
	.end_amdhsa_kernel
	.section	.text._Z6kernelI14inclusive_scanILN6hipcub18BlockScanAlgorithmE0EEiLj64ELj11ELj100EEvPKT0_PS4_S4_,"axG",@progbits,_Z6kernelI14inclusive_scanILN6hipcub18BlockScanAlgorithmE0EEiLj64ELj11ELj100EEvPKT0_PS4_S4_,comdat
.Lfunc_end58:
	.size	_Z6kernelI14inclusive_scanILN6hipcub18BlockScanAlgorithmE0EEiLj64ELj11ELj100EEvPKT0_PS4_S4_, .Lfunc_end58-_Z6kernelI14inclusive_scanILN6hipcub18BlockScanAlgorithmE0EEiLj64ELj11ELj100EEvPKT0_PS4_S4_
                                        ; -- End function
	.set _Z6kernelI14inclusive_scanILN6hipcub18BlockScanAlgorithmE0EEiLj64ELj11ELj100EEvPKT0_PS4_S4_.num_vgpr, 43
	.set _Z6kernelI14inclusive_scanILN6hipcub18BlockScanAlgorithmE0EEiLj64ELj11ELj100EEvPKT0_PS4_S4_.num_agpr, 0
	.set _Z6kernelI14inclusive_scanILN6hipcub18BlockScanAlgorithmE0EEiLj64ELj11ELj100EEvPKT0_PS4_S4_.numbered_sgpr, 19
	.set _Z6kernelI14inclusive_scanILN6hipcub18BlockScanAlgorithmE0EEiLj64ELj11ELj100EEvPKT0_PS4_S4_.num_named_barrier, 0
	.set _Z6kernelI14inclusive_scanILN6hipcub18BlockScanAlgorithmE0EEiLj64ELj11ELj100EEvPKT0_PS4_S4_.private_seg_size, 0
	.set _Z6kernelI14inclusive_scanILN6hipcub18BlockScanAlgorithmE0EEiLj64ELj11ELj100EEvPKT0_PS4_S4_.uses_vcc, 1
	.set _Z6kernelI14inclusive_scanILN6hipcub18BlockScanAlgorithmE0EEiLj64ELj11ELj100EEvPKT0_PS4_S4_.uses_flat_scratch, 0
	.set _Z6kernelI14inclusive_scanILN6hipcub18BlockScanAlgorithmE0EEiLj64ELj11ELj100EEvPKT0_PS4_S4_.has_dyn_sized_stack, 0
	.set _Z6kernelI14inclusive_scanILN6hipcub18BlockScanAlgorithmE0EEiLj64ELj11ELj100EEvPKT0_PS4_S4_.has_recursion, 0
	.set _Z6kernelI14inclusive_scanILN6hipcub18BlockScanAlgorithmE0EEiLj64ELj11ELj100EEvPKT0_PS4_S4_.has_indirect_call, 0
	.section	.AMDGPU.csdata,"",@progbits
; Kernel info:
; codeLenInByte = 1028
; TotalNumSgprs: 23
; NumVgprs: 43
; ScratchSize: 0
; MemoryBound: 0
; FloatMode: 240
; IeeeMode: 1
; LDSByteSize: 4 bytes/workgroup (compile time only)
; SGPRBlocks: 2
; VGPRBlocks: 10
; NumSGPRsForWavesPerEU: 23
; NumVGPRsForWavesPerEU: 43
; Occupancy: 5
; WaveLimiterHint : 0
; COMPUTE_PGM_RSRC2:SCRATCH_EN: 0
; COMPUTE_PGM_RSRC2:USER_SGPR: 6
; COMPUTE_PGM_RSRC2:TRAP_HANDLER: 0
; COMPUTE_PGM_RSRC2:TGID_X_EN: 1
; COMPUTE_PGM_RSRC2:TGID_Y_EN: 0
; COMPUTE_PGM_RSRC2:TGID_Z_EN: 0
; COMPUTE_PGM_RSRC2:TIDIG_COMP_CNT: 0
	.section	.text._Z6kernelI14inclusive_scanILN6hipcub18BlockScanAlgorithmE0EEiLj64ELj16ELj100EEvPKT0_PS4_S4_,"axG",@progbits,_Z6kernelI14inclusive_scanILN6hipcub18BlockScanAlgorithmE0EEiLj64ELj16ELj100EEvPKT0_PS4_S4_,comdat
	.protected	_Z6kernelI14inclusive_scanILN6hipcub18BlockScanAlgorithmE0EEiLj64ELj16ELj100EEvPKT0_PS4_S4_ ; -- Begin function _Z6kernelI14inclusive_scanILN6hipcub18BlockScanAlgorithmE0EEiLj64ELj16ELj100EEvPKT0_PS4_S4_
	.globl	_Z6kernelI14inclusive_scanILN6hipcub18BlockScanAlgorithmE0EEiLj64ELj16ELj100EEvPKT0_PS4_S4_
	.p2align	8
	.type	_Z6kernelI14inclusive_scanILN6hipcub18BlockScanAlgorithmE0EEiLj64ELj16ELj100EEvPKT0_PS4_S4_,@function
_Z6kernelI14inclusive_scanILN6hipcub18BlockScanAlgorithmE0EEiLj64ELj16ELj100EEvPKT0_PS4_S4_: ; @_Z6kernelI14inclusive_scanILN6hipcub18BlockScanAlgorithmE0EEiLj64ELj16ELj100EEvPKT0_PS4_S4_
; %bb.0:
	s_load_dword s0, s[4:5], 0x24
	s_load_dwordx4 s[12:15], s[4:5], 0x0
	v_mov_b32_e32 v17, 0
	v_mbcnt_lo_u32_b32 v9, -1, 0
	v_mbcnt_hi_u32_b32 v9, -1, v9
	s_waitcnt lgkmcnt(0)
	s_and_b32 s0, s0, 0xffff
	s_mul_i32 s6, s6, s0
	v_add_lshl_u32 v16, s6, v0, 4
	v_lshlrev_b64 v[18:19], 2, v[16:17]
	v_mov_b32_e32 v1, s13
	v_add_co_u32_e32 v21, vcc, s12, v18
	v_addc_co_u32_e32 v22, vcc, v1, v19, vcc
	v_and_b32_e32 v10, 15, v9
	v_cmp_eq_u32_e32 vcc, 0, v10
	v_cmp_lt_u32_e64 s[0:1], 1, v10
	v_cmp_lt_u32_e64 s[2:3], 3, v10
	;; [unrolled: 1-line block ×3, first 2 shown]
	v_and_b32_e32 v10, 16, v9
	v_cmp_eq_u32_e64 s[6:7], 0, v10
	v_add_u32_e32 v10, -1, v9
	v_and_b32_e32 v11, 64, v9
	v_cmp_lt_i32_e64 s[12:13], v10, v11
	v_cmp_lt_u32_e64 s[8:9], 31, v9
	v_cndmask_b32_e64 v9, v10, v9, s[12:13]
	global_load_dwordx4 v[5:8], v[21:22], off
	global_load_dwordx4 v[1:4], v[21:22], off offset:16
	v_lshlrev_b32_e32 v20, 2, v9
	global_load_dwordx4 v[13:16], v[21:22], off offset:32
	global_load_dwordx4 v[9:12], v[21:22], off offset:48
	v_cmp_eq_u32_e64 s[10:11], 63, v0
	v_cmp_eq_u32_e64 s[12:13], 0, v0
	s_movk_i32 s18, 0x64
	s_branch .LBB59_2
.LBB59_1:                               ;   in Loop: Header=BB59_2 Depth=1
	s_or_b64 exec, exec, s[16:17]
	ds_bpermute_b32 v0, v20, v0
	s_add_i32 s18, s18, -1
	s_cmp_lg_u32 s18, 0
	s_waitcnt lgkmcnt(0)
	; wave barrier
	v_cndmask_b32_e64 v0, v0, 0, s[12:13]
	v_add_u32_e32 v5, v0, v5
	v_add_u32_e32 v6, v5, v6
	;; [unrolled: 1-line block ×16, first 2 shown]
	s_cbranch_scc0 .LBB59_4
.LBB59_2:                               ; =>This Inner Loop Header: Depth=1
	s_waitcnt vmcnt(0)
	v_add_u32_e32 v0, v11, v12
	v_add3_u32 v0, v0, v10, v9
	v_add3_u32 v0, v0, v16, v15
	v_add3_u32 v0, v0, v14, v13
	v_add3_u32 v0, v0, v4, v3
	v_add3_u32 v0, v0, v2, v1
	v_add3_u32 v0, v0, v8, v7
	v_add3_u32 v0, v0, v6, v5
	s_nop 1
	v_mov_b32_dpp v21, v0 row_shr:1 row_mask:0xf bank_mask:0xf
	v_cndmask_b32_e64 v21, v21, 0, vcc
	v_add_u32_e32 v0, v0, v21
	s_nop 1
	v_mov_b32_dpp v21, v0 row_shr:2 row_mask:0xf bank_mask:0xf
	v_cndmask_b32_e64 v21, 0, v21, s[0:1]
	v_add_u32_e32 v0, v0, v21
	s_nop 1
	v_mov_b32_dpp v21, v0 row_shr:4 row_mask:0xf bank_mask:0xf
	v_cndmask_b32_e64 v21, 0, v21, s[2:3]
	;; [unrolled: 4-line block ×3, first 2 shown]
	v_add_u32_e32 v0, v0, v21
	s_nop 1
	v_mov_b32_dpp v21, v0 row_bcast:15 row_mask:0xf bank_mask:0xf
	v_cndmask_b32_e64 v21, v21, 0, s[6:7]
	v_add_u32_e32 v0, v0, v21
	s_nop 1
	v_mov_b32_dpp v21, v0 row_bcast:31 row_mask:0xf bank_mask:0xf
	v_cndmask_b32_e64 v21, 0, v21, s[8:9]
	v_add_u32_e32 v0, v0, v21
	s_and_saveexec_b64 s[16:17], s[10:11]
	s_cbranch_execz .LBB59_1
; %bb.3:                                ;   in Loop: Header=BB59_2 Depth=1
	ds_write_b32 v17, v0
	s_branch .LBB59_1
.LBB59_4:
	v_mov_b32_e32 v0, s15
	v_add_co_u32_e32 v17, vcc, s14, v18
	v_addc_co_u32_e32 v18, vcc, v0, v19, vcc
	global_store_dwordx4 v[17:18], v[5:8], off
	global_store_dwordx4 v[17:18], v[1:4], off offset:16
	global_store_dwordx4 v[17:18], v[13:16], off offset:32
	;; [unrolled: 1-line block ×3, first 2 shown]
	s_endpgm
	.section	.rodata,"a",@progbits
	.p2align	6, 0x0
	.amdhsa_kernel _Z6kernelI14inclusive_scanILN6hipcub18BlockScanAlgorithmE0EEiLj64ELj16ELj100EEvPKT0_PS4_S4_
		.amdhsa_group_segment_fixed_size 4
		.amdhsa_private_segment_fixed_size 0
		.amdhsa_kernarg_size 280
		.amdhsa_user_sgpr_count 6
		.amdhsa_user_sgpr_private_segment_buffer 1
		.amdhsa_user_sgpr_dispatch_ptr 0
		.amdhsa_user_sgpr_queue_ptr 0
		.amdhsa_user_sgpr_kernarg_segment_ptr 1
		.amdhsa_user_sgpr_dispatch_id 0
		.amdhsa_user_sgpr_flat_scratch_init 0
		.amdhsa_user_sgpr_private_segment_size 0
		.amdhsa_uses_dynamic_stack 0
		.amdhsa_system_sgpr_private_segment_wavefront_offset 0
		.amdhsa_system_sgpr_workgroup_id_x 1
		.amdhsa_system_sgpr_workgroup_id_y 0
		.amdhsa_system_sgpr_workgroup_id_z 0
		.amdhsa_system_sgpr_workgroup_info 0
		.amdhsa_system_vgpr_workitem_id 0
		.amdhsa_next_free_vgpr 23
		.amdhsa_next_free_sgpr 19
		.amdhsa_reserve_vcc 1
		.amdhsa_reserve_flat_scratch 0
		.amdhsa_float_round_mode_32 0
		.amdhsa_float_round_mode_16_64 0
		.amdhsa_float_denorm_mode_32 3
		.amdhsa_float_denorm_mode_16_64 3
		.amdhsa_dx10_clamp 1
		.amdhsa_ieee_mode 1
		.amdhsa_fp16_overflow 0
		.amdhsa_exception_fp_ieee_invalid_op 0
		.amdhsa_exception_fp_denorm_src 0
		.amdhsa_exception_fp_ieee_div_zero 0
		.amdhsa_exception_fp_ieee_overflow 0
		.amdhsa_exception_fp_ieee_underflow 0
		.amdhsa_exception_fp_ieee_inexact 0
		.amdhsa_exception_int_div_zero 0
	.end_amdhsa_kernel
	.section	.text._Z6kernelI14inclusive_scanILN6hipcub18BlockScanAlgorithmE0EEiLj64ELj16ELj100EEvPKT0_PS4_S4_,"axG",@progbits,_Z6kernelI14inclusive_scanILN6hipcub18BlockScanAlgorithmE0EEiLj64ELj16ELj100EEvPKT0_PS4_S4_,comdat
.Lfunc_end59:
	.size	_Z6kernelI14inclusive_scanILN6hipcub18BlockScanAlgorithmE0EEiLj64ELj16ELj100EEvPKT0_PS4_S4_, .Lfunc_end59-_Z6kernelI14inclusive_scanILN6hipcub18BlockScanAlgorithmE0EEiLj64ELj16ELj100EEvPKT0_PS4_S4_
                                        ; -- End function
	.set _Z6kernelI14inclusive_scanILN6hipcub18BlockScanAlgorithmE0EEiLj64ELj16ELj100EEvPKT0_PS4_S4_.num_vgpr, 23
	.set _Z6kernelI14inclusive_scanILN6hipcub18BlockScanAlgorithmE0EEiLj64ELj16ELj100EEvPKT0_PS4_S4_.num_agpr, 0
	.set _Z6kernelI14inclusive_scanILN6hipcub18BlockScanAlgorithmE0EEiLj64ELj16ELj100EEvPKT0_PS4_S4_.numbered_sgpr, 19
	.set _Z6kernelI14inclusive_scanILN6hipcub18BlockScanAlgorithmE0EEiLj64ELj16ELj100EEvPKT0_PS4_S4_.num_named_barrier, 0
	.set _Z6kernelI14inclusive_scanILN6hipcub18BlockScanAlgorithmE0EEiLj64ELj16ELj100EEvPKT0_PS4_S4_.private_seg_size, 0
	.set _Z6kernelI14inclusive_scanILN6hipcub18BlockScanAlgorithmE0EEiLj64ELj16ELj100EEvPKT0_PS4_S4_.uses_vcc, 1
	.set _Z6kernelI14inclusive_scanILN6hipcub18BlockScanAlgorithmE0EEiLj64ELj16ELj100EEvPKT0_PS4_S4_.uses_flat_scratch, 0
	.set _Z6kernelI14inclusive_scanILN6hipcub18BlockScanAlgorithmE0EEiLj64ELj16ELj100EEvPKT0_PS4_S4_.has_dyn_sized_stack, 0
	.set _Z6kernelI14inclusive_scanILN6hipcub18BlockScanAlgorithmE0EEiLj64ELj16ELj100EEvPKT0_PS4_S4_.has_recursion, 0
	.set _Z6kernelI14inclusive_scanILN6hipcub18BlockScanAlgorithmE0EEiLj64ELj16ELj100EEvPKT0_PS4_S4_.has_indirect_call, 0
	.section	.AMDGPU.csdata,"",@progbits
; Kernel info:
; codeLenInByte = 592
; TotalNumSgprs: 23
; NumVgprs: 23
; ScratchSize: 0
; MemoryBound: 0
; FloatMode: 240
; IeeeMode: 1
; LDSByteSize: 4 bytes/workgroup (compile time only)
; SGPRBlocks: 2
; VGPRBlocks: 5
; NumSGPRsForWavesPerEU: 23
; NumVGPRsForWavesPerEU: 23
; Occupancy: 10
; WaveLimiterHint : 0
; COMPUTE_PGM_RSRC2:SCRATCH_EN: 0
; COMPUTE_PGM_RSRC2:USER_SGPR: 6
; COMPUTE_PGM_RSRC2:TRAP_HANDLER: 0
; COMPUTE_PGM_RSRC2:TGID_X_EN: 1
; COMPUTE_PGM_RSRC2:TGID_Y_EN: 0
; COMPUTE_PGM_RSRC2:TGID_Z_EN: 0
; COMPUTE_PGM_RSRC2:TIDIG_COMP_CNT: 0
	.section	.text._Z6kernelI14inclusive_scanILN6hipcub18BlockScanAlgorithmE0EEfLj64ELj1ELj100EEvPKT0_PS4_S4_,"axG",@progbits,_Z6kernelI14inclusive_scanILN6hipcub18BlockScanAlgorithmE0EEfLj64ELj1ELj100EEvPKT0_PS4_S4_,comdat
	.protected	_Z6kernelI14inclusive_scanILN6hipcub18BlockScanAlgorithmE0EEfLj64ELj1ELj100EEvPKT0_PS4_S4_ ; -- Begin function _Z6kernelI14inclusive_scanILN6hipcub18BlockScanAlgorithmE0EEfLj64ELj1ELj100EEvPKT0_PS4_S4_
	.globl	_Z6kernelI14inclusive_scanILN6hipcub18BlockScanAlgorithmE0EEfLj64ELj1ELj100EEvPKT0_PS4_S4_
	.p2align	8
	.type	_Z6kernelI14inclusive_scanILN6hipcub18BlockScanAlgorithmE0EEfLj64ELj1ELj100EEvPKT0_PS4_S4_,@function
_Z6kernelI14inclusive_scanILN6hipcub18BlockScanAlgorithmE0EEfLj64ELj1ELj100EEvPKT0_PS4_S4_: ; @_Z6kernelI14inclusive_scanILN6hipcub18BlockScanAlgorithmE0EEfLj64ELj1ELj100EEvPKT0_PS4_S4_
; %bb.0:
	s_load_dword s0, s[4:5], 0x24
	s_load_dwordx4 s[12:15], s[4:5], 0x0
	v_mov_b32_e32 v2, 0
	v_cmp_eq_u32_e64 s[10:11], 63, v0
	s_movk_i32 s16, 0x64
	s_waitcnt lgkmcnt(0)
	s_and_b32 s0, s0, 0xffff
	s_mul_i32 s6, s6, s0
	v_add_u32_e32 v1, s6, v0
	v_lshlrev_b64 v[3:4], 2, v[1:2]
	v_mov_b32_e32 v1, s13
	v_add_co_u32_e32 v5, vcc, s12, v3
	v_addc_co_u32_e32 v6, vcc, v1, v4, vcc
	global_load_dword v1, v[5:6], off
	v_mbcnt_lo_u32_b32 v5, -1, 0
	v_mbcnt_hi_u32_b32 v5, -1, v5
	v_and_b32_e32 v6, 15, v5
	v_cmp_eq_u32_e32 vcc, 0, v6
	v_cmp_lt_u32_e64 s[0:1], 1, v6
	v_cmp_lt_u32_e64 s[2:3], 3, v6
	v_cmp_lt_u32_e64 s[4:5], 7, v6
	v_and_b32_e32 v6, 16, v5
	v_cmp_eq_u32_e64 s[6:7], 0, v6
	v_cmp_lt_u32_e64 s[8:9], 31, v5
	s_branch .LBB60_2
.LBB60_1:                               ;   in Loop: Header=BB60_2 Depth=1
	s_or_b64 exec, exec, s[12:13]
	s_add_i32 s16, s16, -1
	s_cmp_lg_u32 s16, 0
	s_waitcnt lgkmcnt(0)
	; wave barrier
	s_cbranch_scc0 .LBB60_4
.LBB60_2:                               ; =>This Inner Loop Header: Depth=1
	s_waitcnt vmcnt(0)
	v_mov_b32_dpp v0, v1 row_shr:1 row_mask:0xf bank_mask:0xf
	v_add_f32_e32 v0, v1, v0
	v_cndmask_b32_e32 v0, v0, v1, vcc
	s_nop 1
	v_mov_b32_dpp v1, v0 row_shr:2 row_mask:0xf bank_mask:0xf
	v_add_f32_e32 v1, v0, v1
	v_cndmask_b32_e64 v0, v0, v1, s[0:1]
	s_nop 1
	v_mov_b32_dpp v1, v0 row_shr:4 row_mask:0xf bank_mask:0xf
	v_add_f32_e32 v1, v0, v1
	v_cndmask_b32_e64 v0, v0, v1, s[2:3]
	;; [unrolled: 4-line block ×3, first 2 shown]
	s_nop 1
	v_mov_b32_dpp v1, v0 row_bcast:15 row_mask:0xf bank_mask:0xf
	v_add_f32_e32 v1, v0, v1
	v_cndmask_b32_e64 v0, v1, v0, s[6:7]
	s_nop 1
	v_mov_b32_dpp v1, v0 row_bcast:31 row_mask:0xf bank_mask:0xf
	v_add_f32_e32 v1, v0, v1
	v_cndmask_b32_e64 v1, v0, v1, s[8:9]
	s_and_saveexec_b64 s[12:13], s[10:11]
	s_cbranch_execz .LBB60_1
; %bb.3:                                ;   in Loop: Header=BB60_2 Depth=1
	ds_write_b32 v2, v1
	s_branch .LBB60_1
.LBB60_4:
	v_mov_b32_e32 v0, s15
	v_add_co_u32_e32 v2, vcc, s14, v3
	v_addc_co_u32_e32 v3, vcc, v0, v4, vcc
	global_store_dword v[2:3], v1, off
	s_endpgm
	.section	.rodata,"a",@progbits
	.p2align	6, 0x0
	.amdhsa_kernel _Z6kernelI14inclusive_scanILN6hipcub18BlockScanAlgorithmE0EEfLj64ELj1ELj100EEvPKT0_PS4_S4_
		.amdhsa_group_segment_fixed_size 4
		.amdhsa_private_segment_fixed_size 0
		.amdhsa_kernarg_size 280
		.amdhsa_user_sgpr_count 6
		.amdhsa_user_sgpr_private_segment_buffer 1
		.amdhsa_user_sgpr_dispatch_ptr 0
		.amdhsa_user_sgpr_queue_ptr 0
		.amdhsa_user_sgpr_kernarg_segment_ptr 1
		.amdhsa_user_sgpr_dispatch_id 0
		.amdhsa_user_sgpr_flat_scratch_init 0
		.amdhsa_user_sgpr_private_segment_size 0
		.amdhsa_uses_dynamic_stack 0
		.amdhsa_system_sgpr_private_segment_wavefront_offset 0
		.amdhsa_system_sgpr_workgroup_id_x 1
		.amdhsa_system_sgpr_workgroup_id_y 0
		.amdhsa_system_sgpr_workgroup_id_z 0
		.amdhsa_system_sgpr_workgroup_info 0
		.amdhsa_system_vgpr_workitem_id 0
		.amdhsa_next_free_vgpr 7
		.amdhsa_next_free_sgpr 17
		.amdhsa_reserve_vcc 1
		.amdhsa_reserve_flat_scratch 0
		.amdhsa_float_round_mode_32 0
		.amdhsa_float_round_mode_16_64 0
		.amdhsa_float_denorm_mode_32 3
		.amdhsa_float_denorm_mode_16_64 3
		.amdhsa_dx10_clamp 1
		.amdhsa_ieee_mode 1
		.amdhsa_fp16_overflow 0
		.amdhsa_exception_fp_ieee_invalid_op 0
		.amdhsa_exception_fp_denorm_src 0
		.amdhsa_exception_fp_ieee_div_zero 0
		.amdhsa_exception_fp_ieee_overflow 0
		.amdhsa_exception_fp_ieee_underflow 0
		.amdhsa_exception_fp_ieee_inexact 0
		.amdhsa_exception_int_div_zero 0
	.end_amdhsa_kernel
	.section	.text._Z6kernelI14inclusive_scanILN6hipcub18BlockScanAlgorithmE0EEfLj64ELj1ELj100EEvPKT0_PS4_S4_,"axG",@progbits,_Z6kernelI14inclusive_scanILN6hipcub18BlockScanAlgorithmE0EEfLj64ELj1ELj100EEvPKT0_PS4_S4_,comdat
.Lfunc_end60:
	.size	_Z6kernelI14inclusive_scanILN6hipcub18BlockScanAlgorithmE0EEfLj64ELj1ELj100EEvPKT0_PS4_S4_, .Lfunc_end60-_Z6kernelI14inclusive_scanILN6hipcub18BlockScanAlgorithmE0EEfLj64ELj1ELj100EEvPKT0_PS4_S4_
                                        ; -- End function
	.set _Z6kernelI14inclusive_scanILN6hipcub18BlockScanAlgorithmE0EEfLj64ELj1ELj100EEvPKT0_PS4_S4_.num_vgpr, 7
	.set _Z6kernelI14inclusive_scanILN6hipcub18BlockScanAlgorithmE0EEfLj64ELj1ELj100EEvPKT0_PS4_S4_.num_agpr, 0
	.set _Z6kernelI14inclusive_scanILN6hipcub18BlockScanAlgorithmE0EEfLj64ELj1ELj100EEvPKT0_PS4_S4_.numbered_sgpr, 17
	.set _Z6kernelI14inclusive_scanILN6hipcub18BlockScanAlgorithmE0EEfLj64ELj1ELj100EEvPKT0_PS4_S4_.num_named_barrier, 0
	.set _Z6kernelI14inclusive_scanILN6hipcub18BlockScanAlgorithmE0EEfLj64ELj1ELj100EEvPKT0_PS4_S4_.private_seg_size, 0
	.set _Z6kernelI14inclusive_scanILN6hipcub18BlockScanAlgorithmE0EEfLj64ELj1ELj100EEvPKT0_PS4_S4_.uses_vcc, 1
	.set _Z6kernelI14inclusive_scanILN6hipcub18BlockScanAlgorithmE0EEfLj64ELj1ELj100EEvPKT0_PS4_S4_.uses_flat_scratch, 0
	.set _Z6kernelI14inclusive_scanILN6hipcub18BlockScanAlgorithmE0EEfLj64ELj1ELj100EEvPKT0_PS4_S4_.has_dyn_sized_stack, 0
	.set _Z6kernelI14inclusive_scanILN6hipcub18BlockScanAlgorithmE0EEfLj64ELj1ELj100EEvPKT0_PS4_S4_.has_recursion, 0
	.set _Z6kernelI14inclusive_scanILN6hipcub18BlockScanAlgorithmE0EEfLj64ELj1ELj100EEvPKT0_PS4_S4_.has_indirect_call, 0
	.section	.AMDGPU.csdata,"",@progbits
; Kernel info:
; codeLenInByte = 356
; TotalNumSgprs: 21
; NumVgprs: 7
; ScratchSize: 0
; MemoryBound: 0
; FloatMode: 240
; IeeeMode: 1
; LDSByteSize: 4 bytes/workgroup (compile time only)
; SGPRBlocks: 2
; VGPRBlocks: 1
; NumSGPRsForWavesPerEU: 21
; NumVGPRsForWavesPerEU: 7
; Occupancy: 10
; WaveLimiterHint : 0
; COMPUTE_PGM_RSRC2:SCRATCH_EN: 0
; COMPUTE_PGM_RSRC2:USER_SGPR: 6
; COMPUTE_PGM_RSRC2:TRAP_HANDLER: 0
; COMPUTE_PGM_RSRC2:TGID_X_EN: 1
; COMPUTE_PGM_RSRC2:TGID_Y_EN: 0
; COMPUTE_PGM_RSRC2:TGID_Z_EN: 0
; COMPUTE_PGM_RSRC2:TIDIG_COMP_CNT: 0
	.section	.text._Z6kernelI14inclusive_scanILN6hipcub18BlockScanAlgorithmE0EEfLj64ELj3ELj100EEvPKT0_PS4_S4_,"axG",@progbits,_Z6kernelI14inclusive_scanILN6hipcub18BlockScanAlgorithmE0EEfLj64ELj3ELj100EEvPKT0_PS4_S4_,comdat
	.protected	_Z6kernelI14inclusive_scanILN6hipcub18BlockScanAlgorithmE0EEfLj64ELj3ELj100EEvPKT0_PS4_S4_ ; -- Begin function _Z6kernelI14inclusive_scanILN6hipcub18BlockScanAlgorithmE0EEfLj64ELj3ELj100EEvPKT0_PS4_S4_
	.globl	_Z6kernelI14inclusive_scanILN6hipcub18BlockScanAlgorithmE0EEfLj64ELj3ELj100EEvPKT0_PS4_S4_
	.p2align	8
	.type	_Z6kernelI14inclusive_scanILN6hipcub18BlockScanAlgorithmE0EEfLj64ELj3ELj100EEvPKT0_PS4_S4_,@function
_Z6kernelI14inclusive_scanILN6hipcub18BlockScanAlgorithmE0EEfLj64ELj3ELj100EEvPKT0_PS4_S4_: ; @_Z6kernelI14inclusive_scanILN6hipcub18BlockScanAlgorithmE0EEfLj64ELj3ELj100EEvPKT0_PS4_S4_
; %bb.0:
	s_load_dword s0, s[4:5], 0x24
	s_load_dwordx4 s[12:15], s[4:5], 0x0
	v_mov_b32_e32 v2, 0
	v_mov_b32_e32 v6, v2
	v_cmp_eq_u32_e64 s[10:11], 63, v0
	s_waitcnt lgkmcnt(0)
	s_and_b32 s0, s0, 0xffff
	s_mul_i32 s6, s6, s0
	v_add_u32_e32 v1, s6, v0
	v_lshl_add_u32 v1, v1, 1, v1
	v_lshlrev_b64 v[3:4], 2, v[1:2]
	v_mov_b32_e32 v5, s13
	v_add_co_u32_e32 v11, vcc, s12, v3
	v_addc_co_u32_e32 v12, vcc, v5, v4, vcc
	v_add_u32_e32 v5, 1, v1
	v_lshlrev_b64 v[5:6], 2, v[5:6]
	v_mov_b32_e32 v7, s13
	v_add_co_u32_e32 v13, vcc, s12, v5
	v_add_u32_e32 v1, 2, v1
	v_addc_co_u32_e32 v14, vcc, v7, v6, vcc
	v_lshlrev_b64 v[7:8], 2, v[1:2]
	v_mov_b32_e32 v1, s13
	v_add_co_u32_e32 v15, vcc, s12, v7
	v_addc_co_u32_e32 v16, vcc, v1, v8, vcc
	global_load_dword v10, v[11:12], off
	global_load_dword v9, v[13:14], off
	;; [unrolled: 1-line block ×3, first 2 shown]
	v_mbcnt_lo_u32_b32 v11, -1, 0
	v_mbcnt_hi_u32_b32 v11, -1, v11
	v_and_b32_e32 v12, 15, v11
	v_cmp_eq_u32_e32 vcc, 0, v12
	v_cmp_lt_u32_e64 s[0:1], 1, v12
	v_cmp_lt_u32_e64 s[2:3], 3, v12
	;; [unrolled: 1-line block ×3, first 2 shown]
	v_and_b32_e32 v12, 16, v11
	v_cmp_eq_u32_e64 s[6:7], 0, v12
	v_add_u32_e32 v12, -1, v11
	v_and_b32_e32 v13, 64, v11
	v_cmp_lt_i32_e64 s[12:13], v12, v13
	v_cmp_lt_u32_e64 s[8:9], 31, v11
	v_cndmask_b32_e64 v11, v12, v11, s[12:13]
	v_lshlrev_b32_e32 v11, 2, v11
	v_cmp_eq_u32_e64 s[12:13], 0, v0
	s_movk_i32 s18, 0x64
	s_branch .LBB61_2
.LBB61_1:                               ;   in Loop: Header=BB61_2 Depth=1
	s_or_b64 exec, exec, s[16:17]
	ds_bpermute_b32 v0, v11, v0
	s_add_i32 s18, s18, -1
	s_cmp_lg_u32 s18, 0
	s_waitcnt lgkmcnt(0)
	; wave barrier
	v_add_f32_e32 v0, v10, v0
	v_cndmask_b32_e64 v10, v0, v10, s[12:13]
	v_add_f32_e32 v9, v9, v10
	v_add_f32_e32 v1, v1, v9
	s_cbranch_scc0 .LBB61_4
.LBB61_2:                               ; =>This Inner Loop Header: Depth=1
	s_waitcnt vmcnt(1)
	v_add_f32_e32 v0, v10, v9
	s_waitcnt vmcnt(0)
	v_add_f32_e32 v0, v1, v0
	s_nop 1
	v_mov_b32_dpp v12, v0 row_shr:1 row_mask:0xf bank_mask:0xf
	v_add_f32_e32 v12, v0, v12
	v_cndmask_b32_e32 v0, v12, v0, vcc
	s_nop 1
	v_mov_b32_dpp v12, v0 row_shr:2 row_mask:0xf bank_mask:0xf
	v_add_f32_e32 v12, v0, v12
	v_cndmask_b32_e64 v0, v0, v12, s[0:1]
	s_nop 1
	v_mov_b32_dpp v12, v0 row_shr:4 row_mask:0xf bank_mask:0xf
	v_add_f32_e32 v12, v0, v12
	v_cndmask_b32_e64 v0, v0, v12, s[2:3]
	;; [unrolled: 4-line block ×3, first 2 shown]
	s_nop 1
	v_mov_b32_dpp v12, v0 row_bcast:15 row_mask:0xf bank_mask:0xf
	v_add_f32_e32 v12, v0, v12
	v_cndmask_b32_e64 v0, v12, v0, s[6:7]
	s_nop 1
	v_mov_b32_dpp v12, v0 row_bcast:31 row_mask:0xf bank_mask:0xf
	v_add_f32_e32 v12, v0, v12
	v_cndmask_b32_e64 v0, v0, v12, s[8:9]
	s_and_saveexec_b64 s[16:17], s[10:11]
	s_cbranch_execz .LBB61_1
; %bb.3:                                ;   in Loop: Header=BB61_2 Depth=1
	ds_write_b32 v2, v0
	s_branch .LBB61_1
.LBB61_4:
	v_mov_b32_e32 v0, s15
	v_add_co_u32_e32 v2, vcc, s14, v3
	v_addc_co_u32_e32 v3, vcc, v0, v4, vcc
	global_store_dword v[2:3], v10, off
	v_add_co_u32_e32 v2, vcc, s14, v5
	v_addc_co_u32_e32 v3, vcc, v0, v6, vcc
	global_store_dword v[2:3], v9, off
	;; [unrolled: 3-line block ×3, first 2 shown]
	s_endpgm
	.section	.rodata,"a",@progbits
	.p2align	6, 0x0
	.amdhsa_kernel _Z6kernelI14inclusive_scanILN6hipcub18BlockScanAlgorithmE0EEfLj64ELj3ELj100EEvPKT0_PS4_S4_
		.amdhsa_group_segment_fixed_size 4
		.amdhsa_private_segment_fixed_size 0
		.amdhsa_kernarg_size 280
		.amdhsa_user_sgpr_count 6
		.amdhsa_user_sgpr_private_segment_buffer 1
		.amdhsa_user_sgpr_dispatch_ptr 0
		.amdhsa_user_sgpr_queue_ptr 0
		.amdhsa_user_sgpr_kernarg_segment_ptr 1
		.amdhsa_user_sgpr_dispatch_id 0
		.amdhsa_user_sgpr_flat_scratch_init 0
		.amdhsa_user_sgpr_private_segment_size 0
		.amdhsa_uses_dynamic_stack 0
		.amdhsa_system_sgpr_private_segment_wavefront_offset 0
		.amdhsa_system_sgpr_workgroup_id_x 1
		.amdhsa_system_sgpr_workgroup_id_y 0
		.amdhsa_system_sgpr_workgroup_id_z 0
		.amdhsa_system_sgpr_workgroup_info 0
		.amdhsa_system_vgpr_workitem_id 0
		.amdhsa_next_free_vgpr 17
		.amdhsa_next_free_sgpr 19
		.amdhsa_reserve_vcc 1
		.amdhsa_reserve_flat_scratch 0
		.amdhsa_float_round_mode_32 0
		.amdhsa_float_round_mode_16_64 0
		.amdhsa_float_denorm_mode_32 3
		.amdhsa_float_denorm_mode_16_64 3
		.amdhsa_dx10_clamp 1
		.amdhsa_ieee_mode 1
		.amdhsa_fp16_overflow 0
		.amdhsa_exception_fp_ieee_invalid_op 0
		.amdhsa_exception_fp_denorm_src 0
		.amdhsa_exception_fp_ieee_div_zero 0
		.amdhsa_exception_fp_ieee_overflow 0
		.amdhsa_exception_fp_ieee_underflow 0
		.amdhsa_exception_fp_ieee_inexact 0
		.amdhsa_exception_int_div_zero 0
	.end_amdhsa_kernel
	.section	.text._Z6kernelI14inclusive_scanILN6hipcub18BlockScanAlgorithmE0EEfLj64ELj3ELj100EEvPKT0_PS4_S4_,"axG",@progbits,_Z6kernelI14inclusive_scanILN6hipcub18BlockScanAlgorithmE0EEfLj64ELj3ELj100EEvPKT0_PS4_S4_,comdat
.Lfunc_end61:
	.size	_Z6kernelI14inclusive_scanILN6hipcub18BlockScanAlgorithmE0EEfLj64ELj3ELj100EEvPKT0_PS4_S4_, .Lfunc_end61-_Z6kernelI14inclusive_scanILN6hipcub18BlockScanAlgorithmE0EEfLj64ELj3ELj100EEvPKT0_PS4_S4_
                                        ; -- End function
	.set _Z6kernelI14inclusive_scanILN6hipcub18BlockScanAlgorithmE0EEfLj64ELj3ELj100EEvPKT0_PS4_S4_.num_vgpr, 17
	.set _Z6kernelI14inclusive_scanILN6hipcub18BlockScanAlgorithmE0EEfLj64ELj3ELj100EEvPKT0_PS4_S4_.num_agpr, 0
	.set _Z6kernelI14inclusive_scanILN6hipcub18BlockScanAlgorithmE0EEfLj64ELj3ELj100EEvPKT0_PS4_S4_.numbered_sgpr, 19
	.set _Z6kernelI14inclusive_scanILN6hipcub18BlockScanAlgorithmE0EEfLj64ELj3ELj100EEvPKT0_PS4_S4_.num_named_barrier, 0
	.set _Z6kernelI14inclusive_scanILN6hipcub18BlockScanAlgorithmE0EEfLj64ELj3ELj100EEvPKT0_PS4_S4_.private_seg_size, 0
	.set _Z6kernelI14inclusive_scanILN6hipcub18BlockScanAlgorithmE0EEfLj64ELj3ELj100EEvPKT0_PS4_S4_.uses_vcc, 1
	.set _Z6kernelI14inclusive_scanILN6hipcub18BlockScanAlgorithmE0EEfLj64ELj3ELj100EEvPKT0_PS4_S4_.uses_flat_scratch, 0
	.set _Z6kernelI14inclusive_scanILN6hipcub18BlockScanAlgorithmE0EEfLj64ELj3ELj100EEvPKT0_PS4_S4_.has_dyn_sized_stack, 0
	.set _Z6kernelI14inclusive_scanILN6hipcub18BlockScanAlgorithmE0EEfLj64ELj3ELj100EEvPKT0_PS4_S4_.has_recursion, 0
	.set _Z6kernelI14inclusive_scanILN6hipcub18BlockScanAlgorithmE0EEfLj64ELj3ELj100EEvPKT0_PS4_S4_.has_indirect_call, 0
	.section	.AMDGPU.csdata,"",@progbits
; Kernel info:
; codeLenInByte = 544
; TotalNumSgprs: 23
; NumVgprs: 17
; ScratchSize: 0
; MemoryBound: 0
; FloatMode: 240
; IeeeMode: 1
; LDSByteSize: 4 bytes/workgroup (compile time only)
; SGPRBlocks: 2
; VGPRBlocks: 4
; NumSGPRsForWavesPerEU: 23
; NumVGPRsForWavesPerEU: 17
; Occupancy: 10
; WaveLimiterHint : 0
; COMPUTE_PGM_RSRC2:SCRATCH_EN: 0
; COMPUTE_PGM_RSRC2:USER_SGPR: 6
; COMPUTE_PGM_RSRC2:TRAP_HANDLER: 0
; COMPUTE_PGM_RSRC2:TGID_X_EN: 1
; COMPUTE_PGM_RSRC2:TGID_Y_EN: 0
; COMPUTE_PGM_RSRC2:TGID_Z_EN: 0
; COMPUTE_PGM_RSRC2:TIDIG_COMP_CNT: 0
	.section	.text._Z6kernelI14inclusive_scanILN6hipcub18BlockScanAlgorithmE0EEfLj64ELj4ELj100EEvPKT0_PS4_S4_,"axG",@progbits,_Z6kernelI14inclusive_scanILN6hipcub18BlockScanAlgorithmE0EEfLj64ELj4ELj100EEvPKT0_PS4_S4_,comdat
	.protected	_Z6kernelI14inclusive_scanILN6hipcub18BlockScanAlgorithmE0EEfLj64ELj4ELj100EEvPKT0_PS4_S4_ ; -- Begin function _Z6kernelI14inclusive_scanILN6hipcub18BlockScanAlgorithmE0EEfLj64ELj4ELj100EEvPKT0_PS4_S4_
	.globl	_Z6kernelI14inclusive_scanILN6hipcub18BlockScanAlgorithmE0EEfLj64ELj4ELj100EEvPKT0_PS4_S4_
	.p2align	8
	.type	_Z6kernelI14inclusive_scanILN6hipcub18BlockScanAlgorithmE0EEfLj64ELj4ELj100EEvPKT0_PS4_S4_,@function
_Z6kernelI14inclusive_scanILN6hipcub18BlockScanAlgorithmE0EEfLj64ELj4ELj100EEvPKT0_PS4_S4_: ; @_Z6kernelI14inclusive_scanILN6hipcub18BlockScanAlgorithmE0EEfLj64ELj4ELj100EEvPKT0_PS4_S4_
; %bb.0:
	s_load_dword s0, s[4:5], 0x24
	s_load_dwordx4 s[12:15], s[4:5], 0x0
	v_mov_b32_e32 v5, 0
	v_mbcnt_lo_u32_b32 v8, -1, 0
	v_mbcnt_hi_u32_b32 v8, -1, v8
	s_waitcnt lgkmcnt(0)
	s_and_b32 s0, s0, 0xffff
	s_mul_i32 s6, s6, s0
	v_add_lshl_u32 v4, s6, v0, 2
	v_lshlrev_b64 v[6:7], 2, v[4:5]
	v_mov_b32_e32 v2, s13
	v_add_co_u32_e32 v1, vcc, s12, v6
	v_addc_co_u32_e32 v2, vcc, v2, v7, vcc
	global_load_dwordx4 v[1:4], v[1:2], off
	v_and_b32_e32 v9, 15, v8
	v_cmp_eq_u32_e32 vcc, 0, v9
	v_cmp_lt_u32_e64 s[0:1], 1, v9
	v_cmp_lt_u32_e64 s[2:3], 3, v9
	;; [unrolled: 1-line block ×3, first 2 shown]
	v_and_b32_e32 v9, 16, v8
	v_cmp_eq_u32_e64 s[6:7], 0, v9
	v_add_u32_e32 v9, -1, v8
	v_and_b32_e32 v10, 64, v8
	v_cmp_lt_i32_e64 s[12:13], v9, v10
	v_cmp_lt_u32_e64 s[8:9], 31, v8
	v_cndmask_b32_e64 v8, v9, v8, s[12:13]
	v_cmp_eq_u32_e64 s[10:11], 63, v0
	v_lshlrev_b32_e32 v8, 2, v8
	v_cmp_eq_u32_e64 s[12:13], 0, v0
	s_movk_i32 s18, 0x64
	s_branch .LBB62_2
.LBB62_1:                               ;   in Loop: Header=BB62_2 Depth=1
	s_or_b64 exec, exec, s[16:17]
	ds_bpermute_b32 v0, v8, v0
	s_add_i32 s18, s18, -1
	s_cmp_lg_u32 s18, 0
	s_waitcnt lgkmcnt(0)
	; wave barrier
	v_add_f32_e32 v0, v1, v0
	v_cndmask_b32_e64 v1, v0, v1, s[12:13]
	v_add_f32_e32 v2, v2, v1
	v_add_f32_e32 v3, v3, v2
	;; [unrolled: 1-line block ×3, first 2 shown]
	s_cbranch_scc0 .LBB62_4
.LBB62_2:                               ; =>This Inner Loop Header: Depth=1
	s_waitcnt vmcnt(0)
	v_add_f32_e32 v0, v1, v2
	v_add_f32_e32 v0, v3, v0
	;; [unrolled: 1-line block ×3, first 2 shown]
	s_nop 1
	v_mov_b32_dpp v9, v0 row_shr:1 row_mask:0xf bank_mask:0xf
	v_add_f32_e32 v9, v0, v9
	v_cndmask_b32_e32 v0, v9, v0, vcc
	s_nop 1
	v_mov_b32_dpp v9, v0 row_shr:2 row_mask:0xf bank_mask:0xf
	v_add_f32_e32 v9, v0, v9
	v_cndmask_b32_e64 v0, v0, v9, s[0:1]
	s_nop 1
	v_mov_b32_dpp v9, v0 row_shr:4 row_mask:0xf bank_mask:0xf
	v_add_f32_e32 v9, v0, v9
	v_cndmask_b32_e64 v0, v0, v9, s[2:3]
	;; [unrolled: 4-line block ×3, first 2 shown]
	s_nop 1
	v_mov_b32_dpp v9, v0 row_bcast:15 row_mask:0xf bank_mask:0xf
	v_add_f32_e32 v9, v0, v9
	v_cndmask_b32_e64 v0, v9, v0, s[6:7]
	s_nop 1
	v_mov_b32_dpp v9, v0 row_bcast:31 row_mask:0xf bank_mask:0xf
	v_add_f32_e32 v9, v0, v9
	v_cndmask_b32_e64 v0, v0, v9, s[8:9]
	s_and_saveexec_b64 s[16:17], s[10:11]
	s_cbranch_execz .LBB62_1
; %bb.3:                                ;   in Loop: Header=BB62_2 Depth=1
	ds_write_b32 v5, v0
	s_branch .LBB62_1
.LBB62_4:
	v_mov_b32_e32 v0, s15
	v_add_co_u32_e32 v5, vcc, s14, v6
	v_addc_co_u32_e32 v6, vcc, v0, v7, vcc
	global_store_dwordx4 v[5:6], v[1:4], off
	s_endpgm
	.section	.rodata,"a",@progbits
	.p2align	6, 0x0
	.amdhsa_kernel _Z6kernelI14inclusive_scanILN6hipcub18BlockScanAlgorithmE0EEfLj64ELj4ELj100EEvPKT0_PS4_S4_
		.amdhsa_group_segment_fixed_size 4
		.amdhsa_private_segment_fixed_size 0
		.amdhsa_kernarg_size 280
		.amdhsa_user_sgpr_count 6
		.amdhsa_user_sgpr_private_segment_buffer 1
		.amdhsa_user_sgpr_dispatch_ptr 0
		.amdhsa_user_sgpr_queue_ptr 0
		.amdhsa_user_sgpr_kernarg_segment_ptr 1
		.amdhsa_user_sgpr_dispatch_id 0
		.amdhsa_user_sgpr_flat_scratch_init 0
		.amdhsa_user_sgpr_private_segment_size 0
		.amdhsa_uses_dynamic_stack 0
		.amdhsa_system_sgpr_private_segment_wavefront_offset 0
		.amdhsa_system_sgpr_workgroup_id_x 1
		.amdhsa_system_sgpr_workgroup_id_y 0
		.amdhsa_system_sgpr_workgroup_id_z 0
		.amdhsa_system_sgpr_workgroup_info 0
		.amdhsa_system_vgpr_workitem_id 0
		.amdhsa_next_free_vgpr 11
		.amdhsa_next_free_sgpr 19
		.amdhsa_reserve_vcc 1
		.amdhsa_reserve_flat_scratch 0
		.amdhsa_float_round_mode_32 0
		.amdhsa_float_round_mode_16_64 0
		.amdhsa_float_denorm_mode_32 3
		.amdhsa_float_denorm_mode_16_64 3
		.amdhsa_dx10_clamp 1
		.amdhsa_ieee_mode 1
		.amdhsa_fp16_overflow 0
		.amdhsa_exception_fp_ieee_invalid_op 0
		.amdhsa_exception_fp_denorm_src 0
		.amdhsa_exception_fp_ieee_div_zero 0
		.amdhsa_exception_fp_ieee_overflow 0
		.amdhsa_exception_fp_ieee_underflow 0
		.amdhsa_exception_fp_ieee_inexact 0
		.amdhsa_exception_int_div_zero 0
	.end_amdhsa_kernel
	.section	.text._Z6kernelI14inclusive_scanILN6hipcub18BlockScanAlgorithmE0EEfLj64ELj4ELj100EEvPKT0_PS4_S4_,"axG",@progbits,_Z6kernelI14inclusive_scanILN6hipcub18BlockScanAlgorithmE0EEfLj64ELj4ELj100EEvPKT0_PS4_S4_,comdat
.Lfunc_end62:
	.size	_Z6kernelI14inclusive_scanILN6hipcub18BlockScanAlgorithmE0EEfLj64ELj4ELj100EEvPKT0_PS4_S4_, .Lfunc_end62-_Z6kernelI14inclusive_scanILN6hipcub18BlockScanAlgorithmE0EEfLj64ELj4ELj100EEvPKT0_PS4_S4_
                                        ; -- End function
	.set _Z6kernelI14inclusive_scanILN6hipcub18BlockScanAlgorithmE0EEfLj64ELj4ELj100EEvPKT0_PS4_S4_.num_vgpr, 11
	.set _Z6kernelI14inclusive_scanILN6hipcub18BlockScanAlgorithmE0EEfLj64ELj4ELj100EEvPKT0_PS4_S4_.num_agpr, 0
	.set _Z6kernelI14inclusive_scanILN6hipcub18BlockScanAlgorithmE0EEfLj64ELj4ELj100EEvPKT0_PS4_S4_.numbered_sgpr, 19
	.set _Z6kernelI14inclusive_scanILN6hipcub18BlockScanAlgorithmE0EEfLj64ELj4ELj100EEvPKT0_PS4_S4_.num_named_barrier, 0
	.set _Z6kernelI14inclusive_scanILN6hipcub18BlockScanAlgorithmE0EEfLj64ELj4ELj100EEvPKT0_PS4_S4_.private_seg_size, 0
	.set _Z6kernelI14inclusive_scanILN6hipcub18BlockScanAlgorithmE0EEfLj64ELj4ELj100EEvPKT0_PS4_S4_.uses_vcc, 1
	.set _Z6kernelI14inclusive_scanILN6hipcub18BlockScanAlgorithmE0EEfLj64ELj4ELj100EEvPKT0_PS4_S4_.uses_flat_scratch, 0
	.set _Z6kernelI14inclusive_scanILN6hipcub18BlockScanAlgorithmE0EEfLj64ELj4ELj100EEvPKT0_PS4_S4_.has_dyn_sized_stack, 0
	.set _Z6kernelI14inclusive_scanILN6hipcub18BlockScanAlgorithmE0EEfLj64ELj4ELj100EEvPKT0_PS4_S4_.has_recursion, 0
	.set _Z6kernelI14inclusive_scanILN6hipcub18BlockScanAlgorithmE0EEfLj64ELj4ELj100EEvPKT0_PS4_S4_.has_indirect_call, 0
	.section	.AMDGPU.csdata,"",@progbits
; Kernel info:
; codeLenInByte = 444
; TotalNumSgprs: 23
; NumVgprs: 11
; ScratchSize: 0
; MemoryBound: 0
; FloatMode: 240
; IeeeMode: 1
; LDSByteSize: 4 bytes/workgroup (compile time only)
; SGPRBlocks: 2
; VGPRBlocks: 2
; NumSGPRsForWavesPerEU: 23
; NumVGPRsForWavesPerEU: 11
; Occupancy: 10
; WaveLimiterHint : 0
; COMPUTE_PGM_RSRC2:SCRATCH_EN: 0
; COMPUTE_PGM_RSRC2:USER_SGPR: 6
; COMPUTE_PGM_RSRC2:TRAP_HANDLER: 0
; COMPUTE_PGM_RSRC2:TGID_X_EN: 1
; COMPUTE_PGM_RSRC2:TGID_Y_EN: 0
; COMPUTE_PGM_RSRC2:TGID_Z_EN: 0
; COMPUTE_PGM_RSRC2:TIDIG_COMP_CNT: 0
	.section	.text._Z6kernelI14inclusive_scanILN6hipcub18BlockScanAlgorithmE0EEfLj64ELj8ELj100EEvPKT0_PS4_S4_,"axG",@progbits,_Z6kernelI14inclusive_scanILN6hipcub18BlockScanAlgorithmE0EEfLj64ELj8ELj100EEvPKT0_PS4_S4_,comdat
	.protected	_Z6kernelI14inclusive_scanILN6hipcub18BlockScanAlgorithmE0EEfLj64ELj8ELj100EEvPKT0_PS4_S4_ ; -- Begin function _Z6kernelI14inclusive_scanILN6hipcub18BlockScanAlgorithmE0EEfLj64ELj8ELj100EEvPKT0_PS4_S4_
	.globl	_Z6kernelI14inclusive_scanILN6hipcub18BlockScanAlgorithmE0EEfLj64ELj8ELj100EEvPKT0_PS4_S4_
	.p2align	8
	.type	_Z6kernelI14inclusive_scanILN6hipcub18BlockScanAlgorithmE0EEfLj64ELj8ELj100EEvPKT0_PS4_S4_,@function
_Z6kernelI14inclusive_scanILN6hipcub18BlockScanAlgorithmE0EEfLj64ELj8ELj100EEvPKT0_PS4_S4_: ; @_Z6kernelI14inclusive_scanILN6hipcub18BlockScanAlgorithmE0EEfLj64ELj8ELj100EEvPKT0_PS4_S4_
; %bb.0:
	s_load_dword s0, s[4:5], 0x24
	s_load_dwordx4 s[12:15], s[4:5], 0x0
	v_mov_b32_e32 v9, 0
	v_cmp_eq_u32_e64 s[10:11], 63, v0
	s_movk_i32 s18, 0x64
	s_waitcnt lgkmcnt(0)
	s_and_b32 s0, s0, 0xffff
	s_mul_i32 s6, s6, s0
	v_add_lshl_u32 v8, s6, v0, 3
	v_lshlrev_b64 v[10:11], 2, v[8:9]
	v_mov_b32_e32 v1, s13
	v_add_co_u32_e32 v12, vcc, s12, v10
	v_addc_co_u32_e32 v13, vcc, v1, v11, vcc
	global_load_dwordx4 v[5:8], v[12:13], off
	global_load_dwordx4 v[1:4], v[12:13], off offset:16
	v_mbcnt_lo_u32_b32 v12, -1, 0
	v_mbcnt_hi_u32_b32 v12, -1, v12
	v_and_b32_e32 v13, 15, v12
	v_cmp_eq_u32_e32 vcc, 0, v13
	v_cmp_lt_u32_e64 s[0:1], 1, v13
	v_cmp_lt_u32_e64 s[2:3], 3, v13
	;; [unrolled: 1-line block ×3, first 2 shown]
	v_and_b32_e32 v13, 16, v12
	v_cmp_eq_u32_e64 s[6:7], 0, v13
	v_add_u32_e32 v13, -1, v12
	v_and_b32_e32 v14, 64, v12
	v_cmp_lt_i32_e64 s[12:13], v13, v14
	v_cmp_lt_u32_e64 s[8:9], 31, v12
	v_cndmask_b32_e64 v12, v13, v12, s[12:13]
	v_lshlrev_b32_e32 v12, 2, v12
	v_cmp_eq_u32_e64 s[12:13], 0, v0
	s_branch .LBB63_2
.LBB63_1:                               ;   in Loop: Header=BB63_2 Depth=1
	s_or_b64 exec, exec, s[16:17]
	ds_bpermute_b32 v0, v12, v0
	s_add_i32 s18, s18, -1
	s_cmp_lg_u32 s18, 0
	s_waitcnt lgkmcnt(0)
	; wave barrier
	v_add_f32_e32 v0, v5, v0
	v_cndmask_b32_e64 v5, v0, v5, s[12:13]
	v_add_f32_e32 v6, v6, v5
	v_add_f32_e32 v7, v7, v6
	;; [unrolled: 1-line block ×7, first 2 shown]
	s_cbranch_scc0 .LBB63_4
.LBB63_2:                               ; =>This Inner Loop Header: Depth=1
	s_waitcnt vmcnt(1)
	v_add_f32_e32 v0, v5, v6
	v_add_f32_e32 v0, v7, v0
	;; [unrolled: 1-line block ×3, first 2 shown]
	s_waitcnt vmcnt(0)
	v_add_f32_e32 v0, v1, v0
	v_add_f32_e32 v0, v2, v0
	;; [unrolled: 1-line block ×4, first 2 shown]
	s_nop 1
	v_mov_b32_dpp v13, v0 row_shr:1 row_mask:0xf bank_mask:0xf
	v_add_f32_e32 v13, v0, v13
	v_cndmask_b32_e32 v0, v13, v0, vcc
	s_nop 1
	v_mov_b32_dpp v13, v0 row_shr:2 row_mask:0xf bank_mask:0xf
	v_add_f32_e32 v13, v0, v13
	v_cndmask_b32_e64 v0, v0, v13, s[0:1]
	s_nop 1
	v_mov_b32_dpp v13, v0 row_shr:4 row_mask:0xf bank_mask:0xf
	v_add_f32_e32 v13, v0, v13
	v_cndmask_b32_e64 v0, v0, v13, s[2:3]
	;; [unrolled: 4-line block ×3, first 2 shown]
	s_nop 1
	v_mov_b32_dpp v13, v0 row_bcast:15 row_mask:0xf bank_mask:0xf
	v_add_f32_e32 v13, v0, v13
	v_cndmask_b32_e64 v0, v13, v0, s[6:7]
	s_nop 1
	v_mov_b32_dpp v13, v0 row_bcast:31 row_mask:0xf bank_mask:0xf
	v_add_f32_e32 v13, v0, v13
	v_cndmask_b32_e64 v0, v0, v13, s[8:9]
	s_and_saveexec_b64 s[16:17], s[10:11]
	s_cbranch_execz .LBB63_1
; %bb.3:                                ;   in Loop: Header=BB63_2 Depth=1
	ds_write_b32 v9, v0
	s_branch .LBB63_1
.LBB63_4:
	v_mov_b32_e32 v0, s15
	v_add_co_u32_e32 v9, vcc, s14, v10
	v_addc_co_u32_e32 v10, vcc, v0, v11, vcc
	global_store_dwordx4 v[9:10], v[5:8], off
	global_store_dwordx4 v[9:10], v[1:4], off offset:16
	s_endpgm
	.section	.rodata,"a",@progbits
	.p2align	6, 0x0
	.amdhsa_kernel _Z6kernelI14inclusive_scanILN6hipcub18BlockScanAlgorithmE0EEfLj64ELj8ELj100EEvPKT0_PS4_S4_
		.amdhsa_group_segment_fixed_size 4
		.amdhsa_private_segment_fixed_size 0
		.amdhsa_kernarg_size 280
		.amdhsa_user_sgpr_count 6
		.amdhsa_user_sgpr_private_segment_buffer 1
		.amdhsa_user_sgpr_dispatch_ptr 0
		.amdhsa_user_sgpr_queue_ptr 0
		.amdhsa_user_sgpr_kernarg_segment_ptr 1
		.amdhsa_user_sgpr_dispatch_id 0
		.amdhsa_user_sgpr_flat_scratch_init 0
		.amdhsa_user_sgpr_private_segment_size 0
		.amdhsa_uses_dynamic_stack 0
		.amdhsa_system_sgpr_private_segment_wavefront_offset 0
		.amdhsa_system_sgpr_workgroup_id_x 1
		.amdhsa_system_sgpr_workgroup_id_y 0
		.amdhsa_system_sgpr_workgroup_id_z 0
		.amdhsa_system_sgpr_workgroup_info 0
		.amdhsa_system_vgpr_workitem_id 0
		.amdhsa_next_free_vgpr 15
		.amdhsa_next_free_sgpr 19
		.amdhsa_reserve_vcc 1
		.amdhsa_reserve_flat_scratch 0
		.amdhsa_float_round_mode_32 0
		.amdhsa_float_round_mode_16_64 0
		.amdhsa_float_denorm_mode_32 3
		.amdhsa_float_denorm_mode_16_64 3
		.amdhsa_dx10_clamp 1
		.amdhsa_ieee_mode 1
		.amdhsa_fp16_overflow 0
		.amdhsa_exception_fp_ieee_invalid_op 0
		.amdhsa_exception_fp_denorm_src 0
		.amdhsa_exception_fp_ieee_div_zero 0
		.amdhsa_exception_fp_ieee_overflow 0
		.amdhsa_exception_fp_ieee_underflow 0
		.amdhsa_exception_fp_ieee_inexact 0
		.amdhsa_exception_int_div_zero 0
	.end_amdhsa_kernel
	.section	.text._Z6kernelI14inclusive_scanILN6hipcub18BlockScanAlgorithmE0EEfLj64ELj8ELj100EEvPKT0_PS4_S4_,"axG",@progbits,_Z6kernelI14inclusive_scanILN6hipcub18BlockScanAlgorithmE0EEfLj64ELj8ELj100EEvPKT0_PS4_S4_,comdat
.Lfunc_end63:
	.size	_Z6kernelI14inclusive_scanILN6hipcub18BlockScanAlgorithmE0EEfLj64ELj8ELj100EEvPKT0_PS4_S4_, .Lfunc_end63-_Z6kernelI14inclusive_scanILN6hipcub18BlockScanAlgorithmE0EEfLj64ELj8ELj100EEvPKT0_PS4_S4_
                                        ; -- End function
	.set _Z6kernelI14inclusive_scanILN6hipcub18BlockScanAlgorithmE0EEfLj64ELj8ELj100EEvPKT0_PS4_S4_.num_vgpr, 15
	.set _Z6kernelI14inclusive_scanILN6hipcub18BlockScanAlgorithmE0EEfLj64ELj8ELj100EEvPKT0_PS4_S4_.num_agpr, 0
	.set _Z6kernelI14inclusive_scanILN6hipcub18BlockScanAlgorithmE0EEfLj64ELj8ELj100EEvPKT0_PS4_S4_.numbered_sgpr, 19
	.set _Z6kernelI14inclusive_scanILN6hipcub18BlockScanAlgorithmE0EEfLj64ELj8ELj100EEvPKT0_PS4_S4_.num_named_barrier, 0
	.set _Z6kernelI14inclusive_scanILN6hipcub18BlockScanAlgorithmE0EEfLj64ELj8ELj100EEvPKT0_PS4_S4_.private_seg_size, 0
	.set _Z6kernelI14inclusive_scanILN6hipcub18BlockScanAlgorithmE0EEfLj64ELj8ELj100EEvPKT0_PS4_S4_.uses_vcc, 1
	.set _Z6kernelI14inclusive_scanILN6hipcub18BlockScanAlgorithmE0EEfLj64ELj8ELj100EEvPKT0_PS4_S4_.uses_flat_scratch, 0
	.set _Z6kernelI14inclusive_scanILN6hipcub18BlockScanAlgorithmE0EEfLj64ELj8ELj100EEvPKT0_PS4_S4_.has_dyn_sized_stack, 0
	.set _Z6kernelI14inclusive_scanILN6hipcub18BlockScanAlgorithmE0EEfLj64ELj8ELj100EEvPKT0_PS4_S4_.has_recursion, 0
	.set _Z6kernelI14inclusive_scanILN6hipcub18BlockScanAlgorithmE0EEfLj64ELj8ELj100EEvPKT0_PS4_S4_.has_indirect_call, 0
	.section	.AMDGPU.csdata,"",@progbits
; Kernel info:
; codeLenInByte = 496
; TotalNumSgprs: 23
; NumVgprs: 15
; ScratchSize: 0
; MemoryBound: 0
; FloatMode: 240
; IeeeMode: 1
; LDSByteSize: 4 bytes/workgroup (compile time only)
; SGPRBlocks: 2
; VGPRBlocks: 3
; NumSGPRsForWavesPerEU: 23
; NumVGPRsForWavesPerEU: 15
; Occupancy: 10
; WaveLimiterHint : 0
; COMPUTE_PGM_RSRC2:SCRATCH_EN: 0
; COMPUTE_PGM_RSRC2:USER_SGPR: 6
; COMPUTE_PGM_RSRC2:TRAP_HANDLER: 0
; COMPUTE_PGM_RSRC2:TGID_X_EN: 1
; COMPUTE_PGM_RSRC2:TGID_Y_EN: 0
; COMPUTE_PGM_RSRC2:TGID_Z_EN: 0
; COMPUTE_PGM_RSRC2:TIDIG_COMP_CNT: 0
	.section	.text._Z6kernelI14inclusive_scanILN6hipcub18BlockScanAlgorithmE0EEfLj64ELj11ELj100EEvPKT0_PS4_S4_,"axG",@progbits,_Z6kernelI14inclusive_scanILN6hipcub18BlockScanAlgorithmE0EEfLj64ELj11ELj100EEvPKT0_PS4_S4_,comdat
	.protected	_Z6kernelI14inclusive_scanILN6hipcub18BlockScanAlgorithmE0EEfLj64ELj11ELj100EEvPKT0_PS4_S4_ ; -- Begin function _Z6kernelI14inclusive_scanILN6hipcub18BlockScanAlgorithmE0EEfLj64ELj11ELj100EEvPKT0_PS4_S4_
	.globl	_Z6kernelI14inclusive_scanILN6hipcub18BlockScanAlgorithmE0EEfLj64ELj11ELj100EEvPKT0_PS4_S4_
	.p2align	8
	.type	_Z6kernelI14inclusive_scanILN6hipcub18BlockScanAlgorithmE0EEfLj64ELj11ELj100EEvPKT0_PS4_S4_,@function
_Z6kernelI14inclusive_scanILN6hipcub18BlockScanAlgorithmE0EEfLj64ELj11ELj100EEvPKT0_PS4_S4_: ; @_Z6kernelI14inclusive_scanILN6hipcub18BlockScanAlgorithmE0EEfLj64ELj11ELj100EEvPKT0_PS4_S4_
; %bb.0:
	s_load_dword s0, s[4:5], 0x24
	s_load_dwordx4 s[12:15], s[4:5], 0x0
	v_mov_b32_e32 v2, 0
	v_mov_b32_e32 v8, v2
	;; [unrolled: 1-line block ×3, first 2 shown]
	s_waitcnt lgkmcnt(0)
	s_and_b32 s0, s0, 0xffff
	s_mul_i32 s6, s6, s0
	v_add_u32_e32 v1, s6, v0
	v_mul_lo_u32 v1, v1, 11
	v_mov_b32_e32 v6, s13
	v_mov_b32_e32 v7, s13
	;; [unrolled: 1-line block ×3, first 2 shown]
	v_lshlrev_b64 v[3:4], 2, v[1:2]
	v_add_u32_e32 v5, 1, v1
	v_add_co_u32_e32 v19, vcc, s12, v3
	v_addc_co_u32_e32 v20, vcc, v6, v4, vcc
	v_mov_b32_e32 v6, v2
	v_lshlrev_b64 v[5:6], 2, v[5:6]
	v_mov_b32_e32 v11, s13
	v_add_co_u32_e32 v21, vcc, s12, v5
	v_addc_co_u32_e32 v22, vcc, v7, v6, vcc
	v_add_u32_e32 v7, 2, v1
	v_lshlrev_b64 v[7:8], 2, v[7:8]
	v_mov_b32_e32 v12, v2
	v_add_co_u32_e32 v23, vcc, s12, v7
	v_addc_co_u32_e32 v24, vcc, v9, v8, vcc
	v_add_u32_e32 v9, 3, v1
	;; [unrolled: 5-line block ×5, first 2 shown]
	v_mov_b32_e32 v16, v2
	v_lshlrev_b64 v[15:16], 2, v[15:16]
	v_mov_b32_e32 v17, s13
	v_add_co_u32_e32 v39, vcc, s12, v15
	v_addc_co_u32_e32 v40, vcc, v17, v16, vcc
	v_add_u32_e32 v17, 7, v1
	v_mov_b32_e32 v18, v2
	v_lshlrev_b64 v[17:18], 2, v[17:18]
	v_mov_b32_e32 v27, s13
	v_add_co_u32_e32 v41, vcc, s12, v17
	v_addc_co_u32_e32 v42, vcc, v27, v18, vcc
	global_load_dword v34, v[19:20], off
	global_load_dword v33, v[21:22], off
	;; [unrolled: 1-line block ×5, first 2 shown]
                                        ; kill: killed $vgpr25 killed $vgpr26
                                        ; kill: killed $vgpr21 killed $vgpr22
                                        ; kill: killed $vgpr23 killed $vgpr24
                                        ; kill: killed $vgpr35 killed $vgpr36
                                        ; kill: killed $vgpr19 killed $vgpr20
	global_load_dword v27, v[37:38], off
	s_nop 0
	global_load_dword v26, v[39:40], off
	global_load_dword v25, v[41:42], off
	v_add_u32_e32 v19, 8, v1
	v_mov_b32_e32 v20, v2
	v_lshlrev_b64 v[19:20], 2, v[19:20]
	v_mov_b32_e32 v21, s13
	v_add_co_u32_e32 v35, vcc, s12, v19
	v_addc_co_u32_e32 v36, vcc, v21, v20, vcc
	v_add_u32_e32 v21, 9, v1
	v_mov_b32_e32 v22, v2
	v_lshlrev_b64 v[21:22], 2, v[21:22]
	v_mov_b32_e32 v23, s13
	v_add_co_u32_e32 v37, vcc, s12, v21
	v_add_u32_e32 v1, 10, v1
	v_addc_co_u32_e32 v38, vcc, v23, v22, vcc
	v_lshlrev_b64 v[23:24], 2, v[1:2]
	v_mov_b32_e32 v30, s13
	v_add_co_u32_e32 v39, vcc, s12, v23
	v_addc_co_u32_e32 v40, vcc, v30, v24, vcc
	global_load_dword v32, v[35:36], off
	global_load_dword v30, v[37:38], off
                                        ; kill: killed $vgpr37 killed $vgpr38
                                        ; kill: killed $vgpr35 killed $vgpr36
	global_load_dword v1, v[39:40], off
	v_mbcnt_lo_u32_b32 v35, -1, 0
	v_mbcnt_hi_u32_b32 v35, -1, v35
	v_and_b32_e32 v36, 15, v35
	v_cmp_eq_u32_e32 vcc, 0, v36
	v_cmp_lt_u32_e64 s[0:1], 1, v36
	v_cmp_lt_u32_e64 s[2:3], 3, v36
	;; [unrolled: 1-line block ×3, first 2 shown]
	v_and_b32_e32 v36, 16, v35
	v_cmp_eq_u32_e64 s[6:7], 0, v36
	v_add_u32_e32 v36, -1, v35
	v_and_b32_e32 v37, 64, v35
	v_cmp_lt_i32_e64 s[10:11], v36, v37
	v_cmp_lt_u32_e64 s[8:9], 31, v35
	v_cndmask_b32_e64 v35, v36, v35, s[10:11]
	v_cmp_eq_u32_e64 s[10:11], 63, v0
	v_cmp_eq_u32_e64 s[12:13], 0, v0
	v_lshlrev_b32_e32 v0, 2, v35
	s_movk_i32 s18, 0x64
	s_branch .LBB64_2
.LBB64_1:                               ;   in Loop: Header=BB64_2 Depth=1
	s_or_b64 exec, exec, s[16:17]
	ds_bpermute_b32 v35, v0, v35
	s_add_i32 s18, s18, -1
	s_cmp_lg_u32 s18, 0
	s_waitcnt lgkmcnt(0)
	; wave barrier
	v_add_f32_e32 v35, v34, v35
	v_cndmask_b32_e64 v34, v35, v34, s[12:13]
	v_add_f32_e32 v33, v33, v34
	v_add_f32_e32 v31, v31, v33
	;; [unrolled: 1-line block ×10, first 2 shown]
	s_cbranch_scc0 .LBB64_4
.LBB64_2:                               ; =>This Inner Loop Header: Depth=1
	s_waitcnt vmcnt(9)
	v_add_f32_e32 v35, v33, v34
	s_waitcnt vmcnt(8)
	v_add_f32_e32 v35, v31, v35
	;; [unrolled: 2-line block ×10, first 2 shown]
	s_nop 1
	v_mov_b32_dpp v36, v35 row_shr:1 row_mask:0xf bank_mask:0xf
	v_add_f32_e32 v36, v35, v36
	v_cndmask_b32_e32 v35, v36, v35, vcc
	s_nop 1
	v_mov_b32_dpp v36, v35 row_shr:2 row_mask:0xf bank_mask:0xf
	v_add_f32_e32 v36, v35, v36
	v_cndmask_b32_e64 v35, v35, v36, s[0:1]
	s_nop 1
	v_mov_b32_dpp v36, v35 row_shr:4 row_mask:0xf bank_mask:0xf
	v_add_f32_e32 v36, v35, v36
	v_cndmask_b32_e64 v35, v35, v36, s[2:3]
	;; [unrolled: 4-line block ×3, first 2 shown]
	s_nop 1
	v_mov_b32_dpp v36, v35 row_bcast:15 row_mask:0xf bank_mask:0xf
	v_add_f32_e32 v36, v35, v36
	v_cndmask_b32_e64 v35, v36, v35, s[6:7]
	s_nop 1
	v_mov_b32_dpp v36, v35 row_bcast:31 row_mask:0xf bank_mask:0xf
	v_add_f32_e32 v36, v35, v36
	v_cndmask_b32_e64 v35, v35, v36, s[8:9]
	s_and_saveexec_b64 s[16:17], s[10:11]
	s_cbranch_execz .LBB64_1
; %bb.3:                                ;   in Loop: Header=BB64_2 Depth=1
	ds_write_b32 v2, v35
	s_branch .LBB64_1
.LBB64_4:
	v_mov_b32_e32 v0, s15
	v_add_co_u32_e32 v2, vcc, s14, v3
	v_addc_co_u32_e32 v3, vcc, v0, v4, vcc
	global_store_dword v[2:3], v34, off
	v_add_co_u32_e32 v2, vcc, s14, v5
	v_addc_co_u32_e32 v3, vcc, v0, v6, vcc
	global_store_dword v[2:3], v33, off
	;; [unrolled: 3-line block ×11, first 2 shown]
	s_endpgm
	.section	.rodata,"a",@progbits
	.p2align	6, 0x0
	.amdhsa_kernel _Z6kernelI14inclusive_scanILN6hipcub18BlockScanAlgorithmE0EEfLj64ELj11ELj100EEvPKT0_PS4_S4_
		.amdhsa_group_segment_fixed_size 4
		.amdhsa_private_segment_fixed_size 0
		.amdhsa_kernarg_size 280
		.amdhsa_user_sgpr_count 6
		.amdhsa_user_sgpr_private_segment_buffer 1
		.amdhsa_user_sgpr_dispatch_ptr 0
		.amdhsa_user_sgpr_queue_ptr 0
		.amdhsa_user_sgpr_kernarg_segment_ptr 1
		.amdhsa_user_sgpr_dispatch_id 0
		.amdhsa_user_sgpr_flat_scratch_init 0
		.amdhsa_user_sgpr_private_segment_size 0
		.amdhsa_uses_dynamic_stack 0
		.amdhsa_system_sgpr_private_segment_wavefront_offset 0
		.amdhsa_system_sgpr_workgroup_id_x 1
		.amdhsa_system_sgpr_workgroup_id_y 0
		.amdhsa_system_sgpr_workgroup_id_z 0
		.amdhsa_system_sgpr_workgroup_info 0
		.amdhsa_system_vgpr_workitem_id 0
		.amdhsa_next_free_vgpr 43
		.amdhsa_next_free_sgpr 19
		.amdhsa_reserve_vcc 1
		.amdhsa_reserve_flat_scratch 0
		.amdhsa_float_round_mode_32 0
		.amdhsa_float_round_mode_16_64 0
		.amdhsa_float_denorm_mode_32 3
		.amdhsa_float_denorm_mode_16_64 3
		.amdhsa_dx10_clamp 1
		.amdhsa_ieee_mode 1
		.amdhsa_fp16_overflow 0
		.amdhsa_exception_fp_ieee_invalid_op 0
		.amdhsa_exception_fp_denorm_src 0
		.amdhsa_exception_fp_ieee_div_zero 0
		.amdhsa_exception_fp_ieee_overflow 0
		.amdhsa_exception_fp_ieee_underflow 0
		.amdhsa_exception_fp_ieee_inexact 0
		.amdhsa_exception_int_div_zero 0
	.end_amdhsa_kernel
	.section	.text._Z6kernelI14inclusive_scanILN6hipcub18BlockScanAlgorithmE0EEfLj64ELj11ELj100EEvPKT0_PS4_S4_,"axG",@progbits,_Z6kernelI14inclusive_scanILN6hipcub18BlockScanAlgorithmE0EEfLj64ELj11ELj100EEvPKT0_PS4_S4_,comdat
.Lfunc_end64:
	.size	_Z6kernelI14inclusive_scanILN6hipcub18BlockScanAlgorithmE0EEfLj64ELj11ELj100EEvPKT0_PS4_S4_, .Lfunc_end64-_Z6kernelI14inclusive_scanILN6hipcub18BlockScanAlgorithmE0EEfLj64ELj11ELj100EEvPKT0_PS4_S4_
                                        ; -- End function
	.set _Z6kernelI14inclusive_scanILN6hipcub18BlockScanAlgorithmE0EEfLj64ELj11ELj100EEvPKT0_PS4_S4_.num_vgpr, 43
	.set _Z6kernelI14inclusive_scanILN6hipcub18BlockScanAlgorithmE0EEfLj64ELj11ELj100EEvPKT0_PS4_S4_.num_agpr, 0
	.set _Z6kernelI14inclusive_scanILN6hipcub18BlockScanAlgorithmE0EEfLj64ELj11ELj100EEvPKT0_PS4_S4_.numbered_sgpr, 19
	.set _Z6kernelI14inclusive_scanILN6hipcub18BlockScanAlgorithmE0EEfLj64ELj11ELj100EEvPKT0_PS4_S4_.num_named_barrier, 0
	.set _Z6kernelI14inclusive_scanILN6hipcub18BlockScanAlgorithmE0EEfLj64ELj11ELj100EEvPKT0_PS4_S4_.private_seg_size, 0
	.set _Z6kernelI14inclusive_scanILN6hipcub18BlockScanAlgorithmE0EEfLj64ELj11ELj100EEvPKT0_PS4_S4_.uses_vcc, 1
	.set _Z6kernelI14inclusive_scanILN6hipcub18BlockScanAlgorithmE0EEfLj64ELj11ELj100EEvPKT0_PS4_S4_.uses_flat_scratch, 0
	.set _Z6kernelI14inclusive_scanILN6hipcub18BlockScanAlgorithmE0EEfLj64ELj11ELj100EEvPKT0_PS4_S4_.has_dyn_sized_stack, 0
	.set _Z6kernelI14inclusive_scanILN6hipcub18BlockScanAlgorithmE0EEfLj64ELj11ELj100EEvPKT0_PS4_S4_.has_recursion, 0
	.set _Z6kernelI14inclusive_scanILN6hipcub18BlockScanAlgorithmE0EEfLj64ELj11ELj100EEvPKT0_PS4_S4_.has_indirect_call, 0
	.section	.AMDGPU.csdata,"",@progbits
; Kernel info:
; codeLenInByte = 1060
; TotalNumSgprs: 23
; NumVgprs: 43
; ScratchSize: 0
; MemoryBound: 0
; FloatMode: 240
; IeeeMode: 1
; LDSByteSize: 4 bytes/workgroup (compile time only)
; SGPRBlocks: 2
; VGPRBlocks: 10
; NumSGPRsForWavesPerEU: 23
; NumVGPRsForWavesPerEU: 43
; Occupancy: 5
; WaveLimiterHint : 0
; COMPUTE_PGM_RSRC2:SCRATCH_EN: 0
; COMPUTE_PGM_RSRC2:USER_SGPR: 6
; COMPUTE_PGM_RSRC2:TRAP_HANDLER: 0
; COMPUTE_PGM_RSRC2:TGID_X_EN: 1
; COMPUTE_PGM_RSRC2:TGID_Y_EN: 0
; COMPUTE_PGM_RSRC2:TGID_Z_EN: 0
; COMPUTE_PGM_RSRC2:TIDIG_COMP_CNT: 0
	.section	.text._Z6kernelI14inclusive_scanILN6hipcub18BlockScanAlgorithmE0EEfLj64ELj16ELj100EEvPKT0_PS4_S4_,"axG",@progbits,_Z6kernelI14inclusive_scanILN6hipcub18BlockScanAlgorithmE0EEfLj64ELj16ELj100EEvPKT0_PS4_S4_,comdat
	.protected	_Z6kernelI14inclusive_scanILN6hipcub18BlockScanAlgorithmE0EEfLj64ELj16ELj100EEvPKT0_PS4_S4_ ; -- Begin function _Z6kernelI14inclusive_scanILN6hipcub18BlockScanAlgorithmE0EEfLj64ELj16ELj100EEvPKT0_PS4_S4_
	.globl	_Z6kernelI14inclusive_scanILN6hipcub18BlockScanAlgorithmE0EEfLj64ELj16ELj100EEvPKT0_PS4_S4_
	.p2align	8
	.type	_Z6kernelI14inclusive_scanILN6hipcub18BlockScanAlgorithmE0EEfLj64ELj16ELj100EEvPKT0_PS4_S4_,@function
_Z6kernelI14inclusive_scanILN6hipcub18BlockScanAlgorithmE0EEfLj64ELj16ELj100EEvPKT0_PS4_S4_: ; @_Z6kernelI14inclusive_scanILN6hipcub18BlockScanAlgorithmE0EEfLj64ELj16ELj100EEvPKT0_PS4_S4_
; %bb.0:
	s_load_dword s0, s[4:5], 0x24
	s_load_dwordx4 s[12:15], s[4:5], 0x0
	v_mov_b32_e32 v17, 0
	v_mbcnt_lo_u32_b32 v9, -1, 0
	v_mbcnt_hi_u32_b32 v9, -1, v9
	s_waitcnt lgkmcnt(0)
	s_and_b32 s0, s0, 0xffff
	s_mul_i32 s6, s6, s0
	v_add_lshl_u32 v16, s6, v0, 4
	v_lshlrev_b64 v[18:19], 2, v[16:17]
	v_mov_b32_e32 v1, s13
	v_add_co_u32_e32 v21, vcc, s12, v18
	v_addc_co_u32_e32 v22, vcc, v1, v19, vcc
	v_and_b32_e32 v10, 15, v9
	v_cmp_eq_u32_e32 vcc, 0, v10
	v_cmp_lt_u32_e64 s[0:1], 1, v10
	v_cmp_lt_u32_e64 s[2:3], 3, v10
	;; [unrolled: 1-line block ×3, first 2 shown]
	v_and_b32_e32 v10, 16, v9
	v_cmp_eq_u32_e64 s[6:7], 0, v10
	v_add_u32_e32 v10, -1, v9
	v_and_b32_e32 v11, 64, v9
	v_cmp_lt_i32_e64 s[12:13], v10, v11
	v_cmp_lt_u32_e64 s[8:9], 31, v9
	v_cndmask_b32_e64 v9, v10, v9, s[12:13]
	global_load_dwordx4 v[5:8], v[21:22], off
	global_load_dwordx4 v[1:4], v[21:22], off offset:16
	v_lshlrev_b32_e32 v20, 2, v9
	global_load_dwordx4 v[13:16], v[21:22], off offset:32
	global_load_dwordx4 v[9:12], v[21:22], off offset:48
	v_cmp_eq_u32_e64 s[10:11], 63, v0
	v_cmp_eq_u32_e64 s[12:13], 0, v0
	s_movk_i32 s18, 0x64
	s_branch .LBB65_2
.LBB65_1:                               ;   in Loop: Header=BB65_2 Depth=1
	s_or_b64 exec, exec, s[16:17]
	ds_bpermute_b32 v0, v20, v0
	s_add_i32 s18, s18, -1
	s_cmp_lg_u32 s18, 0
	s_waitcnt lgkmcnt(0)
	; wave barrier
	v_add_f32_e32 v0, v5, v0
	v_cndmask_b32_e64 v5, v0, v5, s[12:13]
	v_add_f32_e32 v6, v6, v5
	v_add_f32_e32 v7, v7, v6
	;; [unrolled: 1-line block ×15, first 2 shown]
	s_cbranch_scc0 .LBB65_4
.LBB65_2:                               ; =>This Inner Loop Header: Depth=1
	s_waitcnt vmcnt(3)
	v_add_f32_e32 v0, v6, v5
	v_add_f32_e32 v0, v7, v0
	v_add_f32_e32 v0, v8, v0
	s_waitcnt vmcnt(2)
	v_add_f32_e32 v0, v1, v0
	v_add_f32_e32 v0, v2, v0
	v_add_f32_e32 v0, v3, v0
	v_add_f32_e32 v0, v4, v0
	s_waitcnt vmcnt(1)
	v_add_f32_e32 v0, v13, v0
	;; [unrolled: 5-line block ×3, first 2 shown]
	v_add_f32_e32 v0, v10, v0
	v_add_f32_e32 v0, v11, v0
	;; [unrolled: 1-line block ×3, first 2 shown]
	s_nop 1
	v_mov_b32_dpp v21, v0 row_shr:1 row_mask:0xf bank_mask:0xf
	v_add_f32_e32 v21, v0, v21
	v_cndmask_b32_e32 v0, v21, v0, vcc
	s_nop 1
	v_mov_b32_dpp v21, v0 row_shr:2 row_mask:0xf bank_mask:0xf
	v_add_f32_e32 v21, v0, v21
	v_cndmask_b32_e64 v0, v0, v21, s[0:1]
	s_nop 1
	v_mov_b32_dpp v21, v0 row_shr:4 row_mask:0xf bank_mask:0xf
	v_add_f32_e32 v21, v0, v21
	v_cndmask_b32_e64 v0, v0, v21, s[2:3]
	s_nop 1
	v_mov_b32_dpp v21, v0 row_shr:8 row_mask:0xf bank_mask:0xf
	v_add_f32_e32 v21, v0, v21
	v_cndmask_b32_e64 v0, v0, v21, s[4:5]
	s_nop 1
	v_mov_b32_dpp v21, v0 row_bcast:15 row_mask:0xf bank_mask:0xf
	v_add_f32_e32 v21, v0, v21
	v_cndmask_b32_e64 v0, v21, v0, s[6:7]
	s_nop 1
	v_mov_b32_dpp v21, v0 row_bcast:31 row_mask:0xf bank_mask:0xf
	v_add_f32_e32 v21, v0, v21
	v_cndmask_b32_e64 v0, v0, v21, s[8:9]
	s_and_saveexec_b64 s[16:17], s[10:11]
	s_cbranch_execz .LBB65_1
; %bb.3:                                ;   in Loop: Header=BB65_2 Depth=1
	ds_write_b32 v17, v0
	s_branch .LBB65_1
.LBB65_4:
	v_mov_b32_e32 v0, s15
	v_add_co_u32_e32 v17, vcc, s14, v18
	v_addc_co_u32_e32 v18, vcc, v0, v19, vcc
	global_store_dwordx4 v[17:18], v[5:8], off
	global_store_dwordx4 v[17:18], v[1:4], off offset:16
	global_store_dwordx4 v[17:18], v[13:16], off offset:32
	;; [unrolled: 1-line block ×3, first 2 shown]
	s_endpgm
	.section	.rodata,"a",@progbits
	.p2align	6, 0x0
	.amdhsa_kernel _Z6kernelI14inclusive_scanILN6hipcub18BlockScanAlgorithmE0EEfLj64ELj16ELj100EEvPKT0_PS4_S4_
		.amdhsa_group_segment_fixed_size 4
		.amdhsa_private_segment_fixed_size 0
		.amdhsa_kernarg_size 280
		.amdhsa_user_sgpr_count 6
		.amdhsa_user_sgpr_private_segment_buffer 1
		.amdhsa_user_sgpr_dispatch_ptr 0
		.amdhsa_user_sgpr_queue_ptr 0
		.amdhsa_user_sgpr_kernarg_segment_ptr 1
		.amdhsa_user_sgpr_dispatch_id 0
		.amdhsa_user_sgpr_flat_scratch_init 0
		.amdhsa_user_sgpr_private_segment_size 0
		.amdhsa_uses_dynamic_stack 0
		.amdhsa_system_sgpr_private_segment_wavefront_offset 0
		.amdhsa_system_sgpr_workgroup_id_x 1
		.amdhsa_system_sgpr_workgroup_id_y 0
		.amdhsa_system_sgpr_workgroup_id_z 0
		.amdhsa_system_sgpr_workgroup_info 0
		.amdhsa_system_vgpr_workitem_id 0
		.amdhsa_next_free_vgpr 23
		.amdhsa_next_free_sgpr 19
		.amdhsa_reserve_vcc 1
		.amdhsa_reserve_flat_scratch 0
		.amdhsa_float_round_mode_32 0
		.amdhsa_float_round_mode_16_64 0
		.amdhsa_float_denorm_mode_32 3
		.amdhsa_float_denorm_mode_16_64 3
		.amdhsa_dx10_clamp 1
		.amdhsa_ieee_mode 1
		.amdhsa_fp16_overflow 0
		.amdhsa_exception_fp_ieee_invalid_op 0
		.amdhsa_exception_fp_denorm_src 0
		.amdhsa_exception_fp_ieee_div_zero 0
		.amdhsa_exception_fp_ieee_overflow 0
		.amdhsa_exception_fp_ieee_underflow 0
		.amdhsa_exception_fp_ieee_inexact 0
		.amdhsa_exception_int_div_zero 0
	.end_amdhsa_kernel
	.section	.text._Z6kernelI14inclusive_scanILN6hipcub18BlockScanAlgorithmE0EEfLj64ELj16ELj100EEvPKT0_PS4_S4_,"axG",@progbits,_Z6kernelI14inclusive_scanILN6hipcub18BlockScanAlgorithmE0EEfLj64ELj16ELj100EEvPKT0_PS4_S4_,comdat
.Lfunc_end65:
	.size	_Z6kernelI14inclusive_scanILN6hipcub18BlockScanAlgorithmE0EEfLj64ELj16ELj100EEvPKT0_PS4_S4_, .Lfunc_end65-_Z6kernelI14inclusive_scanILN6hipcub18BlockScanAlgorithmE0EEfLj64ELj16ELj100EEvPKT0_PS4_S4_
                                        ; -- End function
	.set _Z6kernelI14inclusive_scanILN6hipcub18BlockScanAlgorithmE0EEfLj64ELj16ELj100EEvPKT0_PS4_S4_.num_vgpr, 23
	.set _Z6kernelI14inclusive_scanILN6hipcub18BlockScanAlgorithmE0EEfLj64ELj16ELj100EEvPKT0_PS4_S4_.num_agpr, 0
	.set _Z6kernelI14inclusive_scanILN6hipcub18BlockScanAlgorithmE0EEfLj64ELj16ELj100EEvPKT0_PS4_S4_.numbered_sgpr, 19
	.set _Z6kernelI14inclusive_scanILN6hipcub18BlockScanAlgorithmE0EEfLj64ELj16ELj100EEvPKT0_PS4_S4_.num_named_barrier, 0
	.set _Z6kernelI14inclusive_scanILN6hipcub18BlockScanAlgorithmE0EEfLj64ELj16ELj100EEvPKT0_PS4_S4_.private_seg_size, 0
	.set _Z6kernelI14inclusive_scanILN6hipcub18BlockScanAlgorithmE0EEfLj64ELj16ELj100EEvPKT0_PS4_S4_.uses_vcc, 1
	.set _Z6kernelI14inclusive_scanILN6hipcub18BlockScanAlgorithmE0EEfLj64ELj16ELj100EEvPKT0_PS4_S4_.uses_flat_scratch, 0
	.set _Z6kernelI14inclusive_scanILN6hipcub18BlockScanAlgorithmE0EEfLj64ELj16ELj100EEvPKT0_PS4_S4_.has_dyn_sized_stack, 0
	.set _Z6kernelI14inclusive_scanILN6hipcub18BlockScanAlgorithmE0EEfLj64ELj16ELj100EEvPKT0_PS4_S4_.has_recursion, 0
	.set _Z6kernelI14inclusive_scanILN6hipcub18BlockScanAlgorithmE0EEfLj64ELj16ELj100EEvPKT0_PS4_S4_.has_indirect_call, 0
	.section	.AMDGPU.csdata,"",@progbits
; Kernel info:
; codeLenInByte = 600
; TotalNumSgprs: 23
; NumVgprs: 23
; ScratchSize: 0
; MemoryBound: 0
; FloatMode: 240
; IeeeMode: 1
; LDSByteSize: 4 bytes/workgroup (compile time only)
; SGPRBlocks: 2
; VGPRBlocks: 5
; NumSGPRsForWavesPerEU: 23
; NumVGPRsForWavesPerEU: 23
; Occupancy: 10
; WaveLimiterHint : 0
; COMPUTE_PGM_RSRC2:SCRATCH_EN: 0
; COMPUTE_PGM_RSRC2:USER_SGPR: 6
; COMPUTE_PGM_RSRC2:TRAP_HANDLER: 0
; COMPUTE_PGM_RSRC2:TGID_X_EN: 1
; COMPUTE_PGM_RSRC2:TGID_Y_EN: 0
; COMPUTE_PGM_RSRC2:TGID_Z_EN: 0
; COMPUTE_PGM_RSRC2:TIDIG_COMP_CNT: 0
	.section	.text._Z6kernelI14inclusive_scanILN6hipcub18BlockScanAlgorithmE0EEdLj64ELj1ELj100EEvPKT0_PS4_S4_,"axG",@progbits,_Z6kernelI14inclusive_scanILN6hipcub18BlockScanAlgorithmE0EEdLj64ELj1ELj100EEvPKT0_PS4_S4_,comdat
	.protected	_Z6kernelI14inclusive_scanILN6hipcub18BlockScanAlgorithmE0EEdLj64ELj1ELj100EEvPKT0_PS4_S4_ ; -- Begin function _Z6kernelI14inclusive_scanILN6hipcub18BlockScanAlgorithmE0EEdLj64ELj1ELj100EEvPKT0_PS4_S4_
	.globl	_Z6kernelI14inclusive_scanILN6hipcub18BlockScanAlgorithmE0EEdLj64ELj1ELj100EEvPKT0_PS4_S4_
	.p2align	8
	.type	_Z6kernelI14inclusive_scanILN6hipcub18BlockScanAlgorithmE0EEdLj64ELj1ELj100EEvPKT0_PS4_S4_,@function
_Z6kernelI14inclusive_scanILN6hipcub18BlockScanAlgorithmE0EEdLj64ELj1ELj100EEvPKT0_PS4_S4_: ; @_Z6kernelI14inclusive_scanILN6hipcub18BlockScanAlgorithmE0EEdLj64ELj1ELj100EEvPKT0_PS4_S4_
; %bb.0:
	s_load_dword s0, s[4:5], 0x24
	s_load_dwordx4 s[12:15], s[4:5], 0x0
	v_mov_b32_e32 v2, 0
	v_cmp_eq_u32_e64 s[10:11], 63, v0
	s_movk_i32 s16, 0x64
	s_waitcnt lgkmcnt(0)
	s_and_b32 s0, s0, 0xffff
	s_mul_i32 s6, s6, s0
	v_add_u32_e32 v1, s6, v0
	v_lshlrev_b64 v[3:4], 3, v[1:2]
	v_mov_b32_e32 v1, s13
	v_add_co_u32_e32 v5, vcc, s12, v3
	v_addc_co_u32_e32 v6, vcc, v1, v4, vcc
	global_load_dwordx2 v[5:6], v[5:6], off
	v_mbcnt_lo_u32_b32 v1, -1, 0
	v_mbcnt_hi_u32_b32 v1, -1, v1
	v_and_b32_e32 v7, 15, v1
	v_cmp_ne_u32_e32 vcc, 0, v7
	v_cmp_lt_u32_e64 s[0:1], 1, v7
	v_cmp_lt_u32_e64 s[2:3], 3, v7
	;; [unrolled: 1-line block ×3, first 2 shown]
	v_and_b32_e32 v7, 16, v1
	v_cmp_ne_u32_e64 s[6:7], 0, v7
	v_cmp_lt_u32_e64 s[8:9], 31, v1
	s_branch .LBB66_2
.LBB66_1:                               ;   in Loop: Header=BB66_2 Depth=1
	s_or_b64 exec, exec, s[12:13]
	s_add_i32 s16, s16, -1
	s_cmp_lg_u32 s16, 0
	s_waitcnt lgkmcnt(0)
	; wave barrier
	s_cbranch_scc0 .LBB66_14
.LBB66_2:                               ; =>This Inner Loop Header: Depth=1
	s_waitcnt vmcnt(0)
	v_mov_b32_dpp v0, v5 row_shr:1 row_mask:0xf bank_mask:0xf
	v_mov_b32_dpp v1, v6 row_shr:1 row_mask:0xf bank_mask:0xf
	s_and_saveexec_b64 s[12:13], vcc
; %bb.3:                                ;   in Loop: Header=BB66_2 Depth=1
	v_add_f64 v[5:6], v[5:6], v[0:1]
; %bb.4:                                ;   in Loop: Header=BB66_2 Depth=1
	s_or_b64 exec, exec, s[12:13]
	s_nop 0
	v_mov_b32_dpp v0, v5 row_shr:2 row_mask:0xf bank_mask:0xf
	v_mov_b32_dpp v1, v6 row_shr:2 row_mask:0xf bank_mask:0xf
	s_and_saveexec_b64 s[12:13], s[0:1]
; %bb.5:                                ;   in Loop: Header=BB66_2 Depth=1
	v_add_f64 v[5:6], v[5:6], v[0:1]
; %bb.6:                                ;   in Loop: Header=BB66_2 Depth=1
	s_or_b64 exec, exec, s[12:13]
	s_nop 0
	v_mov_b32_dpp v0, v5 row_shr:4 row_mask:0xf bank_mask:0xf
	v_mov_b32_dpp v1, v6 row_shr:4 row_mask:0xf bank_mask:0xf
	s_and_saveexec_b64 s[12:13], s[2:3]
	;; [unrolled: 8-line block ×3, first 2 shown]
; %bb.9:                                ;   in Loop: Header=BB66_2 Depth=1
	v_add_f64 v[5:6], v[5:6], v[0:1]
; %bb.10:                               ;   in Loop: Header=BB66_2 Depth=1
	s_or_b64 exec, exec, s[12:13]
	s_nop 0
	v_mov_b32_dpp v0, v5 row_bcast:15 row_mask:0xf bank_mask:0xf
	v_mov_b32_dpp v1, v6 row_bcast:15 row_mask:0xf bank_mask:0xf
	s_and_saveexec_b64 s[12:13], s[6:7]
; %bb.11:                               ;   in Loop: Header=BB66_2 Depth=1
	v_add_f64 v[5:6], v[5:6], v[0:1]
; %bb.12:                               ;   in Loop: Header=BB66_2 Depth=1
	s_or_b64 exec, exec, s[12:13]
	s_nop 0
	v_mov_b32_dpp v0, v5 row_bcast:31 row_mask:0xf bank_mask:0xf
	v_mov_b32_dpp v1, v6 row_bcast:31 row_mask:0xf bank_mask:0xf
	v_add_f64 v[0:1], v[5:6], v[0:1]
	v_cndmask_b32_e64 v6, v6, v1, s[8:9]
	v_cndmask_b32_e64 v5, v5, v0, s[8:9]
	s_and_saveexec_b64 s[12:13], s[10:11]
	s_cbranch_execz .LBB66_1
; %bb.13:                               ;   in Loop: Header=BB66_2 Depth=1
	ds_write_b64 v2, v[5:6]
	s_branch .LBB66_1
.LBB66_14:
	v_mov_b32_e32 v1, s15
	v_add_co_u32_e32 v0, vcc, s14, v3
	v_addc_co_u32_e32 v1, vcc, v1, v4, vcc
	global_store_dwordx2 v[0:1], v[5:6], off
	s_endpgm
	.section	.rodata,"a",@progbits
	.p2align	6, 0x0
	.amdhsa_kernel _Z6kernelI14inclusive_scanILN6hipcub18BlockScanAlgorithmE0EEdLj64ELj1ELj100EEvPKT0_PS4_S4_
		.amdhsa_group_segment_fixed_size 8
		.amdhsa_private_segment_fixed_size 0
		.amdhsa_kernarg_size 280
		.amdhsa_user_sgpr_count 6
		.amdhsa_user_sgpr_private_segment_buffer 1
		.amdhsa_user_sgpr_dispatch_ptr 0
		.amdhsa_user_sgpr_queue_ptr 0
		.amdhsa_user_sgpr_kernarg_segment_ptr 1
		.amdhsa_user_sgpr_dispatch_id 0
		.amdhsa_user_sgpr_flat_scratch_init 0
		.amdhsa_user_sgpr_private_segment_size 0
		.amdhsa_uses_dynamic_stack 0
		.amdhsa_system_sgpr_private_segment_wavefront_offset 0
		.amdhsa_system_sgpr_workgroup_id_x 1
		.amdhsa_system_sgpr_workgroup_id_y 0
		.amdhsa_system_sgpr_workgroup_id_z 0
		.amdhsa_system_sgpr_workgroup_info 0
		.amdhsa_system_vgpr_workitem_id 0
		.amdhsa_next_free_vgpr 8
		.amdhsa_next_free_sgpr 17
		.amdhsa_reserve_vcc 1
		.amdhsa_reserve_flat_scratch 0
		.amdhsa_float_round_mode_32 0
		.amdhsa_float_round_mode_16_64 0
		.amdhsa_float_denorm_mode_32 3
		.amdhsa_float_denorm_mode_16_64 3
		.amdhsa_dx10_clamp 1
		.amdhsa_ieee_mode 1
		.amdhsa_fp16_overflow 0
		.amdhsa_exception_fp_ieee_invalid_op 0
		.amdhsa_exception_fp_denorm_src 0
		.amdhsa_exception_fp_ieee_div_zero 0
		.amdhsa_exception_fp_ieee_overflow 0
		.amdhsa_exception_fp_ieee_underflow 0
		.amdhsa_exception_fp_ieee_inexact 0
		.amdhsa_exception_int_div_zero 0
	.end_amdhsa_kernel
	.section	.text._Z6kernelI14inclusive_scanILN6hipcub18BlockScanAlgorithmE0EEdLj64ELj1ELj100EEvPKT0_PS4_S4_,"axG",@progbits,_Z6kernelI14inclusive_scanILN6hipcub18BlockScanAlgorithmE0EEdLj64ELj1ELj100EEvPKT0_PS4_S4_,comdat
.Lfunc_end66:
	.size	_Z6kernelI14inclusive_scanILN6hipcub18BlockScanAlgorithmE0EEdLj64ELj1ELj100EEvPKT0_PS4_S4_, .Lfunc_end66-_Z6kernelI14inclusive_scanILN6hipcub18BlockScanAlgorithmE0EEdLj64ELj1ELj100EEvPKT0_PS4_S4_
                                        ; -- End function
	.set _Z6kernelI14inclusive_scanILN6hipcub18BlockScanAlgorithmE0EEdLj64ELj1ELj100EEvPKT0_PS4_S4_.num_vgpr, 8
	.set _Z6kernelI14inclusive_scanILN6hipcub18BlockScanAlgorithmE0EEdLj64ELj1ELj100EEvPKT0_PS4_S4_.num_agpr, 0
	.set _Z6kernelI14inclusive_scanILN6hipcub18BlockScanAlgorithmE0EEdLj64ELj1ELj100EEvPKT0_PS4_S4_.numbered_sgpr, 17
	.set _Z6kernelI14inclusive_scanILN6hipcub18BlockScanAlgorithmE0EEdLj64ELj1ELj100EEvPKT0_PS4_S4_.num_named_barrier, 0
	.set _Z6kernelI14inclusive_scanILN6hipcub18BlockScanAlgorithmE0EEdLj64ELj1ELj100EEvPKT0_PS4_S4_.private_seg_size, 0
	.set _Z6kernelI14inclusive_scanILN6hipcub18BlockScanAlgorithmE0EEdLj64ELj1ELj100EEvPKT0_PS4_S4_.uses_vcc, 1
	.set _Z6kernelI14inclusive_scanILN6hipcub18BlockScanAlgorithmE0EEdLj64ELj1ELj100EEvPKT0_PS4_S4_.uses_flat_scratch, 0
	.set _Z6kernelI14inclusive_scanILN6hipcub18BlockScanAlgorithmE0EEdLj64ELj1ELj100EEvPKT0_PS4_S4_.has_dyn_sized_stack, 0
	.set _Z6kernelI14inclusive_scanILN6hipcub18BlockScanAlgorithmE0EEdLj64ELj1ELj100EEvPKT0_PS4_S4_.has_recursion, 0
	.set _Z6kernelI14inclusive_scanILN6hipcub18BlockScanAlgorithmE0EEdLj64ELj1ELj100EEvPKT0_PS4_S4_.has_indirect_call, 0
	.section	.AMDGPU.csdata,"",@progbits
; Kernel info:
; codeLenInByte = 440
; TotalNumSgprs: 21
; NumVgprs: 8
; ScratchSize: 0
; MemoryBound: 0
; FloatMode: 240
; IeeeMode: 1
; LDSByteSize: 8 bytes/workgroup (compile time only)
; SGPRBlocks: 2
; VGPRBlocks: 1
; NumSGPRsForWavesPerEU: 21
; NumVGPRsForWavesPerEU: 8
; Occupancy: 10
; WaveLimiterHint : 0
; COMPUTE_PGM_RSRC2:SCRATCH_EN: 0
; COMPUTE_PGM_RSRC2:USER_SGPR: 6
; COMPUTE_PGM_RSRC2:TRAP_HANDLER: 0
; COMPUTE_PGM_RSRC2:TGID_X_EN: 1
; COMPUTE_PGM_RSRC2:TGID_Y_EN: 0
; COMPUTE_PGM_RSRC2:TGID_Z_EN: 0
; COMPUTE_PGM_RSRC2:TIDIG_COMP_CNT: 0
	.section	.text._Z6kernelI14inclusive_scanILN6hipcub18BlockScanAlgorithmE0EEdLj64ELj3ELj100EEvPKT0_PS4_S4_,"axG",@progbits,_Z6kernelI14inclusive_scanILN6hipcub18BlockScanAlgorithmE0EEdLj64ELj3ELj100EEvPKT0_PS4_S4_,comdat
	.protected	_Z6kernelI14inclusive_scanILN6hipcub18BlockScanAlgorithmE0EEdLj64ELj3ELj100EEvPKT0_PS4_S4_ ; -- Begin function _Z6kernelI14inclusive_scanILN6hipcub18BlockScanAlgorithmE0EEdLj64ELj3ELj100EEvPKT0_PS4_S4_
	.globl	_Z6kernelI14inclusive_scanILN6hipcub18BlockScanAlgorithmE0EEdLj64ELj3ELj100EEvPKT0_PS4_S4_
	.p2align	8
	.type	_Z6kernelI14inclusive_scanILN6hipcub18BlockScanAlgorithmE0EEdLj64ELj3ELj100EEvPKT0_PS4_S4_,@function
_Z6kernelI14inclusive_scanILN6hipcub18BlockScanAlgorithmE0EEdLj64ELj3ELj100EEvPKT0_PS4_S4_: ; @_Z6kernelI14inclusive_scanILN6hipcub18BlockScanAlgorithmE0EEdLj64ELj3ELj100EEvPKT0_PS4_S4_
; %bb.0:
	s_load_dword s0, s[4:5], 0x24
	s_load_dwordx4 s[12:15], s[4:5], 0x0
	v_mov_b32_e32 v2, 0
	v_mov_b32_e32 v6, v2
	v_cmp_eq_u32_e64 s[10:11], 63, v0
	s_waitcnt lgkmcnt(0)
	s_and_b32 s0, s0, 0xffff
	s_mul_i32 s6, s6, s0
	v_add_u32_e32 v1, s6, v0
	v_lshl_add_u32 v1, v1, 1, v1
	v_lshlrev_b64 v[3:4], 3, v[1:2]
	v_mov_b32_e32 v5, s13
	v_add_co_u32_e32 v15, vcc, s12, v3
	v_addc_co_u32_e32 v16, vcc, v5, v4, vcc
	v_add_u32_e32 v5, 1, v1
	v_lshlrev_b64 v[5:6], 3, v[5:6]
	v_mov_b32_e32 v7, s13
	v_add_co_u32_e32 v17, vcc, s12, v5
	v_add_u32_e32 v1, 2, v1
	v_addc_co_u32_e32 v18, vcc, v7, v6, vcc
	v_lshlrev_b64 v[7:8], 3, v[1:2]
	v_mov_b32_e32 v1, s13
	v_add_co_u32_e32 v19, vcc, s12, v7
	v_addc_co_u32_e32 v20, vcc, v1, v8, vcc
	global_load_dwordx2 v[13:14], v[15:16], off
	global_load_dwordx2 v[11:12], v[17:18], off
	;; [unrolled: 1-line block ×3, first 2 shown]
	v_mbcnt_lo_u32_b32 v1, -1, 0
	v_mbcnt_hi_u32_b32 v1, -1, v1
	v_and_b32_e32 v15, 15, v1
	v_cmp_ne_u32_e32 vcc, 0, v15
	v_cmp_lt_u32_e64 s[0:1], 1, v15
	v_cmp_lt_u32_e64 s[2:3], 3, v15
	;; [unrolled: 1-line block ×3, first 2 shown]
	v_and_b32_e32 v15, 16, v1
	v_cmp_ne_u32_e64 s[6:7], 0, v15
	v_add_u32_e32 v15, -1, v1
	v_and_b32_e32 v16, 64, v1
	v_cmp_lt_i32_e64 s[12:13], v15, v16
	v_cmp_lt_u32_e64 s[8:9], 31, v1
	v_cndmask_b32_e64 v1, v15, v1, s[12:13]
	v_lshlrev_b32_e32 v17, 2, v1
	v_cmp_eq_u32_e64 s[12:13], 0, v0
	s_movk_i32 s18, 0x64
	s_branch .LBB67_2
.LBB67_1:                               ;   in Loop: Header=BB67_2 Depth=1
	s_or_b64 exec, exec, s[16:17]
	ds_bpermute_b32 v0, v17, v0
	ds_bpermute_b32 v1, v17, v1
	s_add_i32 s18, s18, -1
	s_cmp_lg_u32 s18, 0
	s_waitcnt lgkmcnt(0)
	; wave barrier
	v_add_f64 v[0:1], v[13:14], v[0:1]
	v_cndmask_b32_e64 v14, v1, v14, s[12:13]
	v_cndmask_b32_e64 v13, v0, v13, s[12:13]
	v_add_f64 v[11:12], v[11:12], v[13:14]
	v_add_f64 v[9:10], v[9:10], v[11:12]
	s_cbranch_scc0 .LBB67_14
.LBB67_2:                               ; =>This Inner Loop Header: Depth=1
	s_waitcnt vmcnt(1)
	v_add_f64 v[0:1], v[13:14], v[11:12]
	s_waitcnt vmcnt(0)
	v_add_f64 v[0:1], v[9:10], v[0:1]
	s_nop 1
	v_mov_b32_dpp v15, v0 row_shr:1 row_mask:0xf bank_mask:0xf
	v_mov_b32_dpp v16, v1 row_shr:1 row_mask:0xf bank_mask:0xf
	s_and_saveexec_b64 s[16:17], vcc
; %bb.3:                                ;   in Loop: Header=BB67_2 Depth=1
	v_add_f64 v[0:1], v[0:1], v[15:16]
; %bb.4:                                ;   in Loop: Header=BB67_2 Depth=1
	s_or_b64 exec, exec, s[16:17]
	s_nop 0
	v_mov_b32_dpp v15, v0 row_shr:2 row_mask:0xf bank_mask:0xf
	v_mov_b32_dpp v16, v1 row_shr:2 row_mask:0xf bank_mask:0xf
	s_and_saveexec_b64 s[16:17], s[0:1]
; %bb.5:                                ;   in Loop: Header=BB67_2 Depth=1
	v_add_f64 v[0:1], v[0:1], v[15:16]
; %bb.6:                                ;   in Loop: Header=BB67_2 Depth=1
	s_or_b64 exec, exec, s[16:17]
	s_nop 0
	v_mov_b32_dpp v15, v0 row_shr:4 row_mask:0xf bank_mask:0xf
	v_mov_b32_dpp v16, v1 row_shr:4 row_mask:0xf bank_mask:0xf
	s_and_saveexec_b64 s[16:17], s[2:3]
	;; [unrolled: 8-line block ×3, first 2 shown]
; %bb.9:                                ;   in Loop: Header=BB67_2 Depth=1
	v_add_f64 v[0:1], v[0:1], v[15:16]
; %bb.10:                               ;   in Loop: Header=BB67_2 Depth=1
	s_or_b64 exec, exec, s[16:17]
	s_nop 0
	v_mov_b32_dpp v15, v0 row_bcast:15 row_mask:0xf bank_mask:0xf
	v_mov_b32_dpp v16, v1 row_bcast:15 row_mask:0xf bank_mask:0xf
	s_and_saveexec_b64 s[16:17], s[6:7]
; %bb.11:                               ;   in Loop: Header=BB67_2 Depth=1
	v_add_f64 v[0:1], v[0:1], v[15:16]
; %bb.12:                               ;   in Loop: Header=BB67_2 Depth=1
	s_or_b64 exec, exec, s[16:17]
	s_nop 0
	v_mov_b32_dpp v15, v0 row_bcast:31 row_mask:0xf bank_mask:0xf
	v_mov_b32_dpp v16, v1 row_bcast:31 row_mask:0xf bank_mask:0xf
	v_add_f64 v[15:16], v[0:1], v[15:16]
	v_cndmask_b32_e64 v1, v1, v16, s[8:9]
	v_cndmask_b32_e64 v0, v0, v15, s[8:9]
	s_and_saveexec_b64 s[16:17], s[10:11]
	s_cbranch_execz .LBB67_1
; %bb.13:                               ;   in Loop: Header=BB67_2 Depth=1
	ds_write_b64 v2, v[0:1]
	s_branch .LBB67_1
.LBB67_14:
	v_mov_b32_e32 v1, s15
	v_add_co_u32_e32 v0, vcc, s14, v3
	v_addc_co_u32_e32 v1, vcc, v1, v4, vcc
	global_store_dwordx2 v[0:1], v[13:14], off
	v_mov_b32_e32 v1, s15
	v_add_co_u32_e32 v0, vcc, s14, v5
	v_addc_co_u32_e32 v1, vcc, v1, v6, vcc
	global_store_dwordx2 v[0:1], v[11:12], off
	;; [unrolled: 4-line block ×3, first 2 shown]
	s_endpgm
	.section	.rodata,"a",@progbits
	.p2align	6, 0x0
	.amdhsa_kernel _Z6kernelI14inclusive_scanILN6hipcub18BlockScanAlgorithmE0EEdLj64ELj3ELj100EEvPKT0_PS4_S4_
		.amdhsa_group_segment_fixed_size 8
		.amdhsa_private_segment_fixed_size 0
		.amdhsa_kernarg_size 280
		.amdhsa_user_sgpr_count 6
		.amdhsa_user_sgpr_private_segment_buffer 1
		.amdhsa_user_sgpr_dispatch_ptr 0
		.amdhsa_user_sgpr_queue_ptr 0
		.amdhsa_user_sgpr_kernarg_segment_ptr 1
		.amdhsa_user_sgpr_dispatch_id 0
		.amdhsa_user_sgpr_flat_scratch_init 0
		.amdhsa_user_sgpr_private_segment_size 0
		.amdhsa_uses_dynamic_stack 0
		.amdhsa_system_sgpr_private_segment_wavefront_offset 0
		.amdhsa_system_sgpr_workgroup_id_x 1
		.amdhsa_system_sgpr_workgroup_id_y 0
		.amdhsa_system_sgpr_workgroup_id_z 0
		.amdhsa_system_sgpr_workgroup_info 0
		.amdhsa_system_vgpr_workitem_id 0
		.amdhsa_next_free_vgpr 21
		.amdhsa_next_free_sgpr 19
		.amdhsa_reserve_vcc 1
		.amdhsa_reserve_flat_scratch 0
		.amdhsa_float_round_mode_32 0
		.amdhsa_float_round_mode_16_64 0
		.amdhsa_float_denorm_mode_32 3
		.amdhsa_float_denorm_mode_16_64 3
		.amdhsa_dx10_clamp 1
		.amdhsa_ieee_mode 1
		.amdhsa_fp16_overflow 0
		.amdhsa_exception_fp_ieee_invalid_op 0
		.amdhsa_exception_fp_denorm_src 0
		.amdhsa_exception_fp_ieee_div_zero 0
		.amdhsa_exception_fp_ieee_overflow 0
		.amdhsa_exception_fp_ieee_underflow 0
		.amdhsa_exception_fp_ieee_inexact 0
		.amdhsa_exception_int_div_zero 0
	.end_amdhsa_kernel
	.section	.text._Z6kernelI14inclusive_scanILN6hipcub18BlockScanAlgorithmE0EEdLj64ELj3ELj100EEvPKT0_PS4_S4_,"axG",@progbits,_Z6kernelI14inclusive_scanILN6hipcub18BlockScanAlgorithmE0EEdLj64ELj3ELj100EEvPKT0_PS4_S4_,comdat
.Lfunc_end67:
	.size	_Z6kernelI14inclusive_scanILN6hipcub18BlockScanAlgorithmE0EEdLj64ELj3ELj100EEvPKT0_PS4_S4_, .Lfunc_end67-_Z6kernelI14inclusive_scanILN6hipcub18BlockScanAlgorithmE0EEdLj64ELj3ELj100EEvPKT0_PS4_S4_
                                        ; -- End function
	.set _Z6kernelI14inclusive_scanILN6hipcub18BlockScanAlgorithmE0EEdLj64ELj3ELj100EEvPKT0_PS4_S4_.num_vgpr, 21
	.set _Z6kernelI14inclusive_scanILN6hipcub18BlockScanAlgorithmE0EEdLj64ELj3ELj100EEvPKT0_PS4_S4_.num_agpr, 0
	.set _Z6kernelI14inclusive_scanILN6hipcub18BlockScanAlgorithmE0EEdLj64ELj3ELj100EEvPKT0_PS4_S4_.numbered_sgpr, 19
	.set _Z6kernelI14inclusive_scanILN6hipcub18BlockScanAlgorithmE0EEdLj64ELj3ELj100EEvPKT0_PS4_S4_.num_named_barrier, 0
	.set _Z6kernelI14inclusive_scanILN6hipcub18BlockScanAlgorithmE0EEdLj64ELj3ELj100EEvPKT0_PS4_S4_.private_seg_size, 0
	.set _Z6kernelI14inclusive_scanILN6hipcub18BlockScanAlgorithmE0EEdLj64ELj3ELj100EEvPKT0_PS4_S4_.uses_vcc, 1
	.set _Z6kernelI14inclusive_scanILN6hipcub18BlockScanAlgorithmE0EEdLj64ELj3ELj100EEvPKT0_PS4_S4_.uses_flat_scratch, 0
	.set _Z6kernelI14inclusive_scanILN6hipcub18BlockScanAlgorithmE0EEdLj64ELj3ELj100EEvPKT0_PS4_S4_.has_dyn_sized_stack, 0
	.set _Z6kernelI14inclusive_scanILN6hipcub18BlockScanAlgorithmE0EEdLj64ELj3ELj100EEvPKT0_PS4_S4_.has_recursion, 0
	.set _Z6kernelI14inclusive_scanILN6hipcub18BlockScanAlgorithmE0EEdLj64ELj3ELj100EEvPKT0_PS4_S4_.has_indirect_call, 0
	.section	.AMDGPU.csdata,"",@progbits
; Kernel info:
; codeLenInByte = 672
; TotalNumSgprs: 23
; NumVgprs: 21
; ScratchSize: 0
; MemoryBound: 0
; FloatMode: 240
; IeeeMode: 1
; LDSByteSize: 8 bytes/workgroup (compile time only)
; SGPRBlocks: 2
; VGPRBlocks: 5
; NumSGPRsForWavesPerEU: 23
; NumVGPRsForWavesPerEU: 21
; Occupancy: 10
; WaveLimiterHint : 0
; COMPUTE_PGM_RSRC2:SCRATCH_EN: 0
; COMPUTE_PGM_RSRC2:USER_SGPR: 6
; COMPUTE_PGM_RSRC2:TRAP_HANDLER: 0
; COMPUTE_PGM_RSRC2:TGID_X_EN: 1
; COMPUTE_PGM_RSRC2:TGID_Y_EN: 0
; COMPUTE_PGM_RSRC2:TGID_Z_EN: 0
; COMPUTE_PGM_RSRC2:TIDIG_COMP_CNT: 0
	.section	.text._Z6kernelI14inclusive_scanILN6hipcub18BlockScanAlgorithmE0EEdLj64ELj4ELj100EEvPKT0_PS4_S4_,"axG",@progbits,_Z6kernelI14inclusive_scanILN6hipcub18BlockScanAlgorithmE0EEdLj64ELj4ELj100EEvPKT0_PS4_S4_,comdat
	.protected	_Z6kernelI14inclusive_scanILN6hipcub18BlockScanAlgorithmE0EEdLj64ELj4ELj100EEvPKT0_PS4_S4_ ; -- Begin function _Z6kernelI14inclusive_scanILN6hipcub18BlockScanAlgorithmE0EEdLj64ELj4ELj100EEvPKT0_PS4_S4_
	.globl	_Z6kernelI14inclusive_scanILN6hipcub18BlockScanAlgorithmE0EEdLj64ELj4ELj100EEvPKT0_PS4_S4_
	.p2align	8
	.type	_Z6kernelI14inclusive_scanILN6hipcub18BlockScanAlgorithmE0EEdLj64ELj4ELj100EEvPKT0_PS4_S4_,@function
_Z6kernelI14inclusive_scanILN6hipcub18BlockScanAlgorithmE0EEdLj64ELj4ELj100EEvPKT0_PS4_S4_: ; @_Z6kernelI14inclusive_scanILN6hipcub18BlockScanAlgorithmE0EEdLj64ELj4ELj100EEvPKT0_PS4_S4_
; %bb.0:
	s_load_dword s0, s[4:5], 0x24
	s_load_dwordx4 s[12:15], s[4:5], 0x0
	v_mov_b32_e32 v9, 0
	v_cmp_eq_u32_e64 s[10:11], 63, v0
	s_movk_i32 s18, 0x64
	s_waitcnt lgkmcnt(0)
	s_and_b32 s0, s0, 0xffff
	s_mul_i32 s6, s6, s0
	v_add_lshl_u32 v8, s6, v0, 2
	v_lshlrev_b64 v[10:11], 3, v[8:9]
	v_mov_b32_e32 v1, s13
	v_add_co_u32_e32 v12, vcc, s12, v10
	v_addc_co_u32_e32 v13, vcc, v1, v11, vcc
	global_load_dwordx4 v[1:4], v[12:13], off offset:16
	global_load_dwordx4 v[5:8], v[12:13], off
	v_mbcnt_lo_u32_b32 v12, -1, 0
	v_mbcnt_hi_u32_b32 v12, -1, v12
	v_and_b32_e32 v13, 15, v12
	v_cmp_ne_u32_e32 vcc, 0, v13
	v_cmp_lt_u32_e64 s[0:1], 1, v13
	v_cmp_lt_u32_e64 s[2:3], 3, v13
	;; [unrolled: 1-line block ×3, first 2 shown]
	v_and_b32_e32 v13, 16, v12
	v_cmp_ne_u32_e64 s[6:7], 0, v13
	v_add_u32_e32 v13, -1, v12
	v_and_b32_e32 v14, 64, v12
	v_cmp_lt_i32_e64 s[12:13], v13, v14
	v_cmp_lt_u32_e64 s[8:9], 31, v12
	v_cndmask_b32_e64 v12, v13, v12, s[12:13]
	v_lshlrev_b32_e32 v16, 2, v12
	v_cmp_eq_u32_e64 s[12:13], 0, v0
	s_branch .LBB68_2
.LBB68_1:                               ;   in Loop: Header=BB68_2 Depth=1
	s_or_b64 exec, exec, s[16:17]
	ds_bpermute_b32 v12, v16, v12
	ds_bpermute_b32 v13, v16, v13
	s_add_i32 s18, s18, -1
	s_cmp_lg_u32 s18, 0
	s_waitcnt lgkmcnt(0)
	; wave barrier
	v_add_f64 v[12:13], v[5:6], v[12:13]
	v_cndmask_b32_e64 v6, v13, v6, s[12:13]
	v_cndmask_b32_e64 v5, v12, v5, s[12:13]
	v_add_f64 v[7:8], v[7:8], v[5:6]
	v_add_f64 v[1:2], v[1:2], v[7:8]
	;; [unrolled: 1-line block ×3, first 2 shown]
	s_cbranch_scc0 .LBB68_14
.LBB68_2:                               ; =>This Inner Loop Header: Depth=1
	s_waitcnt vmcnt(0)
	v_add_f64 v[12:13], v[5:6], v[7:8]
	v_add_f64 v[12:13], v[1:2], v[12:13]
	;; [unrolled: 1-line block ×3, first 2 shown]
	s_nop 1
	v_mov_b32_dpp v14, v12 row_shr:1 row_mask:0xf bank_mask:0xf
	v_mov_b32_dpp v15, v13 row_shr:1 row_mask:0xf bank_mask:0xf
	s_and_saveexec_b64 s[16:17], vcc
; %bb.3:                                ;   in Loop: Header=BB68_2 Depth=1
	v_add_f64 v[12:13], v[12:13], v[14:15]
; %bb.4:                                ;   in Loop: Header=BB68_2 Depth=1
	s_or_b64 exec, exec, s[16:17]
	s_nop 0
	v_mov_b32_dpp v14, v12 row_shr:2 row_mask:0xf bank_mask:0xf
	v_mov_b32_dpp v15, v13 row_shr:2 row_mask:0xf bank_mask:0xf
	s_and_saveexec_b64 s[16:17], s[0:1]
; %bb.5:                                ;   in Loop: Header=BB68_2 Depth=1
	v_add_f64 v[12:13], v[12:13], v[14:15]
; %bb.6:                                ;   in Loop: Header=BB68_2 Depth=1
	s_or_b64 exec, exec, s[16:17]
	s_nop 0
	v_mov_b32_dpp v14, v12 row_shr:4 row_mask:0xf bank_mask:0xf
	v_mov_b32_dpp v15, v13 row_shr:4 row_mask:0xf bank_mask:0xf
	s_and_saveexec_b64 s[16:17], s[2:3]
	;; [unrolled: 8-line block ×3, first 2 shown]
; %bb.9:                                ;   in Loop: Header=BB68_2 Depth=1
	v_add_f64 v[12:13], v[12:13], v[14:15]
; %bb.10:                               ;   in Loop: Header=BB68_2 Depth=1
	s_or_b64 exec, exec, s[16:17]
	s_nop 0
	v_mov_b32_dpp v14, v12 row_bcast:15 row_mask:0xf bank_mask:0xf
	v_mov_b32_dpp v15, v13 row_bcast:15 row_mask:0xf bank_mask:0xf
	s_and_saveexec_b64 s[16:17], s[6:7]
; %bb.11:                               ;   in Loop: Header=BB68_2 Depth=1
	v_add_f64 v[12:13], v[12:13], v[14:15]
; %bb.12:                               ;   in Loop: Header=BB68_2 Depth=1
	s_or_b64 exec, exec, s[16:17]
	s_nop 0
	v_mov_b32_dpp v14, v12 row_bcast:31 row_mask:0xf bank_mask:0xf
	v_mov_b32_dpp v15, v13 row_bcast:31 row_mask:0xf bank_mask:0xf
	v_add_f64 v[14:15], v[12:13], v[14:15]
	v_cndmask_b32_e64 v13, v13, v15, s[8:9]
	v_cndmask_b32_e64 v12, v12, v14, s[8:9]
	s_and_saveexec_b64 s[16:17], s[10:11]
	s_cbranch_execz .LBB68_1
; %bb.13:                               ;   in Loop: Header=BB68_2 Depth=1
	ds_write_b64 v9, v[12:13]
	s_branch .LBB68_1
.LBB68_14:
	v_mov_b32_e32 v0, s15
	v_add_co_u32_e32 v9, vcc, s14, v10
	v_addc_co_u32_e32 v10, vcc, v0, v11, vcc
	global_store_dwordx4 v[9:10], v[5:8], off
	global_store_dwordx4 v[9:10], v[1:4], off offset:16
	s_endpgm
	.section	.rodata,"a",@progbits
	.p2align	6, 0x0
	.amdhsa_kernel _Z6kernelI14inclusive_scanILN6hipcub18BlockScanAlgorithmE0EEdLj64ELj4ELj100EEvPKT0_PS4_S4_
		.amdhsa_group_segment_fixed_size 8
		.amdhsa_private_segment_fixed_size 0
		.amdhsa_kernarg_size 280
		.amdhsa_user_sgpr_count 6
		.amdhsa_user_sgpr_private_segment_buffer 1
		.amdhsa_user_sgpr_dispatch_ptr 0
		.amdhsa_user_sgpr_queue_ptr 0
		.amdhsa_user_sgpr_kernarg_segment_ptr 1
		.amdhsa_user_sgpr_dispatch_id 0
		.amdhsa_user_sgpr_flat_scratch_init 0
		.amdhsa_user_sgpr_private_segment_size 0
		.amdhsa_uses_dynamic_stack 0
		.amdhsa_system_sgpr_private_segment_wavefront_offset 0
		.amdhsa_system_sgpr_workgroup_id_x 1
		.amdhsa_system_sgpr_workgroup_id_y 0
		.amdhsa_system_sgpr_workgroup_id_z 0
		.amdhsa_system_sgpr_workgroup_info 0
		.amdhsa_system_vgpr_workitem_id 0
		.amdhsa_next_free_vgpr 17
		.amdhsa_next_free_sgpr 19
		.amdhsa_reserve_vcc 1
		.amdhsa_reserve_flat_scratch 0
		.amdhsa_float_round_mode_32 0
		.amdhsa_float_round_mode_16_64 0
		.amdhsa_float_denorm_mode_32 3
		.amdhsa_float_denorm_mode_16_64 3
		.amdhsa_dx10_clamp 1
		.amdhsa_ieee_mode 1
		.amdhsa_fp16_overflow 0
		.amdhsa_exception_fp_ieee_invalid_op 0
		.amdhsa_exception_fp_denorm_src 0
		.amdhsa_exception_fp_ieee_div_zero 0
		.amdhsa_exception_fp_ieee_overflow 0
		.amdhsa_exception_fp_ieee_underflow 0
		.amdhsa_exception_fp_ieee_inexact 0
		.amdhsa_exception_int_div_zero 0
	.end_amdhsa_kernel
	.section	.text._Z6kernelI14inclusive_scanILN6hipcub18BlockScanAlgorithmE0EEdLj64ELj4ELj100EEvPKT0_PS4_S4_,"axG",@progbits,_Z6kernelI14inclusive_scanILN6hipcub18BlockScanAlgorithmE0EEdLj64ELj4ELj100EEvPKT0_PS4_S4_,comdat
.Lfunc_end68:
	.size	_Z6kernelI14inclusive_scanILN6hipcub18BlockScanAlgorithmE0EEdLj64ELj4ELj100EEvPKT0_PS4_S4_, .Lfunc_end68-_Z6kernelI14inclusive_scanILN6hipcub18BlockScanAlgorithmE0EEdLj64ELj4ELj100EEvPKT0_PS4_S4_
                                        ; -- End function
	.set _Z6kernelI14inclusive_scanILN6hipcub18BlockScanAlgorithmE0EEdLj64ELj4ELj100EEvPKT0_PS4_S4_.num_vgpr, 17
	.set _Z6kernelI14inclusive_scanILN6hipcub18BlockScanAlgorithmE0EEdLj64ELj4ELj100EEvPKT0_PS4_S4_.num_agpr, 0
	.set _Z6kernelI14inclusive_scanILN6hipcub18BlockScanAlgorithmE0EEdLj64ELj4ELj100EEvPKT0_PS4_S4_.numbered_sgpr, 19
	.set _Z6kernelI14inclusive_scanILN6hipcub18BlockScanAlgorithmE0EEdLj64ELj4ELj100EEvPKT0_PS4_S4_.num_named_barrier, 0
	.set _Z6kernelI14inclusive_scanILN6hipcub18BlockScanAlgorithmE0EEdLj64ELj4ELj100EEvPKT0_PS4_S4_.private_seg_size, 0
	.set _Z6kernelI14inclusive_scanILN6hipcub18BlockScanAlgorithmE0EEdLj64ELj4ELj100EEvPKT0_PS4_S4_.uses_vcc, 1
	.set _Z6kernelI14inclusive_scanILN6hipcub18BlockScanAlgorithmE0EEdLj64ELj4ELj100EEvPKT0_PS4_S4_.uses_flat_scratch, 0
	.set _Z6kernelI14inclusive_scanILN6hipcub18BlockScanAlgorithmE0EEdLj64ELj4ELj100EEvPKT0_PS4_S4_.has_dyn_sized_stack, 0
	.set _Z6kernelI14inclusive_scanILN6hipcub18BlockScanAlgorithmE0EEdLj64ELj4ELj100EEvPKT0_PS4_S4_.has_recursion, 0
	.set _Z6kernelI14inclusive_scanILN6hipcub18BlockScanAlgorithmE0EEdLj64ELj4ELj100EEvPKT0_PS4_S4_.has_indirect_call, 0
	.section	.AMDGPU.csdata,"",@progbits
; Kernel info:
; codeLenInByte = 588
; TotalNumSgprs: 23
; NumVgprs: 17
; ScratchSize: 0
; MemoryBound: 0
; FloatMode: 240
; IeeeMode: 1
; LDSByteSize: 8 bytes/workgroup (compile time only)
; SGPRBlocks: 2
; VGPRBlocks: 4
; NumSGPRsForWavesPerEU: 23
; NumVGPRsForWavesPerEU: 17
; Occupancy: 10
; WaveLimiterHint : 0
; COMPUTE_PGM_RSRC2:SCRATCH_EN: 0
; COMPUTE_PGM_RSRC2:USER_SGPR: 6
; COMPUTE_PGM_RSRC2:TRAP_HANDLER: 0
; COMPUTE_PGM_RSRC2:TGID_X_EN: 1
; COMPUTE_PGM_RSRC2:TGID_Y_EN: 0
; COMPUTE_PGM_RSRC2:TGID_Z_EN: 0
; COMPUTE_PGM_RSRC2:TIDIG_COMP_CNT: 0
	.section	.text._Z6kernelI14inclusive_scanILN6hipcub18BlockScanAlgorithmE0EEdLj64ELj8ELj100EEvPKT0_PS4_S4_,"axG",@progbits,_Z6kernelI14inclusive_scanILN6hipcub18BlockScanAlgorithmE0EEdLj64ELj8ELj100EEvPKT0_PS4_S4_,comdat
	.protected	_Z6kernelI14inclusive_scanILN6hipcub18BlockScanAlgorithmE0EEdLj64ELj8ELj100EEvPKT0_PS4_S4_ ; -- Begin function _Z6kernelI14inclusive_scanILN6hipcub18BlockScanAlgorithmE0EEdLj64ELj8ELj100EEvPKT0_PS4_S4_
	.globl	_Z6kernelI14inclusive_scanILN6hipcub18BlockScanAlgorithmE0EEdLj64ELj8ELj100EEvPKT0_PS4_S4_
	.p2align	8
	.type	_Z6kernelI14inclusive_scanILN6hipcub18BlockScanAlgorithmE0EEdLj64ELj8ELj100EEvPKT0_PS4_S4_,@function
_Z6kernelI14inclusive_scanILN6hipcub18BlockScanAlgorithmE0EEdLj64ELj8ELj100EEvPKT0_PS4_S4_: ; @_Z6kernelI14inclusive_scanILN6hipcub18BlockScanAlgorithmE0EEdLj64ELj8ELj100EEvPKT0_PS4_S4_
; %bb.0:
	s_load_dword s0, s[4:5], 0x24
	s_load_dwordx4 s[12:15], s[4:5], 0x0
	v_mov_b32_e32 v17, 0
	v_cmp_eq_u32_e64 s[10:11], 63, v0
	s_movk_i32 s18, 0x64
	s_waitcnt lgkmcnt(0)
	s_and_b32 s0, s0, 0xffff
	s_mul_i32 s6, s6, s0
	v_add_lshl_u32 v16, s6, v0, 3
	v_lshlrev_b64 v[18:19], 3, v[16:17]
	v_mov_b32_e32 v1, s13
	v_add_co_u32_e32 v20, vcc, s12, v18
	v_addc_co_u32_e32 v21, vcc, v1, v19, vcc
	global_load_dwordx4 v[1:4], v[20:21], off offset:48
	global_load_dwordx4 v[5:8], v[20:21], off offset:32
	;; [unrolled: 1-line block ×3, first 2 shown]
	global_load_dwordx4 v[13:16], v[20:21], off
	v_mbcnt_lo_u32_b32 v20, -1, 0
	v_mbcnt_hi_u32_b32 v20, -1, v20
	v_and_b32_e32 v21, 15, v20
	v_cmp_ne_u32_e32 vcc, 0, v21
	v_cmp_lt_u32_e64 s[0:1], 1, v21
	v_cmp_lt_u32_e64 s[2:3], 3, v21
	;; [unrolled: 1-line block ×3, first 2 shown]
	v_and_b32_e32 v21, 16, v20
	v_cmp_ne_u32_e64 s[6:7], 0, v21
	v_add_u32_e32 v21, -1, v20
	v_and_b32_e32 v22, 64, v20
	v_cmp_lt_i32_e64 s[12:13], v21, v22
	v_cmp_lt_u32_e64 s[8:9], 31, v20
	v_cndmask_b32_e64 v20, v21, v20, s[12:13]
	v_lshlrev_b32_e32 v24, 2, v20
	v_cmp_eq_u32_e64 s[12:13], 0, v0
	s_branch .LBB69_2
.LBB69_1:                               ;   in Loop: Header=BB69_2 Depth=1
	s_or_b64 exec, exec, s[16:17]
	ds_bpermute_b32 v20, v24, v20
	ds_bpermute_b32 v21, v24, v21
	s_add_i32 s18, s18, -1
	s_cmp_lg_u32 s18, 0
	s_waitcnt lgkmcnt(0)
	; wave barrier
	v_add_f64 v[20:21], v[13:14], v[20:21]
	v_cndmask_b32_e64 v14, v21, v14, s[12:13]
	v_cndmask_b32_e64 v13, v20, v13, s[12:13]
	v_add_f64 v[15:16], v[15:16], v[13:14]
	v_add_f64 v[9:10], v[9:10], v[15:16]
	;; [unrolled: 1-line block ×7, first 2 shown]
	s_cbranch_scc0 .LBB69_14
.LBB69_2:                               ; =>This Inner Loop Header: Depth=1
	s_waitcnt vmcnt(0)
	v_add_f64 v[20:21], v[15:16], v[13:14]
	v_add_f64 v[20:21], v[9:10], v[20:21]
	;; [unrolled: 1-line block ×7, first 2 shown]
	s_nop 1
	v_mov_b32_dpp v22, v20 row_shr:1 row_mask:0xf bank_mask:0xf
	v_mov_b32_dpp v23, v21 row_shr:1 row_mask:0xf bank_mask:0xf
	s_and_saveexec_b64 s[16:17], vcc
; %bb.3:                                ;   in Loop: Header=BB69_2 Depth=1
	v_add_f64 v[20:21], v[20:21], v[22:23]
; %bb.4:                                ;   in Loop: Header=BB69_2 Depth=1
	s_or_b64 exec, exec, s[16:17]
	s_nop 0
	v_mov_b32_dpp v22, v20 row_shr:2 row_mask:0xf bank_mask:0xf
	v_mov_b32_dpp v23, v21 row_shr:2 row_mask:0xf bank_mask:0xf
	s_and_saveexec_b64 s[16:17], s[0:1]
; %bb.5:                                ;   in Loop: Header=BB69_2 Depth=1
	v_add_f64 v[20:21], v[20:21], v[22:23]
; %bb.6:                                ;   in Loop: Header=BB69_2 Depth=1
	s_or_b64 exec, exec, s[16:17]
	s_nop 0
	v_mov_b32_dpp v22, v20 row_shr:4 row_mask:0xf bank_mask:0xf
	v_mov_b32_dpp v23, v21 row_shr:4 row_mask:0xf bank_mask:0xf
	s_and_saveexec_b64 s[16:17], s[2:3]
	;; [unrolled: 8-line block ×3, first 2 shown]
; %bb.9:                                ;   in Loop: Header=BB69_2 Depth=1
	v_add_f64 v[20:21], v[20:21], v[22:23]
; %bb.10:                               ;   in Loop: Header=BB69_2 Depth=1
	s_or_b64 exec, exec, s[16:17]
	s_nop 0
	v_mov_b32_dpp v22, v20 row_bcast:15 row_mask:0xf bank_mask:0xf
	v_mov_b32_dpp v23, v21 row_bcast:15 row_mask:0xf bank_mask:0xf
	s_and_saveexec_b64 s[16:17], s[6:7]
; %bb.11:                               ;   in Loop: Header=BB69_2 Depth=1
	v_add_f64 v[20:21], v[20:21], v[22:23]
; %bb.12:                               ;   in Loop: Header=BB69_2 Depth=1
	s_or_b64 exec, exec, s[16:17]
	s_nop 0
	v_mov_b32_dpp v22, v20 row_bcast:31 row_mask:0xf bank_mask:0xf
	v_mov_b32_dpp v23, v21 row_bcast:31 row_mask:0xf bank_mask:0xf
	v_add_f64 v[22:23], v[20:21], v[22:23]
	v_cndmask_b32_e64 v21, v21, v23, s[8:9]
	v_cndmask_b32_e64 v20, v20, v22, s[8:9]
	s_and_saveexec_b64 s[16:17], s[10:11]
	s_cbranch_execz .LBB69_1
; %bb.13:                               ;   in Loop: Header=BB69_2 Depth=1
	ds_write_b64 v17, v[20:21]
	s_branch .LBB69_1
.LBB69_14:
	v_mov_b32_e32 v0, s15
	v_add_co_u32_e32 v17, vcc, s14, v18
	v_addc_co_u32_e32 v18, vcc, v0, v19, vcc
	global_store_dwordx4 v[17:18], v[13:16], off
	global_store_dwordx4 v[17:18], v[9:12], off offset:16
	global_store_dwordx4 v[17:18], v[5:8], off offset:32
	;; [unrolled: 1-line block ×3, first 2 shown]
	s_endpgm
	.section	.rodata,"a",@progbits
	.p2align	6, 0x0
	.amdhsa_kernel _Z6kernelI14inclusive_scanILN6hipcub18BlockScanAlgorithmE0EEdLj64ELj8ELj100EEvPKT0_PS4_S4_
		.amdhsa_group_segment_fixed_size 8
		.amdhsa_private_segment_fixed_size 0
		.amdhsa_kernarg_size 280
		.amdhsa_user_sgpr_count 6
		.amdhsa_user_sgpr_private_segment_buffer 1
		.amdhsa_user_sgpr_dispatch_ptr 0
		.amdhsa_user_sgpr_queue_ptr 0
		.amdhsa_user_sgpr_kernarg_segment_ptr 1
		.amdhsa_user_sgpr_dispatch_id 0
		.amdhsa_user_sgpr_flat_scratch_init 0
		.amdhsa_user_sgpr_private_segment_size 0
		.amdhsa_uses_dynamic_stack 0
		.amdhsa_system_sgpr_private_segment_wavefront_offset 0
		.amdhsa_system_sgpr_workgroup_id_x 1
		.amdhsa_system_sgpr_workgroup_id_y 0
		.amdhsa_system_sgpr_workgroup_id_z 0
		.amdhsa_system_sgpr_workgroup_info 0
		.amdhsa_system_vgpr_workitem_id 0
		.amdhsa_next_free_vgpr 25
		.amdhsa_next_free_sgpr 19
		.amdhsa_reserve_vcc 1
		.amdhsa_reserve_flat_scratch 0
		.amdhsa_float_round_mode_32 0
		.amdhsa_float_round_mode_16_64 0
		.amdhsa_float_denorm_mode_32 3
		.amdhsa_float_denorm_mode_16_64 3
		.amdhsa_dx10_clamp 1
		.amdhsa_ieee_mode 1
		.amdhsa_fp16_overflow 0
		.amdhsa_exception_fp_ieee_invalid_op 0
		.amdhsa_exception_fp_denorm_src 0
		.amdhsa_exception_fp_ieee_div_zero 0
		.amdhsa_exception_fp_ieee_overflow 0
		.amdhsa_exception_fp_ieee_underflow 0
		.amdhsa_exception_fp_ieee_inexact 0
		.amdhsa_exception_int_div_zero 0
	.end_amdhsa_kernel
	.section	.text._Z6kernelI14inclusive_scanILN6hipcub18BlockScanAlgorithmE0EEdLj64ELj8ELj100EEvPKT0_PS4_S4_,"axG",@progbits,_Z6kernelI14inclusive_scanILN6hipcub18BlockScanAlgorithmE0EEdLj64ELj8ELj100EEvPKT0_PS4_S4_,comdat
.Lfunc_end69:
	.size	_Z6kernelI14inclusive_scanILN6hipcub18BlockScanAlgorithmE0EEdLj64ELj8ELj100EEvPKT0_PS4_S4_, .Lfunc_end69-_Z6kernelI14inclusive_scanILN6hipcub18BlockScanAlgorithmE0EEdLj64ELj8ELj100EEvPKT0_PS4_S4_
                                        ; -- End function
	.set _Z6kernelI14inclusive_scanILN6hipcub18BlockScanAlgorithmE0EEdLj64ELj8ELj100EEvPKT0_PS4_S4_.num_vgpr, 25
	.set _Z6kernelI14inclusive_scanILN6hipcub18BlockScanAlgorithmE0EEdLj64ELj8ELj100EEvPKT0_PS4_S4_.num_agpr, 0
	.set _Z6kernelI14inclusive_scanILN6hipcub18BlockScanAlgorithmE0EEdLj64ELj8ELj100EEvPKT0_PS4_S4_.numbered_sgpr, 19
	.set _Z6kernelI14inclusive_scanILN6hipcub18BlockScanAlgorithmE0EEdLj64ELj8ELj100EEvPKT0_PS4_S4_.num_named_barrier, 0
	.set _Z6kernelI14inclusive_scanILN6hipcub18BlockScanAlgorithmE0EEdLj64ELj8ELj100EEvPKT0_PS4_S4_.private_seg_size, 0
	.set _Z6kernelI14inclusive_scanILN6hipcub18BlockScanAlgorithmE0EEdLj64ELj8ELj100EEvPKT0_PS4_S4_.uses_vcc, 1
	.set _Z6kernelI14inclusive_scanILN6hipcub18BlockScanAlgorithmE0EEdLj64ELj8ELj100EEvPKT0_PS4_S4_.uses_flat_scratch, 0
	.set _Z6kernelI14inclusive_scanILN6hipcub18BlockScanAlgorithmE0EEdLj64ELj8ELj100EEvPKT0_PS4_S4_.has_dyn_sized_stack, 0
	.set _Z6kernelI14inclusive_scanILN6hipcub18BlockScanAlgorithmE0EEdLj64ELj8ELj100EEvPKT0_PS4_S4_.has_recursion, 0
	.set _Z6kernelI14inclusive_scanILN6hipcub18BlockScanAlgorithmE0EEdLj64ELj8ELj100EEvPKT0_PS4_S4_.has_indirect_call, 0
	.section	.AMDGPU.csdata,"",@progbits
; Kernel info:
; codeLenInByte = 684
; TotalNumSgprs: 23
; NumVgprs: 25
; ScratchSize: 0
; MemoryBound: 0
; FloatMode: 240
; IeeeMode: 1
; LDSByteSize: 8 bytes/workgroup (compile time only)
; SGPRBlocks: 2
; VGPRBlocks: 6
; NumSGPRsForWavesPerEU: 23
; NumVGPRsForWavesPerEU: 25
; Occupancy: 9
; WaveLimiterHint : 0
; COMPUTE_PGM_RSRC2:SCRATCH_EN: 0
; COMPUTE_PGM_RSRC2:USER_SGPR: 6
; COMPUTE_PGM_RSRC2:TRAP_HANDLER: 0
; COMPUTE_PGM_RSRC2:TGID_X_EN: 1
; COMPUTE_PGM_RSRC2:TGID_Y_EN: 0
; COMPUTE_PGM_RSRC2:TGID_Z_EN: 0
; COMPUTE_PGM_RSRC2:TIDIG_COMP_CNT: 0
	.section	.text._Z6kernelI14inclusive_scanILN6hipcub18BlockScanAlgorithmE0EEdLj64ELj11ELj100EEvPKT0_PS4_S4_,"axG",@progbits,_Z6kernelI14inclusive_scanILN6hipcub18BlockScanAlgorithmE0EEdLj64ELj11ELj100EEvPKT0_PS4_S4_,comdat
	.protected	_Z6kernelI14inclusive_scanILN6hipcub18BlockScanAlgorithmE0EEdLj64ELj11ELj100EEvPKT0_PS4_S4_ ; -- Begin function _Z6kernelI14inclusive_scanILN6hipcub18BlockScanAlgorithmE0EEdLj64ELj11ELj100EEvPKT0_PS4_S4_
	.globl	_Z6kernelI14inclusive_scanILN6hipcub18BlockScanAlgorithmE0EEdLj64ELj11ELj100EEvPKT0_PS4_S4_
	.p2align	8
	.type	_Z6kernelI14inclusive_scanILN6hipcub18BlockScanAlgorithmE0EEdLj64ELj11ELj100EEvPKT0_PS4_S4_,@function
_Z6kernelI14inclusive_scanILN6hipcub18BlockScanAlgorithmE0EEdLj64ELj11ELj100EEvPKT0_PS4_S4_: ; @_Z6kernelI14inclusive_scanILN6hipcub18BlockScanAlgorithmE0EEdLj64ELj11ELj100EEvPKT0_PS4_S4_
; %bb.0:
	s_load_dword s0, s[4:5], 0x24
	s_load_dwordx4 s[12:15], s[4:5], 0x0
	v_mov_b32_e32 v2, 0
	v_mov_b32_e32 v8, v2
	;; [unrolled: 1-line block ×3, first 2 shown]
	s_waitcnt lgkmcnt(0)
	s_and_b32 s0, s0, 0xffff
	s_mul_i32 s6, s6, s0
	v_add_u32_e32 v1, s6, v0
	v_mul_lo_u32 v1, v1, 11
	v_mov_b32_e32 v6, s13
	v_mov_b32_e32 v7, s13
	;; [unrolled: 1-line block ×3, first 2 shown]
	v_lshlrev_b64 v[3:4], 3, v[1:2]
	v_add_u32_e32 v5, 1, v1
	v_add_co_u32_e32 v25, vcc, s12, v3
	v_addc_co_u32_e32 v26, vcc, v6, v4, vcc
	v_mov_b32_e32 v6, v2
	v_lshlrev_b64 v[5:6], 3, v[5:6]
	v_mov_b32_e32 v11, s13
	v_add_co_u32_e32 v29, vcc, s12, v5
	v_addc_co_u32_e32 v30, vcc, v7, v6, vcc
	v_add_u32_e32 v7, 2, v1
	v_lshlrev_b64 v[7:8], 3, v[7:8]
	v_mov_b32_e32 v12, v2
	v_add_co_u32_e32 v47, vcc, s12, v7
	v_addc_co_u32_e32 v48, vcc, v9, v8, vcc
	v_add_u32_e32 v9, 3, v1
	;; [unrolled: 5-line block ×5, first 2 shown]
	v_mov_b32_e32 v16, v2
	v_lshlrev_b64 v[15:16], 3, v[15:16]
	v_mov_b32_e32 v17, s13
	v_add_co_u32_e32 v55, vcc, s12, v15
	v_addc_co_u32_e32 v56, vcc, v17, v16, vcc
	v_add_u32_e32 v17, 7, v1
	v_mov_b32_e32 v18, v2
	v_lshlrev_b64 v[17:18], 3, v[17:18]
	v_mov_b32_e32 v19, s13
	v_add_co_u32_e32 v57, vcc, s12, v17
	v_addc_co_u32_e32 v58, vcc, v19, v18, vcc
	v_add_u32_e32 v19, 8, v1
	v_mov_b32_e32 v20, v2
	v_lshlrev_b64 v[19:20], 3, v[19:20]
	v_mov_b32_e32 v21, s13
	v_add_co_u32_e32 v59, vcc, s12, v19
	v_addc_co_u32_e32 v60, vcc, v21, v20, vcc
	v_add_u32_e32 v21, 9, v1
	v_mov_b32_e32 v22, v2
	v_lshlrev_b64 v[21:22], 3, v[21:22]
	v_mov_b32_e32 v23, s13
	v_add_co_u32_e32 v61, vcc, s12, v21
	v_add_u32_e32 v1, 10, v1
	v_addc_co_u32_e32 v62, vcc, v23, v22, vcc
	v_lshlrev_b64 v[23:24], 3, v[1:2]
	v_mov_b32_e32 v27, s13
	v_add_co_u32_e32 v63, vcc, s12, v23
	v_addc_co_u32_e32 v64, vcc, v27, v24, vcc
	global_load_dwordx2 v[45:46], v[25:26], off
	global_load_dwordx2 v[43:44], v[29:30], off
	;; [unrolled: 1-line block ×9, first 2 shown]
                                        ; kill: killed $vgpr59 killed $vgpr60
                                        ; kill: killed $vgpr25 killed $vgpr26
                                        ; kill: killed $vgpr47 killed $vgpr48
                                        ; kill: killed $vgpr49 killed $vgpr50
                                        ; kill: killed $vgpr53 killed $vgpr54
                                        ; kill: killed $vgpr57 killed $vgpr58
                                        ; kill: killed $vgpr29 killed $vgpr30
                                        ; kill: killed $vgpr51 killed $vgpr52
                                        ; kill: killed $vgpr55 killed $vgpr56
	global_load_dwordx2 v[29:30], v[61:62], off
	global_load_dwordx2 v[25:26], v[63:64], off
	v_mbcnt_lo_u32_b32 v1, -1, 0
	v_mbcnt_hi_u32_b32 v1, -1, v1
	v_and_b32_e32 v47, 15, v1
	v_cmp_ne_u32_e32 vcc, 0, v47
	v_cmp_lt_u32_e64 s[0:1], 1, v47
	v_cmp_lt_u32_e64 s[2:3], 3, v47
	;; [unrolled: 1-line block ×3, first 2 shown]
	v_and_b32_e32 v47, 16, v1
	v_cmp_ne_u32_e64 s[6:7], 0, v47
	v_add_u32_e32 v47, -1, v1
	v_and_b32_e32 v48, 64, v1
	v_cmp_lt_i32_e64 s[10:11], v47, v48
	v_cmp_lt_u32_e64 s[8:9], 31, v1
	v_cndmask_b32_e64 v1, v47, v1, s[10:11]
	v_cmp_eq_u32_e64 s[10:11], 63, v0
	v_cmp_eq_u32_e64 s[12:13], 0, v0
	v_lshlrev_b32_e32 v49, 2, v1
	s_movk_i32 s18, 0x64
	s_branch .LBB70_2
.LBB70_1:                               ;   in Loop: Header=BB70_2 Depth=1
	s_or_b64 exec, exec, s[16:17]
	ds_bpermute_b32 v0, v49, v0
	ds_bpermute_b32 v1, v49, v1
	s_add_i32 s18, s18, -1
	s_cmp_lg_u32 s18, 0
	s_waitcnt lgkmcnt(0)
	; wave barrier
	v_add_f64 v[0:1], v[45:46], v[0:1]
	v_cndmask_b32_e64 v46, v1, v46, s[12:13]
	v_cndmask_b32_e64 v45, v0, v45, s[12:13]
	v_add_f64 v[43:44], v[43:44], v[45:46]
	v_add_f64 v[41:42], v[41:42], v[43:44]
	;; [unrolled: 1-line block ×10, first 2 shown]
	s_cbranch_scc0 .LBB70_14
.LBB70_2:                               ; =>This Inner Loop Header: Depth=1
	s_waitcnt vmcnt(9)
	v_add_f64 v[0:1], v[43:44], v[45:46]
	s_waitcnt vmcnt(8)
	v_add_f64 v[0:1], v[41:42], v[0:1]
	;; [unrolled: 2-line block ×10, first 2 shown]
	s_nop 1
	v_mov_b32_dpp v47, v0 row_shr:1 row_mask:0xf bank_mask:0xf
	v_mov_b32_dpp v48, v1 row_shr:1 row_mask:0xf bank_mask:0xf
	s_and_saveexec_b64 s[16:17], vcc
; %bb.3:                                ;   in Loop: Header=BB70_2 Depth=1
	v_add_f64 v[0:1], v[0:1], v[47:48]
; %bb.4:                                ;   in Loop: Header=BB70_2 Depth=1
	s_or_b64 exec, exec, s[16:17]
	s_nop 0
	v_mov_b32_dpp v47, v0 row_shr:2 row_mask:0xf bank_mask:0xf
	v_mov_b32_dpp v48, v1 row_shr:2 row_mask:0xf bank_mask:0xf
	s_and_saveexec_b64 s[16:17], s[0:1]
; %bb.5:                                ;   in Loop: Header=BB70_2 Depth=1
	v_add_f64 v[0:1], v[0:1], v[47:48]
; %bb.6:                                ;   in Loop: Header=BB70_2 Depth=1
	s_or_b64 exec, exec, s[16:17]
	s_nop 0
	v_mov_b32_dpp v47, v0 row_shr:4 row_mask:0xf bank_mask:0xf
	v_mov_b32_dpp v48, v1 row_shr:4 row_mask:0xf bank_mask:0xf
	s_and_saveexec_b64 s[16:17], s[2:3]
	;; [unrolled: 8-line block ×3, first 2 shown]
; %bb.9:                                ;   in Loop: Header=BB70_2 Depth=1
	v_add_f64 v[0:1], v[0:1], v[47:48]
; %bb.10:                               ;   in Loop: Header=BB70_2 Depth=1
	s_or_b64 exec, exec, s[16:17]
	s_nop 0
	v_mov_b32_dpp v47, v0 row_bcast:15 row_mask:0xf bank_mask:0xf
	v_mov_b32_dpp v48, v1 row_bcast:15 row_mask:0xf bank_mask:0xf
	s_and_saveexec_b64 s[16:17], s[6:7]
; %bb.11:                               ;   in Loop: Header=BB70_2 Depth=1
	v_add_f64 v[0:1], v[0:1], v[47:48]
; %bb.12:                               ;   in Loop: Header=BB70_2 Depth=1
	s_or_b64 exec, exec, s[16:17]
	s_nop 0
	v_mov_b32_dpp v47, v0 row_bcast:31 row_mask:0xf bank_mask:0xf
	v_mov_b32_dpp v48, v1 row_bcast:31 row_mask:0xf bank_mask:0xf
	v_add_f64 v[47:48], v[0:1], v[47:48]
	v_cndmask_b32_e64 v1, v1, v48, s[8:9]
	v_cndmask_b32_e64 v0, v0, v47, s[8:9]
	s_and_saveexec_b64 s[16:17], s[10:11]
	s_cbranch_execz .LBB70_1
; %bb.13:                               ;   in Loop: Header=BB70_2 Depth=1
	ds_write_b64 v2, v[0:1]
	s_branch .LBB70_1
.LBB70_14:
	v_mov_b32_e32 v1, s15
	v_add_co_u32_e32 v0, vcc, s14, v3
	v_addc_co_u32_e32 v1, vcc, v1, v4, vcc
	global_store_dwordx2 v[0:1], v[45:46], off
	v_mov_b32_e32 v1, s15
	v_add_co_u32_e32 v0, vcc, s14, v5
	v_addc_co_u32_e32 v1, vcc, v1, v6, vcc
	global_store_dwordx2 v[0:1], v[43:44], off
	;; [unrolled: 4-line block ×11, first 2 shown]
	s_endpgm
	.section	.rodata,"a",@progbits
	.p2align	6, 0x0
	.amdhsa_kernel _Z6kernelI14inclusive_scanILN6hipcub18BlockScanAlgorithmE0EEdLj64ELj11ELj100EEvPKT0_PS4_S4_
		.amdhsa_group_segment_fixed_size 8
		.amdhsa_private_segment_fixed_size 0
		.amdhsa_kernarg_size 280
		.amdhsa_user_sgpr_count 6
		.amdhsa_user_sgpr_private_segment_buffer 1
		.amdhsa_user_sgpr_dispatch_ptr 0
		.amdhsa_user_sgpr_queue_ptr 0
		.amdhsa_user_sgpr_kernarg_segment_ptr 1
		.amdhsa_user_sgpr_dispatch_id 0
		.amdhsa_user_sgpr_flat_scratch_init 0
		.amdhsa_user_sgpr_private_segment_size 0
		.amdhsa_uses_dynamic_stack 0
		.amdhsa_system_sgpr_private_segment_wavefront_offset 0
		.amdhsa_system_sgpr_workgroup_id_x 1
		.amdhsa_system_sgpr_workgroup_id_y 0
		.amdhsa_system_sgpr_workgroup_id_z 0
		.amdhsa_system_sgpr_workgroup_info 0
		.amdhsa_system_vgpr_workitem_id 0
		.amdhsa_next_free_vgpr 65
		.amdhsa_next_free_sgpr 19
		.amdhsa_reserve_vcc 1
		.amdhsa_reserve_flat_scratch 0
		.amdhsa_float_round_mode_32 0
		.amdhsa_float_round_mode_16_64 0
		.amdhsa_float_denorm_mode_32 3
		.amdhsa_float_denorm_mode_16_64 3
		.amdhsa_dx10_clamp 1
		.amdhsa_ieee_mode 1
		.amdhsa_fp16_overflow 0
		.amdhsa_exception_fp_ieee_invalid_op 0
		.amdhsa_exception_fp_denorm_src 0
		.amdhsa_exception_fp_ieee_div_zero 0
		.amdhsa_exception_fp_ieee_overflow 0
		.amdhsa_exception_fp_ieee_underflow 0
		.amdhsa_exception_fp_ieee_inexact 0
		.amdhsa_exception_int_div_zero 0
	.end_amdhsa_kernel
	.section	.text._Z6kernelI14inclusive_scanILN6hipcub18BlockScanAlgorithmE0EEdLj64ELj11ELj100EEvPKT0_PS4_S4_,"axG",@progbits,_Z6kernelI14inclusive_scanILN6hipcub18BlockScanAlgorithmE0EEdLj64ELj11ELj100EEvPKT0_PS4_S4_,comdat
.Lfunc_end70:
	.size	_Z6kernelI14inclusive_scanILN6hipcub18BlockScanAlgorithmE0EEdLj64ELj11ELj100EEvPKT0_PS4_S4_, .Lfunc_end70-_Z6kernelI14inclusive_scanILN6hipcub18BlockScanAlgorithmE0EEdLj64ELj11ELj100EEvPKT0_PS4_S4_
                                        ; -- End function
	.set _Z6kernelI14inclusive_scanILN6hipcub18BlockScanAlgorithmE0EEdLj64ELj11ELj100EEvPKT0_PS4_S4_.num_vgpr, 65
	.set _Z6kernelI14inclusive_scanILN6hipcub18BlockScanAlgorithmE0EEdLj64ELj11ELj100EEvPKT0_PS4_S4_.num_agpr, 0
	.set _Z6kernelI14inclusive_scanILN6hipcub18BlockScanAlgorithmE0EEdLj64ELj11ELj100EEvPKT0_PS4_S4_.numbered_sgpr, 19
	.set _Z6kernelI14inclusive_scanILN6hipcub18BlockScanAlgorithmE0EEdLj64ELj11ELj100EEvPKT0_PS4_S4_.num_named_barrier, 0
	.set _Z6kernelI14inclusive_scanILN6hipcub18BlockScanAlgorithmE0EEdLj64ELj11ELj100EEvPKT0_PS4_S4_.private_seg_size, 0
	.set _Z6kernelI14inclusive_scanILN6hipcub18BlockScanAlgorithmE0EEdLj64ELj11ELj100EEvPKT0_PS4_S4_.uses_vcc, 1
	.set _Z6kernelI14inclusive_scanILN6hipcub18BlockScanAlgorithmE0EEdLj64ELj11ELj100EEvPKT0_PS4_S4_.uses_flat_scratch, 0
	.set _Z6kernelI14inclusive_scanILN6hipcub18BlockScanAlgorithmE0EEdLj64ELj11ELj100EEvPKT0_PS4_S4_.has_dyn_sized_stack, 0
	.set _Z6kernelI14inclusive_scanILN6hipcub18BlockScanAlgorithmE0EEdLj64ELj11ELj100EEvPKT0_PS4_S4_.has_recursion, 0
	.set _Z6kernelI14inclusive_scanILN6hipcub18BlockScanAlgorithmE0EEdLj64ELj11ELj100EEvPKT0_PS4_S4_.has_indirect_call, 0
	.section	.AMDGPU.csdata,"",@progbits
; Kernel info:
; codeLenInByte = 1280
; TotalNumSgprs: 23
; NumVgprs: 65
; ScratchSize: 0
; MemoryBound: 0
; FloatMode: 240
; IeeeMode: 1
; LDSByteSize: 8 bytes/workgroup (compile time only)
; SGPRBlocks: 2
; VGPRBlocks: 16
; NumSGPRsForWavesPerEU: 23
; NumVGPRsForWavesPerEU: 65
; Occupancy: 3
; WaveLimiterHint : 0
; COMPUTE_PGM_RSRC2:SCRATCH_EN: 0
; COMPUTE_PGM_RSRC2:USER_SGPR: 6
; COMPUTE_PGM_RSRC2:TRAP_HANDLER: 0
; COMPUTE_PGM_RSRC2:TGID_X_EN: 1
; COMPUTE_PGM_RSRC2:TGID_Y_EN: 0
; COMPUTE_PGM_RSRC2:TGID_Z_EN: 0
; COMPUTE_PGM_RSRC2:TIDIG_COMP_CNT: 0
	.section	.text._Z6kernelI14inclusive_scanILN6hipcub18BlockScanAlgorithmE0EEdLj64ELj16ELj100EEvPKT0_PS4_S4_,"axG",@progbits,_Z6kernelI14inclusive_scanILN6hipcub18BlockScanAlgorithmE0EEdLj64ELj16ELj100EEvPKT0_PS4_S4_,comdat
	.protected	_Z6kernelI14inclusive_scanILN6hipcub18BlockScanAlgorithmE0EEdLj64ELj16ELj100EEvPKT0_PS4_S4_ ; -- Begin function _Z6kernelI14inclusive_scanILN6hipcub18BlockScanAlgorithmE0EEdLj64ELj16ELj100EEvPKT0_PS4_S4_
	.globl	_Z6kernelI14inclusive_scanILN6hipcub18BlockScanAlgorithmE0EEdLj64ELj16ELj100EEvPKT0_PS4_S4_
	.p2align	8
	.type	_Z6kernelI14inclusive_scanILN6hipcub18BlockScanAlgorithmE0EEdLj64ELj16ELj100EEvPKT0_PS4_S4_,@function
_Z6kernelI14inclusive_scanILN6hipcub18BlockScanAlgorithmE0EEdLj64ELj16ELj100EEvPKT0_PS4_S4_: ; @_Z6kernelI14inclusive_scanILN6hipcub18BlockScanAlgorithmE0EEdLj64ELj16ELj100EEvPKT0_PS4_S4_
; %bb.0:
	s_load_dword s0, s[4:5], 0x24
	s_load_dwordx4 s[12:15], s[4:5], 0x0
	v_mov_b32_e32 v33, 0
	v_cmp_eq_u32_e64 s[10:11], 63, v0
	s_movk_i32 s18, 0x64
	s_waitcnt lgkmcnt(0)
	s_and_b32 s0, s0, 0xffff
	s_mul_i32 s6, s6, s0
	v_add_lshl_u32 v32, s6, v0, 4
	v_lshlrev_b64 v[34:35], 3, v[32:33]
	v_mov_b32_e32 v1, s13
	v_add_co_u32_e32 v36, vcc, s12, v34
	v_addc_co_u32_e32 v37, vcc, v1, v35, vcc
	global_load_dwordx4 v[1:4], v[36:37], off offset:48
	global_load_dwordx4 v[5:8], v[36:37], off offset:32
	;; [unrolled: 1-line block ×3, first 2 shown]
	global_load_dwordx4 v[29:32], v[36:37], off
	global_load_dwordx4 v[9:12], v[36:37], off offset:112
	global_load_dwordx4 v[13:16], v[36:37], off offset:96
	;; [unrolled: 1-line block ×4, first 2 shown]
	v_mbcnt_lo_u32_b32 v36, -1, 0
	v_mbcnt_hi_u32_b32 v36, -1, v36
	v_and_b32_e32 v37, 15, v36
	v_cmp_ne_u32_e32 vcc, 0, v37
	v_cmp_lt_u32_e64 s[0:1], 1, v37
	v_cmp_lt_u32_e64 s[2:3], 3, v37
	v_cmp_lt_u32_e64 s[4:5], 7, v37
	v_and_b32_e32 v37, 16, v36
	v_cmp_ne_u32_e64 s[6:7], 0, v37
	v_add_u32_e32 v37, -1, v36
	v_and_b32_e32 v38, 64, v36
	v_cmp_lt_i32_e64 s[12:13], v37, v38
	v_cmp_lt_u32_e64 s[8:9], 31, v36
	v_cndmask_b32_e64 v36, v37, v36, s[12:13]
	v_lshlrev_b32_e32 v40, 2, v36
	v_cmp_eq_u32_e64 s[12:13], 0, v0
	s_branch .LBB71_2
.LBB71_1:                               ;   in Loop: Header=BB71_2 Depth=1
	s_or_b64 exec, exec, s[16:17]
	ds_bpermute_b32 v36, v40, v36
	ds_bpermute_b32 v37, v40, v37
	s_add_i32 s18, s18, -1
	s_cmp_lg_u32 s18, 0
	s_waitcnt lgkmcnt(0)
	; wave barrier
	v_add_f64 v[36:37], v[29:30], v[36:37]
	v_cndmask_b32_e64 v30, v37, v30, s[12:13]
	v_cndmask_b32_e64 v29, v36, v29, s[12:13]
	v_add_f64 v[31:32], v[31:32], v[29:30]
	v_add_f64 v[25:26], v[25:26], v[31:32]
	;; [unrolled: 1-line block ×15, first 2 shown]
	s_cbranch_scc0 .LBB71_14
.LBB71_2:                               ; =>This Inner Loop Header: Depth=1
	s_waitcnt vmcnt(4)
	v_add_f64 v[36:37], v[31:32], v[29:30]
	v_add_f64 v[36:37], v[25:26], v[36:37]
	;; [unrolled: 1-line block ×7, first 2 shown]
	s_waitcnt vmcnt(0)
	v_add_f64 v[36:37], v[21:22], v[36:37]
	v_add_f64 v[36:37], v[23:24], v[36:37]
	;; [unrolled: 1-line block ×8, first 2 shown]
	s_nop 1
	v_mov_b32_dpp v38, v36 row_shr:1 row_mask:0xf bank_mask:0xf
	v_mov_b32_dpp v39, v37 row_shr:1 row_mask:0xf bank_mask:0xf
	s_and_saveexec_b64 s[16:17], vcc
; %bb.3:                                ;   in Loop: Header=BB71_2 Depth=1
	v_add_f64 v[36:37], v[36:37], v[38:39]
; %bb.4:                                ;   in Loop: Header=BB71_2 Depth=1
	s_or_b64 exec, exec, s[16:17]
	s_nop 0
	v_mov_b32_dpp v38, v36 row_shr:2 row_mask:0xf bank_mask:0xf
	v_mov_b32_dpp v39, v37 row_shr:2 row_mask:0xf bank_mask:0xf
	s_and_saveexec_b64 s[16:17], s[0:1]
; %bb.5:                                ;   in Loop: Header=BB71_2 Depth=1
	v_add_f64 v[36:37], v[36:37], v[38:39]
; %bb.6:                                ;   in Loop: Header=BB71_2 Depth=1
	s_or_b64 exec, exec, s[16:17]
	s_nop 0
	v_mov_b32_dpp v38, v36 row_shr:4 row_mask:0xf bank_mask:0xf
	v_mov_b32_dpp v39, v37 row_shr:4 row_mask:0xf bank_mask:0xf
	s_and_saveexec_b64 s[16:17], s[2:3]
	;; [unrolled: 8-line block ×3, first 2 shown]
; %bb.9:                                ;   in Loop: Header=BB71_2 Depth=1
	v_add_f64 v[36:37], v[36:37], v[38:39]
; %bb.10:                               ;   in Loop: Header=BB71_2 Depth=1
	s_or_b64 exec, exec, s[16:17]
	s_nop 0
	v_mov_b32_dpp v38, v36 row_bcast:15 row_mask:0xf bank_mask:0xf
	v_mov_b32_dpp v39, v37 row_bcast:15 row_mask:0xf bank_mask:0xf
	s_and_saveexec_b64 s[16:17], s[6:7]
; %bb.11:                               ;   in Loop: Header=BB71_2 Depth=1
	v_add_f64 v[36:37], v[36:37], v[38:39]
; %bb.12:                               ;   in Loop: Header=BB71_2 Depth=1
	s_or_b64 exec, exec, s[16:17]
	s_nop 0
	v_mov_b32_dpp v38, v36 row_bcast:31 row_mask:0xf bank_mask:0xf
	v_mov_b32_dpp v39, v37 row_bcast:31 row_mask:0xf bank_mask:0xf
	v_add_f64 v[38:39], v[36:37], v[38:39]
	v_cndmask_b32_e64 v37, v37, v39, s[8:9]
	v_cndmask_b32_e64 v36, v36, v38, s[8:9]
	s_and_saveexec_b64 s[16:17], s[10:11]
	s_cbranch_execz .LBB71_1
; %bb.13:                               ;   in Loop: Header=BB71_2 Depth=1
	ds_write_b64 v33, v[36:37]
	s_branch .LBB71_1
.LBB71_14:
	v_mov_b32_e32 v0, s15
	v_add_co_u32_e32 v33, vcc, s14, v34
	v_addc_co_u32_e32 v34, vcc, v0, v35, vcc
	global_store_dwordx4 v[33:34], v[29:32], off
	global_store_dwordx4 v[33:34], v[25:28], off offset:16
	global_store_dwordx4 v[33:34], v[5:8], off offset:32
	;; [unrolled: 1-line block ×7, first 2 shown]
	s_endpgm
	.section	.rodata,"a",@progbits
	.p2align	6, 0x0
	.amdhsa_kernel _Z6kernelI14inclusive_scanILN6hipcub18BlockScanAlgorithmE0EEdLj64ELj16ELj100EEvPKT0_PS4_S4_
		.amdhsa_group_segment_fixed_size 8
		.amdhsa_private_segment_fixed_size 0
		.amdhsa_kernarg_size 280
		.amdhsa_user_sgpr_count 6
		.amdhsa_user_sgpr_private_segment_buffer 1
		.amdhsa_user_sgpr_dispatch_ptr 0
		.amdhsa_user_sgpr_queue_ptr 0
		.amdhsa_user_sgpr_kernarg_segment_ptr 1
		.amdhsa_user_sgpr_dispatch_id 0
		.amdhsa_user_sgpr_flat_scratch_init 0
		.amdhsa_user_sgpr_private_segment_size 0
		.amdhsa_uses_dynamic_stack 0
		.amdhsa_system_sgpr_private_segment_wavefront_offset 0
		.amdhsa_system_sgpr_workgroup_id_x 1
		.amdhsa_system_sgpr_workgroup_id_y 0
		.amdhsa_system_sgpr_workgroup_id_z 0
		.amdhsa_system_sgpr_workgroup_info 0
		.amdhsa_system_vgpr_workitem_id 0
		.amdhsa_next_free_vgpr 41
		.amdhsa_next_free_sgpr 19
		.amdhsa_reserve_vcc 1
		.amdhsa_reserve_flat_scratch 0
		.amdhsa_float_round_mode_32 0
		.amdhsa_float_round_mode_16_64 0
		.amdhsa_float_denorm_mode_32 3
		.amdhsa_float_denorm_mode_16_64 3
		.amdhsa_dx10_clamp 1
		.amdhsa_ieee_mode 1
		.amdhsa_fp16_overflow 0
		.amdhsa_exception_fp_ieee_invalid_op 0
		.amdhsa_exception_fp_denorm_src 0
		.amdhsa_exception_fp_ieee_div_zero 0
		.amdhsa_exception_fp_ieee_overflow 0
		.amdhsa_exception_fp_ieee_underflow 0
		.amdhsa_exception_fp_ieee_inexact 0
		.amdhsa_exception_int_div_zero 0
	.end_amdhsa_kernel
	.section	.text._Z6kernelI14inclusive_scanILN6hipcub18BlockScanAlgorithmE0EEdLj64ELj16ELj100EEvPKT0_PS4_S4_,"axG",@progbits,_Z6kernelI14inclusive_scanILN6hipcub18BlockScanAlgorithmE0EEdLj64ELj16ELj100EEvPKT0_PS4_S4_,comdat
.Lfunc_end71:
	.size	_Z6kernelI14inclusive_scanILN6hipcub18BlockScanAlgorithmE0EEdLj64ELj16ELj100EEvPKT0_PS4_S4_, .Lfunc_end71-_Z6kernelI14inclusive_scanILN6hipcub18BlockScanAlgorithmE0EEdLj64ELj16ELj100EEvPKT0_PS4_S4_
                                        ; -- End function
	.set _Z6kernelI14inclusive_scanILN6hipcub18BlockScanAlgorithmE0EEdLj64ELj16ELj100EEvPKT0_PS4_S4_.num_vgpr, 41
	.set _Z6kernelI14inclusive_scanILN6hipcub18BlockScanAlgorithmE0EEdLj64ELj16ELj100EEvPKT0_PS4_S4_.num_agpr, 0
	.set _Z6kernelI14inclusive_scanILN6hipcub18BlockScanAlgorithmE0EEdLj64ELj16ELj100EEvPKT0_PS4_S4_.numbered_sgpr, 19
	.set _Z6kernelI14inclusive_scanILN6hipcub18BlockScanAlgorithmE0EEdLj64ELj16ELj100EEvPKT0_PS4_S4_.num_named_barrier, 0
	.set _Z6kernelI14inclusive_scanILN6hipcub18BlockScanAlgorithmE0EEdLj64ELj16ELj100EEvPKT0_PS4_S4_.private_seg_size, 0
	.set _Z6kernelI14inclusive_scanILN6hipcub18BlockScanAlgorithmE0EEdLj64ELj16ELj100EEvPKT0_PS4_S4_.uses_vcc, 1
	.set _Z6kernelI14inclusive_scanILN6hipcub18BlockScanAlgorithmE0EEdLj64ELj16ELj100EEvPKT0_PS4_S4_.uses_flat_scratch, 0
	.set _Z6kernelI14inclusive_scanILN6hipcub18BlockScanAlgorithmE0EEdLj64ELj16ELj100EEvPKT0_PS4_S4_.has_dyn_sized_stack, 0
	.set _Z6kernelI14inclusive_scanILN6hipcub18BlockScanAlgorithmE0EEdLj64ELj16ELj100EEvPKT0_PS4_S4_.has_recursion, 0
	.set _Z6kernelI14inclusive_scanILN6hipcub18BlockScanAlgorithmE0EEdLj64ELj16ELj100EEvPKT0_PS4_S4_.has_indirect_call, 0
	.section	.AMDGPU.csdata,"",@progbits
; Kernel info:
; codeLenInByte = 880
; TotalNumSgprs: 23
; NumVgprs: 41
; ScratchSize: 0
; MemoryBound: 1
; FloatMode: 240
; IeeeMode: 1
; LDSByteSize: 8 bytes/workgroup (compile time only)
; SGPRBlocks: 2
; VGPRBlocks: 10
; NumSGPRsForWavesPerEU: 23
; NumVGPRsForWavesPerEU: 41
; Occupancy: 5
; WaveLimiterHint : 0
; COMPUTE_PGM_RSRC2:SCRATCH_EN: 0
; COMPUTE_PGM_RSRC2:USER_SGPR: 6
; COMPUTE_PGM_RSRC2:TRAP_HANDLER: 0
; COMPUTE_PGM_RSRC2:TGID_X_EN: 1
; COMPUTE_PGM_RSRC2:TGID_Y_EN: 0
; COMPUTE_PGM_RSRC2:TGID_Z_EN: 0
; COMPUTE_PGM_RSRC2:TIDIG_COMP_CNT: 0
	.section	.text._Z6kernelI14inclusive_scanILN6hipcub18BlockScanAlgorithmE0EEhLj64ELj1ELj100EEvPKT0_PS4_S4_,"axG",@progbits,_Z6kernelI14inclusive_scanILN6hipcub18BlockScanAlgorithmE0EEhLj64ELj1ELj100EEvPKT0_PS4_S4_,comdat
	.protected	_Z6kernelI14inclusive_scanILN6hipcub18BlockScanAlgorithmE0EEhLj64ELj1ELj100EEvPKT0_PS4_S4_ ; -- Begin function _Z6kernelI14inclusive_scanILN6hipcub18BlockScanAlgorithmE0EEhLj64ELj1ELj100EEvPKT0_PS4_S4_
	.globl	_Z6kernelI14inclusive_scanILN6hipcub18BlockScanAlgorithmE0EEhLj64ELj1ELj100EEvPKT0_PS4_S4_
	.p2align	8
	.type	_Z6kernelI14inclusive_scanILN6hipcub18BlockScanAlgorithmE0EEhLj64ELj1ELj100EEvPKT0_PS4_S4_,@function
_Z6kernelI14inclusive_scanILN6hipcub18BlockScanAlgorithmE0EEhLj64ELj1ELj100EEvPKT0_PS4_S4_: ; @_Z6kernelI14inclusive_scanILN6hipcub18BlockScanAlgorithmE0EEhLj64ELj1ELj100EEvPKT0_PS4_S4_
; %bb.0:
	s_load_dword s0, s[4:5], 0x24
	s_load_dwordx4 s[12:15], s[4:5], 0x0
	v_mbcnt_lo_u32_b32 v4, -1, 0
	v_mbcnt_hi_u32_b32 v4, -1, v4
	v_and_b32_e32 v5, 15, v4
	s_waitcnt lgkmcnt(0)
	s_and_b32 s0, s0, 0xffff
	s_mul_i32 s6, s6, s0
	v_add_u32_e32 v1, s6, v0
	global_load_ubyte v3, v1, s[12:13]
	v_cmp_eq_u32_e32 vcc, 0, v5
	v_cmp_lt_u32_e64 s[0:1], 1, v5
	v_cmp_lt_u32_e64 s[2:3], 3, v5
	v_cmp_lt_u32_e64 s[4:5], 7, v5
	v_and_b32_e32 v5, 16, v4
	v_mov_b32_e32 v2, 0
	v_cmp_eq_u32_e64 s[6:7], 0, v5
	v_cmp_lt_u32_e64 s[8:9], 31, v4
	v_cmp_eq_u32_e64 s[10:11], 63, v0
	s_movk_i32 s16, 0x64
	s_branch .LBB72_2
.LBB72_1:                               ;   in Loop: Header=BB72_2 Depth=1
	s_or_b64 exec, exec, s[12:13]
	s_add_i32 s16, s16, -1
	s_cmp_lg_u32 s16, 0
	s_waitcnt lgkmcnt(0)
	; wave barrier
	s_cbranch_scc0 .LBB72_4
.LBB72_2:                               ; =>This Inner Loop Header: Depth=1
	s_waitcnt vmcnt(0)
	v_and_b32_e32 v0, 0xff, v3
	s_nop 1
	v_mov_b32_dpp v0, v0 row_shr:1 row_mask:0xf bank_mask:0xf
	v_cndmask_b32_e64 v0, v0, 0, vcc
	v_add_u16_e32 v0, v0, v3
	v_and_b32_e32 v3, 0xff, v0
	s_nop 1
	v_mov_b32_dpp v3, v3 row_shr:2 row_mask:0xf bank_mask:0xf
	v_cndmask_b32_e64 v3, 0, v3, s[0:1]
	v_add_u16_e32 v0, v0, v3
	v_and_b32_e32 v3, 0xff, v0
	s_nop 1
	v_mov_b32_dpp v3, v3 row_shr:4 row_mask:0xf bank_mask:0xf
	v_cndmask_b32_e64 v3, 0, v3, s[2:3]
	;; [unrolled: 5-line block ×3, first 2 shown]
	v_add_u16_e32 v0, v0, v3
	v_and_b32_e32 v3, 0xff, v0
	s_nop 1
	v_mov_b32_dpp v3, v3 row_bcast:15 row_mask:0xf bank_mask:0xf
	v_cndmask_b32_e64 v3, v3, 0, s[6:7]
	v_add_u16_e32 v0, v0, v3
	v_and_b32_e32 v3, 0xff, v0
	s_nop 1
	v_mov_b32_dpp v3, v3 row_bcast:31 row_mask:0xf bank_mask:0xf
	v_cndmask_b32_e64 v3, 0, v3, s[8:9]
	v_add_u16_e32 v3, v0, v3
	s_and_saveexec_b64 s[12:13], s[10:11]
	s_cbranch_execz .LBB72_1
; %bb.3:                                ;   in Loop: Header=BB72_2 Depth=1
	ds_write_b8 v2, v3
	s_branch .LBB72_1
.LBB72_4:
	v_mov_b32_e32 v2, s15
	v_add_co_u32_e32 v0, vcc, s14, v1
	v_addc_co_u32_e32 v1, vcc, 0, v2, vcc
	global_store_byte v[0:1], v3, off
	s_endpgm
	.section	.rodata,"a",@progbits
	.p2align	6, 0x0
	.amdhsa_kernel _Z6kernelI14inclusive_scanILN6hipcub18BlockScanAlgorithmE0EEhLj64ELj1ELj100EEvPKT0_PS4_S4_
		.amdhsa_group_segment_fixed_size 1
		.amdhsa_private_segment_fixed_size 0
		.amdhsa_kernarg_size 280
		.amdhsa_user_sgpr_count 6
		.amdhsa_user_sgpr_private_segment_buffer 1
		.amdhsa_user_sgpr_dispatch_ptr 0
		.amdhsa_user_sgpr_queue_ptr 0
		.amdhsa_user_sgpr_kernarg_segment_ptr 1
		.amdhsa_user_sgpr_dispatch_id 0
		.amdhsa_user_sgpr_flat_scratch_init 0
		.amdhsa_user_sgpr_private_segment_size 0
		.amdhsa_uses_dynamic_stack 0
		.amdhsa_system_sgpr_private_segment_wavefront_offset 0
		.amdhsa_system_sgpr_workgroup_id_x 1
		.amdhsa_system_sgpr_workgroup_id_y 0
		.amdhsa_system_sgpr_workgroup_id_z 0
		.amdhsa_system_sgpr_workgroup_info 0
		.amdhsa_system_vgpr_workitem_id 0
		.amdhsa_next_free_vgpr 6
		.amdhsa_next_free_sgpr 17
		.amdhsa_reserve_vcc 1
		.amdhsa_reserve_flat_scratch 0
		.amdhsa_float_round_mode_32 0
		.amdhsa_float_round_mode_16_64 0
		.amdhsa_float_denorm_mode_32 3
		.amdhsa_float_denorm_mode_16_64 3
		.amdhsa_dx10_clamp 1
		.amdhsa_ieee_mode 1
		.amdhsa_fp16_overflow 0
		.amdhsa_exception_fp_ieee_invalid_op 0
		.amdhsa_exception_fp_denorm_src 0
		.amdhsa_exception_fp_ieee_div_zero 0
		.amdhsa_exception_fp_ieee_overflow 0
		.amdhsa_exception_fp_ieee_underflow 0
		.amdhsa_exception_fp_ieee_inexact 0
		.amdhsa_exception_int_div_zero 0
	.end_amdhsa_kernel
	.section	.text._Z6kernelI14inclusive_scanILN6hipcub18BlockScanAlgorithmE0EEhLj64ELj1ELj100EEvPKT0_PS4_S4_,"axG",@progbits,_Z6kernelI14inclusive_scanILN6hipcub18BlockScanAlgorithmE0EEhLj64ELj1ELj100EEvPKT0_PS4_S4_,comdat
.Lfunc_end72:
	.size	_Z6kernelI14inclusive_scanILN6hipcub18BlockScanAlgorithmE0EEhLj64ELj1ELj100EEvPKT0_PS4_S4_, .Lfunc_end72-_Z6kernelI14inclusive_scanILN6hipcub18BlockScanAlgorithmE0EEhLj64ELj1ELj100EEvPKT0_PS4_S4_
                                        ; -- End function
	.set _Z6kernelI14inclusive_scanILN6hipcub18BlockScanAlgorithmE0EEhLj64ELj1ELj100EEvPKT0_PS4_S4_.num_vgpr, 6
	.set _Z6kernelI14inclusive_scanILN6hipcub18BlockScanAlgorithmE0EEhLj64ELj1ELj100EEvPKT0_PS4_S4_.num_agpr, 0
	.set _Z6kernelI14inclusive_scanILN6hipcub18BlockScanAlgorithmE0EEhLj64ELj1ELj100EEvPKT0_PS4_S4_.numbered_sgpr, 17
	.set _Z6kernelI14inclusive_scanILN6hipcub18BlockScanAlgorithmE0EEhLj64ELj1ELj100EEvPKT0_PS4_S4_.num_named_barrier, 0
	.set _Z6kernelI14inclusive_scanILN6hipcub18BlockScanAlgorithmE0EEhLj64ELj1ELj100EEvPKT0_PS4_S4_.private_seg_size, 0
	.set _Z6kernelI14inclusive_scanILN6hipcub18BlockScanAlgorithmE0EEhLj64ELj1ELj100EEvPKT0_PS4_S4_.uses_vcc, 1
	.set _Z6kernelI14inclusive_scanILN6hipcub18BlockScanAlgorithmE0EEhLj64ELj1ELj100EEvPKT0_PS4_S4_.uses_flat_scratch, 0
	.set _Z6kernelI14inclusive_scanILN6hipcub18BlockScanAlgorithmE0EEhLj64ELj1ELj100EEvPKT0_PS4_S4_.has_dyn_sized_stack, 0
	.set _Z6kernelI14inclusive_scanILN6hipcub18BlockScanAlgorithmE0EEhLj64ELj1ELj100EEvPKT0_PS4_S4_.has_recursion, 0
	.set _Z6kernelI14inclusive_scanILN6hipcub18BlockScanAlgorithmE0EEhLj64ELj1ELj100EEvPKT0_PS4_S4_.has_indirect_call, 0
	.section	.AMDGPU.csdata,"",@progbits
; Kernel info:
; codeLenInByte = 392
; TotalNumSgprs: 21
; NumVgprs: 6
; ScratchSize: 0
; MemoryBound: 0
; FloatMode: 240
; IeeeMode: 1
; LDSByteSize: 1 bytes/workgroup (compile time only)
; SGPRBlocks: 2
; VGPRBlocks: 1
; NumSGPRsForWavesPerEU: 21
; NumVGPRsForWavesPerEU: 6
; Occupancy: 10
; WaveLimiterHint : 0
; COMPUTE_PGM_RSRC2:SCRATCH_EN: 0
; COMPUTE_PGM_RSRC2:USER_SGPR: 6
; COMPUTE_PGM_RSRC2:TRAP_HANDLER: 0
; COMPUTE_PGM_RSRC2:TGID_X_EN: 1
; COMPUTE_PGM_RSRC2:TGID_Y_EN: 0
; COMPUTE_PGM_RSRC2:TGID_Z_EN: 0
; COMPUTE_PGM_RSRC2:TIDIG_COMP_CNT: 0
	.section	.text._Z6kernelI14inclusive_scanILN6hipcub18BlockScanAlgorithmE0EEhLj64ELj3ELj100EEvPKT0_PS4_S4_,"axG",@progbits,_Z6kernelI14inclusive_scanILN6hipcub18BlockScanAlgorithmE0EEhLj64ELj3ELj100EEvPKT0_PS4_S4_,comdat
	.protected	_Z6kernelI14inclusive_scanILN6hipcub18BlockScanAlgorithmE0EEhLj64ELj3ELj100EEvPKT0_PS4_S4_ ; -- Begin function _Z6kernelI14inclusive_scanILN6hipcub18BlockScanAlgorithmE0EEhLj64ELj3ELj100EEvPKT0_PS4_S4_
	.globl	_Z6kernelI14inclusive_scanILN6hipcub18BlockScanAlgorithmE0EEhLj64ELj3ELj100EEvPKT0_PS4_S4_
	.p2align	8
	.type	_Z6kernelI14inclusive_scanILN6hipcub18BlockScanAlgorithmE0EEhLj64ELj3ELj100EEvPKT0_PS4_S4_,@function
_Z6kernelI14inclusive_scanILN6hipcub18BlockScanAlgorithmE0EEhLj64ELj3ELj100EEvPKT0_PS4_S4_: ; @_Z6kernelI14inclusive_scanILN6hipcub18BlockScanAlgorithmE0EEhLj64ELj3ELj100EEvPKT0_PS4_S4_
; %bb.0:
	s_load_dword s0, s[4:5], 0x24
	s_load_dwordx4 s[12:15], s[4:5], 0x0
	v_mbcnt_lo_u32_b32 v8, -1, 0
	v_mbcnt_hi_u32_b32 v8, -1, v8
	v_and_b32_e32 v9, 15, v8
	s_waitcnt lgkmcnt(0)
	s_and_b32 s0, s0, 0xffff
	s_mul_i32 s6, s6, s0
	v_add_u32_e32 v1, s6, v0
	v_lshl_add_u32 v5, v1, 1, v1
	v_add_u32_e32 v3, 1, v5
	v_add_u32_e32 v2, 2, v5
	global_load_ubyte v6, v5, s[12:13]
	global_load_ubyte v1, v2, s[12:13]
	;; [unrolled: 1-line block ×3, first 2 shown]
	v_cmp_eq_u32_e32 vcc, 0, v9
	v_cmp_lt_u32_e64 s[0:1], 1, v9
	v_cmp_lt_u32_e64 s[2:3], 3, v9
	;; [unrolled: 1-line block ×3, first 2 shown]
	v_and_b32_e32 v9, 16, v8
	v_cmp_eq_u32_e64 s[6:7], 0, v9
	v_add_u32_e32 v9, -1, v8
	v_and_b32_e32 v10, 64, v8
	v_cmp_lt_i32_e64 s[12:13], v9, v10
	v_cmp_lt_u32_e64 s[8:9], 31, v8
	v_cndmask_b32_e64 v8, v9, v8, s[12:13]
	v_mov_b32_e32 v7, 0
	v_cmp_eq_u32_e64 s[10:11], 63, v0
	v_lshlrev_b32_e32 v8, 2, v8
	v_cmp_eq_u32_e64 s[12:13], 0, v0
	s_movk_i32 s18, 0x64
	s_branch .LBB73_2
.LBB73_1:                               ;   in Loop: Header=BB73_2 Depth=1
	s_or_b64 exec, exec, s[16:17]
	v_and_b32_e32 v0, 0xff, v0
	ds_bpermute_b32 v0, v8, v0
	s_add_i32 s18, s18, -1
	s_cmp_lg_u32 s18, 0
	s_waitcnt lgkmcnt(0)
	; wave barrier
	v_cndmask_b32_e64 v0, v0, 0, s[12:13]
	v_add_u16_e32 v6, v0, v6
	v_add_u16_e32 v4, v6, v4
	;; [unrolled: 1-line block ×3, first 2 shown]
	s_cbranch_scc0 .LBB73_4
.LBB73_2:                               ; =>This Inner Loop Header: Depth=1
	s_waitcnt vmcnt(0)
	v_add_u16_e32 v0, v4, v6
	v_add_u16_e32 v0, v0, v1
	v_and_b32_e32 v9, 0xff, v0
	s_nop 1
	v_mov_b32_dpp v9, v9 row_shr:1 row_mask:0xf bank_mask:0xf
	v_cndmask_b32_e64 v9, v9, 0, vcc
	v_add_u16_e32 v0, v9, v0
	v_and_b32_e32 v9, 0xff, v0
	s_nop 1
	v_mov_b32_dpp v9, v9 row_shr:2 row_mask:0xf bank_mask:0xf
	v_cndmask_b32_e64 v9, 0, v9, s[0:1]
	v_add_u16_e32 v0, v0, v9
	v_and_b32_e32 v9, 0xff, v0
	s_nop 1
	v_mov_b32_dpp v9, v9 row_shr:4 row_mask:0xf bank_mask:0xf
	v_cndmask_b32_e64 v9, 0, v9, s[2:3]
	;; [unrolled: 5-line block ×3, first 2 shown]
	v_add_u16_e32 v0, v0, v9
	v_and_b32_e32 v9, 0xff, v0
	s_nop 1
	v_mov_b32_dpp v9, v9 row_bcast:15 row_mask:0xf bank_mask:0xf
	v_cndmask_b32_e64 v9, v9, 0, s[6:7]
	v_add_u16_e32 v0, v0, v9
	v_and_b32_e32 v9, 0xff, v0
	s_nop 1
	v_mov_b32_dpp v9, v9 row_bcast:31 row_mask:0xf bank_mask:0xf
	v_cndmask_b32_e64 v9, 0, v9, s[8:9]
	v_add_u16_e32 v0, v0, v9
	s_and_saveexec_b64 s[16:17], s[10:11]
	s_cbranch_execz .LBB73_1
; %bb.3:                                ;   in Loop: Header=BB73_2 Depth=1
	ds_write_b8 v7, v0
	s_branch .LBB73_1
.LBB73_4:
	v_mov_b32_e32 v0, s15
	v_add_co_u32_e32 v7, vcc, s14, v5
	v_addc_co_u32_e32 v8, vcc, 0, v0, vcc
	v_add_co_u32_e32 v5, vcc, s14, v3
	global_store_byte v[7:8], v6, off
	v_addc_co_u32_e32 v6, vcc, 0, v0, vcc
	v_add_co_u32_e32 v2, vcc, s14, v2
	v_addc_co_u32_e32 v3, vcc, 0, v0, vcc
	global_store_byte v[5:6], v4, off
	global_store_byte v[2:3], v1, off
	s_endpgm
	.section	.rodata,"a",@progbits
	.p2align	6, 0x0
	.amdhsa_kernel _Z6kernelI14inclusive_scanILN6hipcub18BlockScanAlgorithmE0EEhLj64ELj3ELj100EEvPKT0_PS4_S4_
		.amdhsa_group_segment_fixed_size 1
		.amdhsa_private_segment_fixed_size 0
		.amdhsa_kernarg_size 280
		.amdhsa_user_sgpr_count 6
		.amdhsa_user_sgpr_private_segment_buffer 1
		.amdhsa_user_sgpr_dispatch_ptr 0
		.amdhsa_user_sgpr_queue_ptr 0
		.amdhsa_user_sgpr_kernarg_segment_ptr 1
		.amdhsa_user_sgpr_dispatch_id 0
		.amdhsa_user_sgpr_flat_scratch_init 0
		.amdhsa_user_sgpr_private_segment_size 0
		.amdhsa_uses_dynamic_stack 0
		.amdhsa_system_sgpr_private_segment_wavefront_offset 0
		.amdhsa_system_sgpr_workgroup_id_x 1
		.amdhsa_system_sgpr_workgroup_id_y 0
		.amdhsa_system_sgpr_workgroup_id_z 0
		.amdhsa_system_sgpr_workgroup_info 0
		.amdhsa_system_vgpr_workitem_id 0
		.amdhsa_next_free_vgpr 11
		.amdhsa_next_free_sgpr 19
		.amdhsa_reserve_vcc 1
		.amdhsa_reserve_flat_scratch 0
		.amdhsa_float_round_mode_32 0
		.amdhsa_float_round_mode_16_64 0
		.amdhsa_float_denorm_mode_32 3
		.amdhsa_float_denorm_mode_16_64 3
		.amdhsa_dx10_clamp 1
		.amdhsa_ieee_mode 1
		.amdhsa_fp16_overflow 0
		.amdhsa_exception_fp_ieee_invalid_op 0
		.amdhsa_exception_fp_denorm_src 0
		.amdhsa_exception_fp_ieee_div_zero 0
		.amdhsa_exception_fp_ieee_overflow 0
		.amdhsa_exception_fp_ieee_underflow 0
		.amdhsa_exception_fp_ieee_inexact 0
		.amdhsa_exception_int_div_zero 0
	.end_amdhsa_kernel
	.section	.text._Z6kernelI14inclusive_scanILN6hipcub18BlockScanAlgorithmE0EEhLj64ELj3ELj100EEvPKT0_PS4_S4_,"axG",@progbits,_Z6kernelI14inclusive_scanILN6hipcub18BlockScanAlgorithmE0EEhLj64ELj3ELj100EEvPKT0_PS4_S4_,comdat
.Lfunc_end73:
	.size	_Z6kernelI14inclusive_scanILN6hipcub18BlockScanAlgorithmE0EEhLj64ELj3ELj100EEvPKT0_PS4_S4_, .Lfunc_end73-_Z6kernelI14inclusive_scanILN6hipcub18BlockScanAlgorithmE0EEhLj64ELj3ELj100EEvPKT0_PS4_S4_
                                        ; -- End function
	.set _Z6kernelI14inclusive_scanILN6hipcub18BlockScanAlgorithmE0EEhLj64ELj3ELj100EEvPKT0_PS4_S4_.num_vgpr, 11
	.set _Z6kernelI14inclusive_scanILN6hipcub18BlockScanAlgorithmE0EEhLj64ELj3ELj100EEvPKT0_PS4_S4_.num_agpr, 0
	.set _Z6kernelI14inclusive_scanILN6hipcub18BlockScanAlgorithmE0EEhLj64ELj3ELj100EEvPKT0_PS4_S4_.numbered_sgpr, 19
	.set _Z6kernelI14inclusive_scanILN6hipcub18BlockScanAlgorithmE0EEhLj64ELj3ELj100EEvPKT0_PS4_S4_.num_named_barrier, 0
	.set _Z6kernelI14inclusive_scanILN6hipcub18BlockScanAlgorithmE0EEhLj64ELj3ELj100EEvPKT0_PS4_S4_.private_seg_size, 0
	.set _Z6kernelI14inclusive_scanILN6hipcub18BlockScanAlgorithmE0EEhLj64ELj3ELj100EEvPKT0_PS4_S4_.uses_vcc, 1
	.set _Z6kernelI14inclusive_scanILN6hipcub18BlockScanAlgorithmE0EEhLj64ELj3ELj100EEvPKT0_PS4_S4_.uses_flat_scratch, 0
	.set _Z6kernelI14inclusive_scanILN6hipcub18BlockScanAlgorithmE0EEhLj64ELj3ELj100EEvPKT0_PS4_S4_.has_dyn_sized_stack, 0
	.set _Z6kernelI14inclusive_scanILN6hipcub18BlockScanAlgorithmE0EEhLj64ELj3ELj100EEvPKT0_PS4_S4_.has_recursion, 0
	.set _Z6kernelI14inclusive_scanILN6hipcub18BlockScanAlgorithmE0EEhLj64ELj3ELj100EEvPKT0_PS4_S4_.has_indirect_call, 0
	.section	.AMDGPU.csdata,"",@progbits
; Kernel info:
; codeLenInByte = 536
; TotalNumSgprs: 23
; NumVgprs: 11
; ScratchSize: 0
; MemoryBound: 0
; FloatMode: 240
; IeeeMode: 1
; LDSByteSize: 1 bytes/workgroup (compile time only)
; SGPRBlocks: 2
; VGPRBlocks: 2
; NumSGPRsForWavesPerEU: 23
; NumVGPRsForWavesPerEU: 11
; Occupancy: 10
; WaveLimiterHint : 0
; COMPUTE_PGM_RSRC2:SCRATCH_EN: 0
; COMPUTE_PGM_RSRC2:USER_SGPR: 6
; COMPUTE_PGM_RSRC2:TRAP_HANDLER: 0
; COMPUTE_PGM_RSRC2:TGID_X_EN: 1
; COMPUTE_PGM_RSRC2:TGID_Y_EN: 0
; COMPUTE_PGM_RSRC2:TGID_Z_EN: 0
; COMPUTE_PGM_RSRC2:TIDIG_COMP_CNT: 0
	.section	.text._Z6kernelI14inclusive_scanILN6hipcub18BlockScanAlgorithmE0EEhLj64ELj4ELj100EEvPKT0_PS4_S4_,"axG",@progbits,_Z6kernelI14inclusive_scanILN6hipcub18BlockScanAlgorithmE0EEhLj64ELj4ELj100EEvPKT0_PS4_S4_,comdat
	.protected	_Z6kernelI14inclusive_scanILN6hipcub18BlockScanAlgorithmE0EEhLj64ELj4ELj100EEvPKT0_PS4_S4_ ; -- Begin function _Z6kernelI14inclusive_scanILN6hipcub18BlockScanAlgorithmE0EEhLj64ELj4ELj100EEvPKT0_PS4_S4_
	.globl	_Z6kernelI14inclusive_scanILN6hipcub18BlockScanAlgorithmE0EEhLj64ELj4ELj100EEvPKT0_PS4_S4_
	.p2align	8
	.type	_Z6kernelI14inclusive_scanILN6hipcub18BlockScanAlgorithmE0EEhLj64ELj4ELj100EEvPKT0_PS4_S4_,@function
_Z6kernelI14inclusive_scanILN6hipcub18BlockScanAlgorithmE0EEhLj64ELj4ELj100EEvPKT0_PS4_S4_: ; @_Z6kernelI14inclusive_scanILN6hipcub18BlockScanAlgorithmE0EEhLj64ELj4ELj100EEvPKT0_PS4_S4_
; %bb.0:
	s_load_dword s0, s[4:5], 0x24
	s_load_dwordx4 s[16:19], s[4:5], 0x0
	v_mbcnt_lo_u32_b32 v4, -1, 0
	v_mbcnt_hi_u32_b32 v4, -1, v4
	v_add_u32_e32 v6, -1, v4
	s_waitcnt lgkmcnt(0)
	s_and_b32 s0, s0, 0xffff
	s_mul_i32 s6, s6, s0
	v_add_lshl_u32 v1, s6, v0, 2
	global_load_dword v2, v1, s[16:17]
	v_and_b32_e32 v7, 64, v4
	v_cmp_eq_u32_e32 vcc, 63, v0
	v_cmp_eq_u32_e64 s[0:1], 0, v0
	v_and_b32_e32 v0, 15, v4
	v_cmp_lt_i32_e64 s[14:15], v6, v7
	v_and_b32_e32 v5, 16, v4
	v_cmp_eq_u32_e64 s[4:5], 0, v0
	v_cmp_lt_u32_e64 s[6:7], 1, v0
	v_cmp_lt_u32_e64 s[8:9], 3, v0
	;; [unrolled: 1-line block ×3, first 2 shown]
	v_cndmask_b32_e64 v0, v6, v4, s[14:15]
	v_mov_b32_e32 v3, 0
	v_cmp_lt_u32_e64 s[2:3], 31, v4
	v_cmp_eq_u32_e64 s[12:13], 0, v5
	v_lshlrev_b32_e32 v5, 2, v0
	s_movk_i32 s16, 0x64
	s_waitcnt vmcnt(0)
	v_lshrrev_b32_e32 v4, 24, v2
	v_lshrrev_b32_e32 v0, 16, v2
	;; [unrolled: 1-line block ×3, first 2 shown]
	s_branch .LBB74_2
.LBB74_1:                               ;   in Loop: Header=BB74_2 Depth=1
	s_or_b64 exec, exec, s[14:15]
	v_and_b32_e32 v7, 0xff, v7
	ds_bpermute_b32 v7, v5, v7
	s_add_i32 s16, s16, -1
	s_cmp_lg_u32 s16, 0
	s_waitcnt lgkmcnt(0)
	; wave barrier
	v_cndmask_b32_e64 v7, v7, 0, s[0:1]
	v_add_u16_e32 v2, v7, v2
	v_add_u16_e32 v6, v2, v6
	;; [unrolled: 1-line block ×4, first 2 shown]
	s_cbranch_scc0 .LBB74_4
.LBB74_2:                               ; =>This Inner Loop Header: Depth=1
	v_add_u16_e32 v7, v6, v2
	v_add_u16_e32 v7, v7, v0
	;; [unrolled: 1-line block ×3, first 2 shown]
	v_and_b32_e32 v8, 0xff, v7
	s_nop 1
	v_mov_b32_dpp v8, v8 row_shr:1 row_mask:0xf bank_mask:0xf
	v_cndmask_b32_e64 v8, v8, 0, s[4:5]
	v_add_u16_e32 v7, v7, v8
	v_and_b32_e32 v8, 0xff, v7
	s_nop 1
	v_mov_b32_dpp v8, v8 row_shr:2 row_mask:0xf bank_mask:0xf
	v_cndmask_b32_e64 v8, 0, v8, s[6:7]
	v_add_u16_e32 v7, v7, v8
	;; [unrolled: 5-line block ×4, first 2 shown]
	v_and_b32_e32 v8, 0xff, v7
	s_nop 1
	v_mov_b32_dpp v8, v8 row_bcast:15 row_mask:0xf bank_mask:0xf
	v_cndmask_b32_e64 v8, v8, 0, s[12:13]
	v_add_u16_e32 v7, v7, v8
	v_and_b32_e32 v8, 0xff, v7
	s_nop 1
	v_mov_b32_dpp v8, v8 row_bcast:31 row_mask:0xf bank_mask:0xf
	v_cndmask_b32_e64 v8, 0, v8, s[2:3]
	v_add_u16_e32 v7, v7, v8
	s_and_saveexec_b64 s[14:15], vcc
	s_cbranch_execz .LBB74_1
; %bb.3:                                ;   in Loop: Header=BB74_2 Depth=1
	ds_write_b8 v3, v7
	s_branch .LBB74_1
.LBB74_4:
	v_lshlrev_b16_e32 v3, 8, v6
	v_or_b32_sdwa v2, v2, v3 dst_sel:DWORD dst_unused:UNUSED_PAD src0_sel:BYTE_0 src1_sel:DWORD
	v_lshlrev_b16_e32 v3, 8, v4
	v_or_b32_sdwa v0, v0, v3 dst_sel:WORD_1 dst_unused:UNUSED_PAD src0_sel:BYTE_0 src1_sel:DWORD
	v_or_b32_sdwa v2, v2, v0 dst_sel:DWORD dst_unused:UNUSED_PAD src0_sel:WORD_0 src1_sel:DWORD
	v_mov_b32_e32 v3, s19
	v_add_co_u32_e32 v0, vcc, s18, v1
	v_addc_co_u32_e32 v1, vcc, 0, v3, vcc
	global_store_dword v[0:1], v2, off
	s_endpgm
	.section	.rodata,"a",@progbits
	.p2align	6, 0x0
	.amdhsa_kernel _Z6kernelI14inclusive_scanILN6hipcub18BlockScanAlgorithmE0EEhLj64ELj4ELj100EEvPKT0_PS4_S4_
		.amdhsa_group_segment_fixed_size 1
		.amdhsa_private_segment_fixed_size 0
		.amdhsa_kernarg_size 280
		.amdhsa_user_sgpr_count 6
		.amdhsa_user_sgpr_private_segment_buffer 1
		.amdhsa_user_sgpr_dispatch_ptr 0
		.amdhsa_user_sgpr_queue_ptr 0
		.amdhsa_user_sgpr_kernarg_segment_ptr 1
		.amdhsa_user_sgpr_dispatch_id 0
		.amdhsa_user_sgpr_flat_scratch_init 0
		.amdhsa_user_sgpr_private_segment_size 0
		.amdhsa_uses_dynamic_stack 0
		.amdhsa_system_sgpr_private_segment_wavefront_offset 0
		.amdhsa_system_sgpr_workgroup_id_x 1
		.amdhsa_system_sgpr_workgroup_id_y 0
		.amdhsa_system_sgpr_workgroup_id_z 0
		.amdhsa_system_sgpr_workgroup_info 0
		.amdhsa_system_vgpr_workitem_id 0
		.amdhsa_next_free_vgpr 9
		.amdhsa_next_free_sgpr 20
		.amdhsa_reserve_vcc 1
		.amdhsa_reserve_flat_scratch 0
		.amdhsa_float_round_mode_32 0
		.amdhsa_float_round_mode_16_64 0
		.amdhsa_float_denorm_mode_32 3
		.amdhsa_float_denorm_mode_16_64 3
		.amdhsa_dx10_clamp 1
		.amdhsa_ieee_mode 1
		.amdhsa_fp16_overflow 0
		.amdhsa_exception_fp_ieee_invalid_op 0
		.amdhsa_exception_fp_denorm_src 0
		.amdhsa_exception_fp_ieee_div_zero 0
		.amdhsa_exception_fp_ieee_overflow 0
		.amdhsa_exception_fp_ieee_underflow 0
		.amdhsa_exception_fp_ieee_inexact 0
		.amdhsa_exception_int_div_zero 0
	.end_amdhsa_kernel
	.section	.text._Z6kernelI14inclusive_scanILN6hipcub18BlockScanAlgorithmE0EEhLj64ELj4ELj100EEvPKT0_PS4_S4_,"axG",@progbits,_Z6kernelI14inclusive_scanILN6hipcub18BlockScanAlgorithmE0EEhLj64ELj4ELj100EEvPKT0_PS4_S4_,comdat
.Lfunc_end74:
	.size	_Z6kernelI14inclusive_scanILN6hipcub18BlockScanAlgorithmE0EEhLj64ELj4ELj100EEvPKT0_PS4_S4_, .Lfunc_end74-_Z6kernelI14inclusive_scanILN6hipcub18BlockScanAlgorithmE0EEhLj64ELj4ELj100EEvPKT0_PS4_S4_
                                        ; -- End function
	.set _Z6kernelI14inclusive_scanILN6hipcub18BlockScanAlgorithmE0EEhLj64ELj4ELj100EEvPKT0_PS4_S4_.num_vgpr, 9
	.set _Z6kernelI14inclusive_scanILN6hipcub18BlockScanAlgorithmE0EEhLj64ELj4ELj100EEvPKT0_PS4_S4_.num_agpr, 0
	.set _Z6kernelI14inclusive_scanILN6hipcub18BlockScanAlgorithmE0EEhLj64ELj4ELj100EEvPKT0_PS4_S4_.numbered_sgpr, 20
	.set _Z6kernelI14inclusive_scanILN6hipcub18BlockScanAlgorithmE0EEhLj64ELj4ELj100EEvPKT0_PS4_S4_.num_named_barrier, 0
	.set _Z6kernelI14inclusive_scanILN6hipcub18BlockScanAlgorithmE0EEhLj64ELj4ELj100EEvPKT0_PS4_S4_.private_seg_size, 0
	.set _Z6kernelI14inclusive_scanILN6hipcub18BlockScanAlgorithmE0EEhLj64ELj4ELj100EEvPKT0_PS4_S4_.uses_vcc, 1
	.set _Z6kernelI14inclusive_scanILN6hipcub18BlockScanAlgorithmE0EEhLj64ELj4ELj100EEvPKT0_PS4_S4_.uses_flat_scratch, 0
	.set _Z6kernelI14inclusive_scanILN6hipcub18BlockScanAlgorithmE0EEhLj64ELj4ELj100EEvPKT0_PS4_S4_.has_dyn_sized_stack, 0
	.set _Z6kernelI14inclusive_scanILN6hipcub18BlockScanAlgorithmE0EEhLj64ELj4ELj100EEvPKT0_PS4_S4_.has_recursion, 0
	.set _Z6kernelI14inclusive_scanILN6hipcub18BlockScanAlgorithmE0EEhLj64ELj4ELj100EEvPKT0_PS4_S4_.has_indirect_call, 0
	.section	.AMDGPU.csdata,"",@progbits
; Kernel info:
; codeLenInByte = 528
; TotalNumSgprs: 24
; NumVgprs: 9
; ScratchSize: 0
; MemoryBound: 0
; FloatMode: 240
; IeeeMode: 1
; LDSByteSize: 1 bytes/workgroup (compile time only)
; SGPRBlocks: 2
; VGPRBlocks: 2
; NumSGPRsForWavesPerEU: 24
; NumVGPRsForWavesPerEU: 9
; Occupancy: 10
; WaveLimiterHint : 0
; COMPUTE_PGM_RSRC2:SCRATCH_EN: 0
; COMPUTE_PGM_RSRC2:USER_SGPR: 6
; COMPUTE_PGM_RSRC2:TRAP_HANDLER: 0
; COMPUTE_PGM_RSRC2:TGID_X_EN: 1
; COMPUTE_PGM_RSRC2:TGID_Y_EN: 0
; COMPUTE_PGM_RSRC2:TGID_Z_EN: 0
; COMPUTE_PGM_RSRC2:TIDIG_COMP_CNT: 0
	.section	.text._Z6kernelI14inclusive_scanILN6hipcub18BlockScanAlgorithmE0EEhLj64ELj8ELj100EEvPKT0_PS4_S4_,"axG",@progbits,_Z6kernelI14inclusive_scanILN6hipcub18BlockScanAlgorithmE0EEhLj64ELj8ELj100EEvPKT0_PS4_S4_,comdat
	.protected	_Z6kernelI14inclusive_scanILN6hipcub18BlockScanAlgorithmE0EEhLj64ELj8ELj100EEvPKT0_PS4_S4_ ; -- Begin function _Z6kernelI14inclusive_scanILN6hipcub18BlockScanAlgorithmE0EEhLj64ELj8ELj100EEvPKT0_PS4_S4_
	.globl	_Z6kernelI14inclusive_scanILN6hipcub18BlockScanAlgorithmE0EEhLj64ELj8ELj100EEvPKT0_PS4_S4_
	.p2align	8
	.type	_Z6kernelI14inclusive_scanILN6hipcub18BlockScanAlgorithmE0EEhLj64ELj8ELj100EEvPKT0_PS4_S4_,@function
_Z6kernelI14inclusive_scanILN6hipcub18BlockScanAlgorithmE0EEhLj64ELj8ELj100EEvPKT0_PS4_S4_: ; @_Z6kernelI14inclusive_scanILN6hipcub18BlockScanAlgorithmE0EEhLj64ELj8ELj100EEvPKT0_PS4_S4_
; %bb.0:
	s_load_dword s0, s[4:5], 0x24
	s_load_dwordx4 s[12:15], s[4:5], 0x0
	v_mbcnt_lo_u32_b32 v5, -1, 0
	v_mbcnt_hi_u32_b32 v5, -1, v5
	v_and_b32_e32 v6, 15, v5
	s_waitcnt lgkmcnt(0)
	s_and_b32 s0, s0, 0xffff
	s_mul_i32 s6, s6, s0
	v_add_lshl_u32 v3, s6, v0, 3
	global_load_dwordx2 v[1:2], v3, s[12:13]
	v_cmp_eq_u32_e32 vcc, 0, v6
	v_cmp_lt_u32_e64 s[0:1], 1, v6
	v_cmp_lt_u32_e64 s[2:3], 3, v6
	;; [unrolled: 1-line block ×3, first 2 shown]
	v_and_b32_e32 v6, 16, v5
	v_cmp_eq_u32_e64 s[6:7], 0, v6
	v_add_u32_e32 v6, -1, v5
	v_and_b32_e32 v7, 64, v5
	v_cmp_lt_i32_e64 s[12:13], v6, v7
	v_cmp_lt_u32_e64 s[8:9], 31, v5
	v_cndmask_b32_e64 v5, v6, v5, s[12:13]
	v_mov_b32_e32 v4, 0
	v_cmp_eq_u32_e64 s[10:11], 63, v0
	v_lshlrev_b32_e32 v5, 2, v5
	v_cmp_eq_u32_e64 s[12:13], 0, v0
	s_movk_i32 s18, 0x64
	s_branch .LBB75_2
.LBB75_1:                               ;   in Loop: Header=BB75_2 Depth=1
	s_or_b64 exec, exec, s[16:17]
	v_and_b32_e32 v7, 0xff, v7
	ds_bpermute_b32 v7, v5, v7
	s_add_i32 s18, s18, -1
	s_cmp_lg_u32 s18, 0
	s_waitcnt lgkmcnt(0)
	; wave barrier
	v_cndmask_b32_e64 v7, v7, 0, s[12:13]
	v_add_u16_e32 v7, v7, v1
	v_add_u16_e32 v6, v7, v6
	v_add_u16_sdwa v8, v6, v1 dst_sel:DWORD dst_unused:UNUSED_PAD src0_sel:DWORD src1_sel:WORD_1
	v_lshlrev_b16_e32 v10, 8, v6
	v_add_u16_sdwa v9, v8, v1 dst_sel:DWORD dst_unused:UNUSED_PAD src0_sel:DWORD src1_sel:BYTE_3
	v_or_b32_sdwa v1, v7, v10 dst_sel:DWORD dst_unused:UNUSED_PAD src0_sel:BYTE_0 src1_sel:DWORD
	v_add_u16_e32 v10, v9, v2
	v_add_u16_e32 v0, v10, v0
	v_add_u16_sdwa v11, v0, v2 dst_sel:DWORD dst_unused:UNUSED_PAD src0_sel:DWORD src1_sel:WORD_1
	v_add_u16_sdwa v12, v11, v2 dst_sel:DWORD dst_unused:UNUSED_PAD src0_sel:DWORD src1_sel:BYTE_3
	v_lshlrev_b16_e32 v2, 8, v9
	v_or_b32_sdwa v2, v8, v2 dst_sel:WORD_1 dst_unused:UNUSED_PAD src0_sel:BYTE_0 src1_sel:DWORD
	v_or_b32_sdwa v1, v1, v2 dst_sel:DWORD dst_unused:UNUSED_PAD src0_sel:WORD_0 src1_sel:DWORD
	v_lshlrev_b16_e32 v2, 8, v0
	v_lshlrev_b16_e32 v13, 8, v12
	v_or_b32_sdwa v2, v10, v2 dst_sel:DWORD dst_unused:UNUSED_PAD src0_sel:BYTE_0 src1_sel:DWORD
	v_or_b32_sdwa v13, v11, v13 dst_sel:WORD_1 dst_unused:UNUSED_PAD src0_sel:BYTE_0 src1_sel:DWORD
	v_or_b32_sdwa v2, v2, v13 dst_sel:DWORD dst_unused:UNUSED_PAD src0_sel:WORD_0 src1_sel:DWORD
	s_cbranch_scc0 .LBB75_4
.LBB75_2:                               ; =>This Inner Loop Header: Depth=1
	s_waitcnt vmcnt(0)
	v_lshrrev_b32_e32 v6, 8, v1
	v_add_u16_e32 v7, v6, v1
	v_add_u16_sdwa v7, v7, v1 dst_sel:DWORD dst_unused:UNUSED_PAD src0_sel:DWORD src1_sel:WORD_1
	v_add_u16_sdwa v7, v7, v1 dst_sel:DWORD dst_unused:UNUSED_PAD src0_sel:DWORD src1_sel:BYTE_3
	v_lshrrev_b32_e32 v0, 8, v2
	v_add_u16_e32 v7, v7, v2
	v_add_u16_e32 v7, v7, v0
	v_add_u16_sdwa v7, v7, v2 dst_sel:DWORD dst_unused:UNUSED_PAD src0_sel:DWORD src1_sel:WORD_1
	v_add_u16_sdwa v7, v7, v2 dst_sel:DWORD dst_unused:UNUSED_PAD src0_sel:DWORD src1_sel:BYTE_3
	v_and_b32_e32 v8, 0xff, v7
	s_nop 1
	v_mov_b32_dpp v8, v8 row_shr:1 row_mask:0xf bank_mask:0xf
	v_cndmask_b32_e64 v8, v8, 0, vcc
	v_add_u16_e32 v7, v7, v8
	v_and_b32_e32 v8, 0xff, v7
	s_nop 1
	v_mov_b32_dpp v8, v8 row_shr:2 row_mask:0xf bank_mask:0xf
	v_cndmask_b32_e64 v8, 0, v8, s[0:1]
	v_add_u16_e32 v7, v7, v8
	v_and_b32_e32 v8, 0xff, v7
	s_nop 1
	v_mov_b32_dpp v8, v8 row_shr:4 row_mask:0xf bank_mask:0xf
	v_cndmask_b32_e64 v8, 0, v8, s[2:3]
	;; [unrolled: 5-line block ×3, first 2 shown]
	v_add_u16_e32 v7, v7, v8
	v_and_b32_e32 v8, 0xff, v7
	s_nop 1
	v_mov_b32_dpp v8, v8 row_bcast:15 row_mask:0xf bank_mask:0xf
	v_cndmask_b32_e64 v8, v8, 0, s[6:7]
	v_add_u16_e32 v7, v7, v8
	v_and_b32_e32 v8, 0xff, v7
	s_nop 1
	v_mov_b32_dpp v8, v8 row_bcast:31 row_mask:0xf bank_mask:0xf
	v_cndmask_b32_e64 v8, 0, v8, s[8:9]
	v_add_u16_e32 v7, v7, v8
	s_and_saveexec_b64 s[16:17], s[10:11]
	s_cbranch_execz .LBB75_1
; %bb.3:                                ;   in Loop: Header=BB75_2 Depth=1
	ds_write_b8 v4, v7
	s_branch .LBB75_1
.LBB75_4:
	s_mov_b32 s0, 0xc0c0004
	v_add_co_u32_e32 v1, vcc, s14, v3
	v_perm_b32 v0, v10, v0, s0
	v_perm_b32 v3, v11, v12, s0
	v_mov_b32_e32 v2, s15
	v_lshl_or_b32 v4, v3, 16, v0
	v_perm_b32 v0, v7, v6, s0
	v_perm_b32 v3, v8, v9, s0
	v_addc_co_u32_e32 v2, vcc, 0, v2, vcc
	v_lshl_or_b32 v3, v3, 16, v0
	global_store_dwordx2 v[1:2], v[3:4], off
	s_endpgm
	.section	.rodata,"a",@progbits
	.p2align	6, 0x0
	.amdhsa_kernel _Z6kernelI14inclusive_scanILN6hipcub18BlockScanAlgorithmE0EEhLj64ELj8ELj100EEvPKT0_PS4_S4_
		.amdhsa_group_segment_fixed_size 1
		.amdhsa_private_segment_fixed_size 0
		.amdhsa_kernarg_size 280
		.amdhsa_user_sgpr_count 6
		.amdhsa_user_sgpr_private_segment_buffer 1
		.amdhsa_user_sgpr_dispatch_ptr 0
		.amdhsa_user_sgpr_queue_ptr 0
		.amdhsa_user_sgpr_kernarg_segment_ptr 1
		.amdhsa_user_sgpr_dispatch_id 0
		.amdhsa_user_sgpr_flat_scratch_init 0
		.amdhsa_user_sgpr_private_segment_size 0
		.amdhsa_uses_dynamic_stack 0
		.amdhsa_system_sgpr_private_segment_wavefront_offset 0
		.amdhsa_system_sgpr_workgroup_id_x 1
		.amdhsa_system_sgpr_workgroup_id_y 0
		.amdhsa_system_sgpr_workgroup_id_z 0
		.amdhsa_system_sgpr_workgroup_info 0
		.amdhsa_system_vgpr_workitem_id 0
		.amdhsa_next_free_vgpr 14
		.amdhsa_next_free_sgpr 19
		.amdhsa_reserve_vcc 1
		.amdhsa_reserve_flat_scratch 0
		.amdhsa_float_round_mode_32 0
		.amdhsa_float_round_mode_16_64 0
		.amdhsa_float_denorm_mode_32 3
		.amdhsa_float_denorm_mode_16_64 3
		.amdhsa_dx10_clamp 1
		.amdhsa_ieee_mode 1
		.amdhsa_fp16_overflow 0
		.amdhsa_exception_fp_ieee_invalid_op 0
		.amdhsa_exception_fp_denorm_src 0
		.amdhsa_exception_fp_ieee_div_zero 0
		.amdhsa_exception_fp_ieee_overflow 0
		.amdhsa_exception_fp_ieee_underflow 0
		.amdhsa_exception_fp_ieee_inexact 0
		.amdhsa_exception_int_div_zero 0
	.end_amdhsa_kernel
	.section	.text._Z6kernelI14inclusive_scanILN6hipcub18BlockScanAlgorithmE0EEhLj64ELj8ELj100EEvPKT0_PS4_S4_,"axG",@progbits,_Z6kernelI14inclusive_scanILN6hipcub18BlockScanAlgorithmE0EEhLj64ELj8ELj100EEvPKT0_PS4_S4_,comdat
.Lfunc_end75:
	.size	_Z6kernelI14inclusive_scanILN6hipcub18BlockScanAlgorithmE0EEhLj64ELj8ELj100EEvPKT0_PS4_S4_, .Lfunc_end75-_Z6kernelI14inclusive_scanILN6hipcub18BlockScanAlgorithmE0EEhLj64ELj8ELj100EEvPKT0_PS4_S4_
                                        ; -- End function
	.set _Z6kernelI14inclusive_scanILN6hipcub18BlockScanAlgorithmE0EEhLj64ELj8ELj100EEvPKT0_PS4_S4_.num_vgpr, 14
	.set _Z6kernelI14inclusive_scanILN6hipcub18BlockScanAlgorithmE0EEhLj64ELj8ELj100EEvPKT0_PS4_S4_.num_agpr, 0
	.set _Z6kernelI14inclusive_scanILN6hipcub18BlockScanAlgorithmE0EEhLj64ELj8ELj100EEvPKT0_PS4_S4_.numbered_sgpr, 19
	.set _Z6kernelI14inclusive_scanILN6hipcub18BlockScanAlgorithmE0EEhLj64ELj8ELj100EEvPKT0_PS4_S4_.num_named_barrier, 0
	.set _Z6kernelI14inclusive_scanILN6hipcub18BlockScanAlgorithmE0EEhLj64ELj8ELj100EEvPKT0_PS4_S4_.private_seg_size, 0
	.set _Z6kernelI14inclusive_scanILN6hipcub18BlockScanAlgorithmE0EEhLj64ELj8ELj100EEvPKT0_PS4_S4_.uses_vcc, 1
	.set _Z6kernelI14inclusive_scanILN6hipcub18BlockScanAlgorithmE0EEhLj64ELj8ELj100EEvPKT0_PS4_S4_.uses_flat_scratch, 0
	.set _Z6kernelI14inclusive_scanILN6hipcub18BlockScanAlgorithmE0EEhLj64ELj8ELj100EEvPKT0_PS4_S4_.has_dyn_sized_stack, 0
	.set _Z6kernelI14inclusive_scanILN6hipcub18BlockScanAlgorithmE0EEhLj64ELj8ELj100EEvPKT0_PS4_S4_.has_recursion, 0
	.set _Z6kernelI14inclusive_scanILN6hipcub18BlockScanAlgorithmE0EEhLj64ELj8ELj100EEvPKT0_PS4_S4_.has_indirect_call, 0
	.section	.AMDGPU.csdata,"",@progbits
; Kernel info:
; codeLenInByte = 676
; TotalNumSgprs: 23
; NumVgprs: 14
; ScratchSize: 0
; MemoryBound: 0
; FloatMode: 240
; IeeeMode: 1
; LDSByteSize: 1 bytes/workgroup (compile time only)
; SGPRBlocks: 2
; VGPRBlocks: 3
; NumSGPRsForWavesPerEU: 23
; NumVGPRsForWavesPerEU: 14
; Occupancy: 10
; WaveLimiterHint : 0
; COMPUTE_PGM_RSRC2:SCRATCH_EN: 0
; COMPUTE_PGM_RSRC2:USER_SGPR: 6
; COMPUTE_PGM_RSRC2:TRAP_HANDLER: 0
; COMPUTE_PGM_RSRC2:TGID_X_EN: 1
; COMPUTE_PGM_RSRC2:TGID_Y_EN: 0
; COMPUTE_PGM_RSRC2:TGID_Z_EN: 0
; COMPUTE_PGM_RSRC2:TIDIG_COMP_CNT: 0
	.section	.text._Z6kernelI14inclusive_scanILN6hipcub18BlockScanAlgorithmE0EEhLj64ELj11ELj100EEvPKT0_PS4_S4_,"axG",@progbits,_Z6kernelI14inclusive_scanILN6hipcub18BlockScanAlgorithmE0EEhLj64ELj11ELj100EEvPKT0_PS4_S4_,comdat
	.protected	_Z6kernelI14inclusive_scanILN6hipcub18BlockScanAlgorithmE0EEhLj64ELj11ELj100EEvPKT0_PS4_S4_ ; -- Begin function _Z6kernelI14inclusive_scanILN6hipcub18BlockScanAlgorithmE0EEhLj64ELj11ELj100EEvPKT0_PS4_S4_
	.globl	_Z6kernelI14inclusive_scanILN6hipcub18BlockScanAlgorithmE0EEhLj64ELj11ELj100EEvPKT0_PS4_S4_
	.p2align	8
	.type	_Z6kernelI14inclusive_scanILN6hipcub18BlockScanAlgorithmE0EEhLj64ELj11ELj100EEvPKT0_PS4_S4_,@function
_Z6kernelI14inclusive_scanILN6hipcub18BlockScanAlgorithmE0EEhLj64ELj11ELj100EEvPKT0_PS4_S4_: ; @_Z6kernelI14inclusive_scanILN6hipcub18BlockScanAlgorithmE0EEhLj64ELj11ELj100EEvPKT0_PS4_S4_
; %bb.0:
	s_load_dword s0, s[4:5], 0x24
	s_load_dwordx4 s[16:19], s[4:5], 0x0
	v_mbcnt_lo_u32_b32 v7, -1, 0
	v_mbcnt_hi_u32_b32 v14, -1, v7
	v_cmp_eq_u32_e32 vcc, 63, v0
	s_waitcnt lgkmcnt(0)
	s_and_b32 s0, s0, 0xffff
	s_mul_i32 s6, s6, s0
	v_add_u32_e32 v1, s6, v0
	v_mul_lo_u32 v6, v1, 11
	v_cmp_eq_u32_e64 s[0:1], 0, v0
	v_and_b32_e32 v0, 15, v14
	v_and_b32_e32 v7, 16, v14
	v_add_u32_e32 v3, 3, v6
	v_add_u32_e32 v5, 1, v6
	;; [unrolled: 1-line block ×5, first 2 shown]
	global_load_ubyte v16, v6, s[16:17]
	global_load_ubyte v17, v5, s[16:17]
	;; [unrolled: 1-line block ×3, first 2 shown]
	v_add_u32_e32 v15, -1, v14
	v_and_b32_e32 v8, 64, v14
	v_add_u32_e32 v13, 6, v6
	v_add_u32_e32 v11, 7, v6
	;; [unrolled: 1-line block ×3, first 2 shown]
	global_load_ubyte v19, v3, s[16:17]
	global_load_ubyte v20, v1, s[16:17]
	global_load_ubyte v21, v2, s[16:17]
	global_load_ubyte v22, v11, s[16:17]
	global_load_ubyte v23, v13, s[16:17]
	v_cmp_eq_u32_e64 s[2:3], 0, v0
	v_cmp_lt_u32_e64 s[4:5], 1, v0
	v_cmp_lt_u32_e64 s[6:7], 3, v0
	;; [unrolled: 1-line block ×3, first 2 shown]
	v_cmp_eq_u32_e64 s[10:11], 0, v7
	v_cmp_lt_i32_e64 s[14:15], v15, v8
	v_add_u32_e32 v0, 9, v6
	v_add_u32_e32 v7, 10, v6
	global_load_ubyte v12, v9, s[16:17]
	global_load_ubyte v10, v0, s[16:17]
	;; [unrolled: 1-line block ×3, first 2 shown]
	s_mov_b32 s16, 0xc0c0004
	v_cndmask_b32_e64 v15, v15, v14, s[14:15]
	v_cmp_lt_u32_e64 s[12:13], 31, v14
	v_mov_b32_e32 v14, 0
	v_lshlrev_b32_e32 v15, 2, v15
	s_waitcnt vmcnt(9)
	v_perm_b32 v16, v16, v17, s16
	s_waitcnt vmcnt(7)
	v_perm_b32 v17, v18, v19, s16
	v_lshl_or_b32 v17, v17, 16, v16
	s_waitcnt vmcnt(5)
	v_perm_b32 v18, v21, v20, s16
	s_waitcnt vmcnt(3)
	v_perm_b32 v19, v23, v22, s16
	v_lshl_or_b32 v16, v19, 16, v18
	s_movk_i32 s16, 0x64
	s_branch .LBB76_2
.LBB76_1:                               ;   in Loop: Header=BB76_2 Depth=1
	s_or_b64 exec, exec, s[14:15]
	v_and_b32_e32 v20, 0xff, v20
	ds_bpermute_b32 v20, v15, v20
	s_add_i32 s16, s16, -1
	s_cmp_lg_u32 s16, 0
	s_waitcnt lgkmcnt(0)
	; wave barrier
	v_cndmask_b32_e64 v20, v20, 0, s[0:1]
	v_add_u16_e32 v25, v20, v17
	v_add_u16_e32 v24, v25, v19
	v_add_u16_sdwa v22, v24, v17 dst_sel:DWORD dst_unused:UNUSED_PAD src0_sel:DWORD src1_sel:WORD_1
	v_add_u16_sdwa v23, v22, v17 dst_sel:DWORD dst_unused:UNUSED_PAD src0_sel:DWORD src1_sel:BYTE_3
	v_lshlrev_b16_e32 v19, 8, v24
	v_add_u16_e32 v20, v23, v16
	v_or_b32_sdwa v17, v25, v19 dst_sel:DWORD dst_unused:UNUSED_PAD src0_sel:BYTE_0 src1_sel:DWORD
	v_lshlrev_b16_e32 v19, 8, v23
	v_add_u16_e32 v21, v20, v18
	v_or_b32_sdwa v18, v22, v19 dst_sel:WORD_1 dst_unused:UNUSED_PAD src0_sel:BYTE_0 src1_sel:DWORD
	v_add_u16_sdwa v19, v21, v16 dst_sel:DWORD dst_unused:UNUSED_PAD src0_sel:DWORD src1_sel:WORD_1
	v_or_b32_sdwa v17, v17, v18 dst_sel:DWORD dst_unused:UNUSED_PAD src0_sel:WORD_0 src1_sel:DWORD
	v_add_u16_sdwa v18, v19, v16 dst_sel:DWORD dst_unused:UNUSED_PAD src0_sel:DWORD src1_sel:BYTE_3
	v_lshlrev_b16_e32 v16, 8, v21
	v_lshlrev_b16_e32 v26, 8, v18
	v_add_u16_e32 v12, v18, v12
	v_or_b32_sdwa v16, v20, v16 dst_sel:DWORD dst_unused:UNUSED_PAD src0_sel:BYTE_0 src1_sel:DWORD
	v_or_b32_sdwa v26, v19, v26 dst_sel:WORD_1 dst_unused:UNUSED_PAD src0_sel:BYTE_0 src1_sel:DWORD
	v_add_u16_e32 v10, v12, v10
	v_or_b32_sdwa v16, v16, v26 dst_sel:DWORD dst_unused:UNUSED_PAD src0_sel:WORD_0 src1_sel:DWORD
	v_add_u16_e32 v8, v10, v8
	s_cbranch_scc0 .LBB76_4
.LBB76_2:                               ; =>This Inner Loop Header: Depth=1
	v_lshrrev_b32_e32 v19, 8, v17
	v_add_u16_e32 v20, v19, v17
	v_add_u16_sdwa v20, v20, v17 dst_sel:DWORD dst_unused:UNUSED_PAD src0_sel:DWORD src1_sel:WORD_1
	v_add_u16_sdwa v20, v20, v17 dst_sel:DWORD dst_unused:UNUSED_PAD src0_sel:DWORD src1_sel:BYTE_3
	v_lshrrev_b32_e32 v18, 8, v16
	v_add_u16_e32 v20, v20, v16
	v_add_u16_e32 v20, v20, v18
	v_add_u16_sdwa v20, v20, v16 dst_sel:DWORD dst_unused:UNUSED_PAD src0_sel:DWORD src1_sel:WORD_1
	v_add_u16_sdwa v20, v20, v16 dst_sel:DWORD dst_unused:UNUSED_PAD src0_sel:DWORD src1_sel:BYTE_3
	s_waitcnt vmcnt(2)
	v_add_u16_e32 v20, v20, v12
	s_waitcnt vmcnt(1)
	v_add_u16_e32 v20, v20, v10
	;; [unrolled: 2-line block ×3, first 2 shown]
	v_and_b32_e32 v21, 0xff, v20
	s_nop 1
	v_mov_b32_dpp v21, v21 row_shr:1 row_mask:0xf bank_mask:0xf
	v_cndmask_b32_e64 v21, v21, 0, s[2:3]
	v_add_u16_e32 v20, v20, v21
	v_and_b32_e32 v21, 0xff, v20
	s_nop 1
	v_mov_b32_dpp v21, v21 row_shr:2 row_mask:0xf bank_mask:0xf
	v_cndmask_b32_e64 v21, 0, v21, s[4:5]
	v_add_u16_e32 v20, v20, v21
	;; [unrolled: 5-line block ×4, first 2 shown]
	v_and_b32_e32 v21, 0xff, v20
	s_nop 1
	v_mov_b32_dpp v21, v21 row_bcast:15 row_mask:0xf bank_mask:0xf
	v_cndmask_b32_e64 v21, v21, 0, s[10:11]
	v_add_u16_e32 v20, v20, v21
	v_and_b32_e32 v21, 0xff, v20
	s_nop 1
	v_mov_b32_dpp v21, v21 row_bcast:31 row_mask:0xf bank_mask:0xf
	v_cndmask_b32_e64 v21, 0, v21, s[12:13]
	v_add_u16_e32 v20, v20, v21
	s_and_saveexec_b64 s[14:15], vcc
	s_cbranch_execz .LBB76_1
; %bb.3:                                ;   in Loop: Header=BB76_2 Depth=1
	ds_write_b8 v14, v20
	s_branch .LBB76_1
.LBB76_4:
	v_mov_b32_e32 v15, s19
	v_add_co_u32_e32 v14, vcc, s18, v6
	v_addc_co_u32_e32 v15, vcc, 0, v15, vcc
	v_mov_b32_e32 v6, s19
	v_add_co_u32_e32 v5, vcc, s18, v5
	v_addc_co_u32_e32 v6, vcc, 0, v6, vcc
	global_store_byte v[5:6], v24, off
	v_mov_b32_e32 v5, s19
	v_add_co_u32_e32 v4, vcc, s18, v4
	v_addc_co_u32_e32 v5, vcc, 0, v5, vcc
	global_store_byte v[4:5], v22, off
	;; [unrolled: 4-line block ×10, first 2 shown]
	global_store_byte v[0:1], v8, off
	s_endpgm
	.section	.rodata,"a",@progbits
	.p2align	6, 0x0
	.amdhsa_kernel _Z6kernelI14inclusive_scanILN6hipcub18BlockScanAlgorithmE0EEhLj64ELj11ELj100EEvPKT0_PS4_S4_
		.amdhsa_group_segment_fixed_size 1
		.amdhsa_private_segment_fixed_size 0
		.amdhsa_kernarg_size 280
		.amdhsa_user_sgpr_count 6
		.amdhsa_user_sgpr_private_segment_buffer 1
		.amdhsa_user_sgpr_dispatch_ptr 0
		.amdhsa_user_sgpr_queue_ptr 0
		.amdhsa_user_sgpr_kernarg_segment_ptr 1
		.amdhsa_user_sgpr_dispatch_id 0
		.amdhsa_user_sgpr_flat_scratch_init 0
		.amdhsa_user_sgpr_private_segment_size 0
		.amdhsa_uses_dynamic_stack 0
		.amdhsa_system_sgpr_private_segment_wavefront_offset 0
		.amdhsa_system_sgpr_workgroup_id_x 1
		.amdhsa_system_sgpr_workgroup_id_y 0
		.amdhsa_system_sgpr_workgroup_id_z 0
		.amdhsa_system_sgpr_workgroup_info 0
		.amdhsa_system_vgpr_workitem_id 0
		.amdhsa_next_free_vgpr 27
		.amdhsa_next_free_sgpr 20
		.amdhsa_reserve_vcc 1
		.amdhsa_reserve_flat_scratch 0
		.amdhsa_float_round_mode_32 0
		.amdhsa_float_round_mode_16_64 0
		.amdhsa_float_denorm_mode_32 3
		.amdhsa_float_denorm_mode_16_64 3
		.amdhsa_dx10_clamp 1
		.amdhsa_ieee_mode 1
		.amdhsa_fp16_overflow 0
		.amdhsa_exception_fp_ieee_invalid_op 0
		.amdhsa_exception_fp_denorm_src 0
		.amdhsa_exception_fp_ieee_div_zero 0
		.amdhsa_exception_fp_ieee_overflow 0
		.amdhsa_exception_fp_ieee_underflow 0
		.amdhsa_exception_fp_ieee_inexact 0
		.amdhsa_exception_int_div_zero 0
	.end_amdhsa_kernel
	.section	.text._Z6kernelI14inclusive_scanILN6hipcub18BlockScanAlgorithmE0EEhLj64ELj11ELj100EEvPKT0_PS4_S4_,"axG",@progbits,_Z6kernelI14inclusive_scanILN6hipcub18BlockScanAlgorithmE0EEhLj64ELj11ELj100EEvPKT0_PS4_S4_,comdat
.Lfunc_end76:
	.size	_Z6kernelI14inclusive_scanILN6hipcub18BlockScanAlgorithmE0EEhLj64ELj11ELj100EEvPKT0_PS4_S4_, .Lfunc_end76-_Z6kernelI14inclusive_scanILN6hipcub18BlockScanAlgorithmE0EEhLj64ELj11ELj100EEvPKT0_PS4_S4_
                                        ; -- End function
	.set _Z6kernelI14inclusive_scanILN6hipcub18BlockScanAlgorithmE0EEhLj64ELj11ELj100EEvPKT0_PS4_S4_.num_vgpr, 27
	.set _Z6kernelI14inclusive_scanILN6hipcub18BlockScanAlgorithmE0EEhLj64ELj11ELj100EEvPKT0_PS4_S4_.num_agpr, 0
	.set _Z6kernelI14inclusive_scanILN6hipcub18BlockScanAlgorithmE0EEhLj64ELj11ELj100EEvPKT0_PS4_S4_.numbered_sgpr, 20
	.set _Z6kernelI14inclusive_scanILN6hipcub18BlockScanAlgorithmE0EEhLj64ELj11ELj100EEvPKT0_PS4_S4_.num_named_barrier, 0
	.set _Z6kernelI14inclusive_scanILN6hipcub18BlockScanAlgorithmE0EEhLj64ELj11ELj100EEvPKT0_PS4_S4_.private_seg_size, 0
	.set _Z6kernelI14inclusive_scanILN6hipcub18BlockScanAlgorithmE0EEhLj64ELj11ELj100EEvPKT0_PS4_S4_.uses_vcc, 1
	.set _Z6kernelI14inclusive_scanILN6hipcub18BlockScanAlgorithmE0EEhLj64ELj11ELj100EEvPKT0_PS4_S4_.uses_flat_scratch, 0
	.set _Z6kernelI14inclusive_scanILN6hipcub18BlockScanAlgorithmE0EEhLj64ELj11ELj100EEvPKT0_PS4_S4_.has_dyn_sized_stack, 0
	.set _Z6kernelI14inclusive_scanILN6hipcub18BlockScanAlgorithmE0EEhLj64ELj11ELj100EEvPKT0_PS4_S4_.has_recursion, 0
	.set _Z6kernelI14inclusive_scanILN6hipcub18BlockScanAlgorithmE0EEhLj64ELj11ELj100EEvPKT0_PS4_S4_.has_indirect_call, 0
	.section	.AMDGPU.csdata,"",@progbits
; Kernel info:
; codeLenInByte = 1048
; TotalNumSgprs: 24
; NumVgprs: 27
; ScratchSize: 0
; MemoryBound: 0
; FloatMode: 240
; IeeeMode: 1
; LDSByteSize: 1 bytes/workgroup (compile time only)
; SGPRBlocks: 2
; VGPRBlocks: 6
; NumSGPRsForWavesPerEU: 24
; NumVGPRsForWavesPerEU: 27
; Occupancy: 9
; WaveLimiterHint : 0
; COMPUTE_PGM_RSRC2:SCRATCH_EN: 0
; COMPUTE_PGM_RSRC2:USER_SGPR: 6
; COMPUTE_PGM_RSRC2:TRAP_HANDLER: 0
; COMPUTE_PGM_RSRC2:TGID_X_EN: 1
; COMPUTE_PGM_RSRC2:TGID_Y_EN: 0
; COMPUTE_PGM_RSRC2:TGID_Z_EN: 0
; COMPUTE_PGM_RSRC2:TIDIG_COMP_CNT: 0
	.section	.text._Z6kernelI14inclusive_scanILN6hipcub18BlockScanAlgorithmE0EEhLj64ELj16ELj100EEvPKT0_PS4_S4_,"axG",@progbits,_Z6kernelI14inclusive_scanILN6hipcub18BlockScanAlgorithmE0EEhLj64ELj16ELj100EEvPKT0_PS4_S4_,comdat
	.protected	_Z6kernelI14inclusive_scanILN6hipcub18BlockScanAlgorithmE0EEhLj64ELj16ELj100EEvPKT0_PS4_S4_ ; -- Begin function _Z6kernelI14inclusive_scanILN6hipcub18BlockScanAlgorithmE0EEhLj64ELj16ELj100EEvPKT0_PS4_S4_
	.globl	_Z6kernelI14inclusive_scanILN6hipcub18BlockScanAlgorithmE0EEhLj64ELj16ELj100EEvPKT0_PS4_S4_
	.p2align	8
	.type	_Z6kernelI14inclusive_scanILN6hipcub18BlockScanAlgorithmE0EEhLj64ELj16ELj100EEvPKT0_PS4_S4_,@function
_Z6kernelI14inclusive_scanILN6hipcub18BlockScanAlgorithmE0EEhLj64ELj16ELj100EEvPKT0_PS4_S4_: ; @_Z6kernelI14inclusive_scanILN6hipcub18BlockScanAlgorithmE0EEhLj64ELj16ELj100EEvPKT0_PS4_S4_
; %bb.0:
	s_load_dword s0, s[4:5], 0x24
	s_load_dwordx4 s[12:15], s[4:5], 0x0
	v_mbcnt_lo_u32_b32 v6, -1, 0
	v_mbcnt_hi_u32_b32 v6, -1, v6
	v_and_b32_e32 v7, 15, v6
	s_waitcnt lgkmcnt(0)
	s_and_b32 s0, s0, 0xffff
	s_mul_i32 s6, s6, s0
	v_add_lshl_u32 v5, s6, v0, 4
	global_load_dwordx4 v[1:4], v5, s[12:13]
	v_cmp_eq_u32_e32 vcc, 0, v7
	v_cmp_lt_u32_e64 s[0:1], 1, v7
	v_cmp_lt_u32_e64 s[2:3], 3, v7
	;; [unrolled: 1-line block ×3, first 2 shown]
	v_and_b32_e32 v7, 16, v6
	v_cmp_eq_u32_e64 s[6:7], 0, v7
	v_add_u32_e32 v7, -1, v6
	v_and_b32_e32 v8, 64, v6
	v_cmp_lt_i32_e64 s[12:13], v7, v8
	v_cmp_lt_u32_e64 s[8:9], 31, v6
	v_cndmask_b32_e64 v6, v7, v6, s[12:13]
	v_cmp_eq_u32_e64 s[10:11], 63, v0
	v_lshlrev_b32_e32 v6, 2, v6
	v_cmp_eq_u32_e64 s[12:13], 0, v0
	s_movk_i32 s18, 0x64
	s_branch .LBB77_2
.LBB77_1:                               ;   in Loop: Header=BB77_2 Depth=1
	s_or_b64 exec, exec, s[16:17]
	v_and_b32_e32 v9, 0xff, v9
	ds_bpermute_b32 v9, v6, v9
	s_add_i32 s18, s18, -1
	s_cmp_lg_u32 s18, 0
	s_waitcnt lgkmcnt(0)
	; wave barrier
	v_cndmask_b32_e64 v9, v9, 0, s[12:13]
	v_add_u16_e32 v9, v9, v1
	v_add_u16_e32 v10, v9, v10
	v_add_u16_sdwa v11, v10, v1 dst_sel:DWORD dst_unused:UNUSED_PAD src0_sel:DWORD src1_sel:WORD_1
	v_lshlrev_b16_e32 v13, 8, v10
	v_add_u16_sdwa v12, v11, v1 dst_sel:DWORD dst_unused:UNUSED_PAD src0_sel:DWORD src1_sel:BYTE_3
	v_or_b32_sdwa v1, v9, v13 dst_sel:DWORD dst_unused:UNUSED_PAD src0_sel:BYTE_0 src1_sel:DWORD
	v_lshlrev_b16_e32 v14, 8, v12
	v_add_u16_e32 v13, v12, v2
	v_or_b32_sdwa v14, v11, v14 dst_sel:WORD_1 dst_unused:UNUSED_PAD src0_sel:BYTE_0 src1_sel:DWORD
	v_add_u16_e32 v8, v13, v8
	v_or_b32_sdwa v1, v1, v14 dst_sel:DWORD dst_unused:UNUSED_PAD src0_sel:WORD_0 src1_sel:DWORD
	v_lshlrev_b16_e32 v14, 8, v8
	v_or_b32_sdwa v16, v13, v14 dst_sel:DWORD dst_unused:UNUSED_PAD src0_sel:BYTE_0 src1_sel:DWORD
	v_add_u16_sdwa v14, v8, v2 dst_sel:DWORD dst_unused:UNUSED_PAD src0_sel:DWORD src1_sel:WORD_1
	v_add_u16_sdwa v15, v14, v2 dst_sel:DWORD dst_unused:UNUSED_PAD src0_sel:DWORD src1_sel:BYTE_3
	v_lshlrev_b16_e32 v2, 8, v15
	v_or_b32_sdwa v2, v14, v2 dst_sel:WORD_1 dst_unused:UNUSED_PAD src0_sel:BYTE_0 src1_sel:DWORD
	v_or_b32_sdwa v2, v16, v2 dst_sel:DWORD dst_unused:UNUSED_PAD src0_sel:WORD_0 src1_sel:DWORD
	v_add_u16_e32 v16, v15, v3
	v_add_u16_e32 v7, v16, v7
	v_lshlrev_b16_e32 v17, 8, v7
	v_or_b32_sdwa v19, v16, v17 dst_sel:DWORD dst_unused:UNUSED_PAD src0_sel:BYTE_0 src1_sel:DWORD
	v_add_u16_sdwa v17, v7, v3 dst_sel:DWORD dst_unused:UNUSED_PAD src0_sel:DWORD src1_sel:WORD_1
	v_add_u16_sdwa v18, v17, v3 dst_sel:DWORD dst_unused:UNUSED_PAD src0_sel:DWORD src1_sel:BYTE_3
	v_lshlrev_b16_e32 v3, 8, v18
	v_or_b32_sdwa v3, v17, v3 dst_sel:WORD_1 dst_unused:UNUSED_PAD src0_sel:BYTE_0 src1_sel:DWORD
	v_or_b32_sdwa v3, v19, v3 dst_sel:DWORD dst_unused:UNUSED_PAD src0_sel:WORD_0 src1_sel:DWORD
	v_add_u16_e32 v19, v18, v4
	v_add_u16_e32 v0, v19, v0
	v_lshlrev_b16_e32 v20, 8, v0
	v_or_b32_sdwa v22, v19, v20 dst_sel:DWORD dst_unused:UNUSED_PAD src0_sel:BYTE_0 src1_sel:DWORD
	v_add_u16_sdwa v20, v0, v4 dst_sel:DWORD dst_unused:UNUSED_PAD src0_sel:DWORD src1_sel:WORD_1
	v_add_u16_sdwa v21, v20, v4 dst_sel:DWORD dst_unused:UNUSED_PAD src0_sel:DWORD src1_sel:BYTE_3
	v_lshlrev_b16_e32 v4, 8, v21
	v_or_b32_sdwa v4, v20, v4 dst_sel:WORD_1 dst_unused:UNUSED_PAD src0_sel:BYTE_0 src1_sel:DWORD
	v_or_b32_sdwa v4, v22, v4 dst_sel:DWORD dst_unused:UNUSED_PAD src0_sel:WORD_0 src1_sel:DWORD
	s_cbranch_scc0 .LBB77_4
.LBB77_2:                               ; =>This Inner Loop Header: Depth=1
	s_waitcnt vmcnt(0)
	v_lshrrev_b32_e32 v10, 8, v1
	v_add_u16_e32 v9, v10, v1
	v_add_u16_sdwa v9, v9, v1 dst_sel:DWORD dst_unused:UNUSED_PAD src0_sel:DWORD src1_sel:WORD_1
	v_add_u16_sdwa v9, v9, v1 dst_sel:DWORD dst_unused:UNUSED_PAD src0_sel:DWORD src1_sel:BYTE_3
	v_lshrrev_b32_e32 v8, 8, v2
	v_add_u16_e32 v9, v9, v2
	v_add_u16_e32 v9, v9, v8
	v_add_u16_sdwa v9, v9, v2 dst_sel:DWORD dst_unused:UNUSED_PAD src0_sel:DWORD src1_sel:WORD_1
	v_add_u16_sdwa v9, v9, v2 dst_sel:DWORD dst_unused:UNUSED_PAD src0_sel:DWORD src1_sel:BYTE_3
	v_lshrrev_b32_e32 v7, 8, v3
	v_add_u16_e32 v9, v9, v3
	v_add_u16_e32 v9, v9, v7
	v_add_u16_sdwa v9, v9, v3 dst_sel:DWORD dst_unused:UNUSED_PAD src0_sel:DWORD src1_sel:WORD_1
	v_add_u16_sdwa v9, v9, v3 dst_sel:DWORD dst_unused:UNUSED_PAD src0_sel:DWORD src1_sel:BYTE_3
	v_lshrrev_b32_e32 v0, 8, v4
	v_add_u16_e32 v9, v9, v4
	v_add_u16_e32 v9, v9, v0
	v_add_u16_sdwa v9, v9, v4 dst_sel:DWORD dst_unused:UNUSED_PAD src0_sel:DWORD src1_sel:WORD_1
	v_add_u16_sdwa v9, v9, v4 dst_sel:DWORD dst_unused:UNUSED_PAD src0_sel:DWORD src1_sel:BYTE_3
	v_and_b32_e32 v11, 0xff, v9
	s_nop 1
	v_mov_b32_dpp v11, v11 row_shr:1 row_mask:0xf bank_mask:0xf
	v_cndmask_b32_e64 v11, v11, 0, vcc
	v_add_u16_e32 v9, v9, v11
	v_and_b32_e32 v11, 0xff, v9
	s_nop 1
	v_mov_b32_dpp v11, v11 row_shr:2 row_mask:0xf bank_mask:0xf
	v_cndmask_b32_e64 v11, 0, v11, s[0:1]
	v_add_u16_e32 v9, v9, v11
	v_and_b32_e32 v11, 0xff, v9
	s_nop 1
	v_mov_b32_dpp v11, v11 row_shr:4 row_mask:0xf bank_mask:0xf
	v_cndmask_b32_e64 v11, 0, v11, s[2:3]
	;; [unrolled: 5-line block ×3, first 2 shown]
	v_add_u16_e32 v9, v9, v11
	v_and_b32_e32 v11, 0xff, v9
	s_nop 1
	v_mov_b32_dpp v11, v11 row_bcast:15 row_mask:0xf bank_mask:0xf
	v_cndmask_b32_e64 v11, v11, 0, s[6:7]
	v_add_u16_e32 v9, v9, v11
	v_and_b32_e32 v11, 0xff, v9
	s_nop 1
	v_mov_b32_dpp v11, v11 row_bcast:31 row_mask:0xf bank_mask:0xf
	v_cndmask_b32_e64 v11, 0, v11, s[8:9]
	v_add_u16_e32 v9, v9, v11
	s_and_saveexec_b64 s[16:17], s[10:11]
	s_cbranch_execz .LBB77_1
; %bb.3:                                ;   in Loop: Header=BB77_2 Depth=1
	v_mov_b32_e32 v11, 0
	ds_write_b8 v11, v9
	s_branch .LBB77_1
.LBB77_4:
	v_mov_b32_e32 v1, s15
	v_add_co_u32_e32 v4, vcc, s14, v5
	s_mov_b32 s0, 0xc0c0004
	v_addc_co_u32_e32 v5, vcc, 0, v1, vcc
	v_perm_b32 v0, v19, v0, s0
	v_perm_b32 v1, v20, v21, s0
	v_lshl_or_b32 v3, v1, 16, v0
	v_perm_b32 v0, v16, v7, s0
	v_perm_b32 v1, v17, v18, s0
	v_lshl_or_b32 v2, v1, 16, v0
	;; [unrolled: 3-line block ×4, first 2 shown]
	global_store_dwordx4 v[4:5], v[0:3], off
	s_endpgm
	.section	.rodata,"a",@progbits
	.p2align	6, 0x0
	.amdhsa_kernel _Z6kernelI14inclusive_scanILN6hipcub18BlockScanAlgorithmE0EEhLj64ELj16ELj100EEvPKT0_PS4_S4_
		.amdhsa_group_segment_fixed_size 1
		.amdhsa_private_segment_fixed_size 0
		.amdhsa_kernarg_size 280
		.amdhsa_user_sgpr_count 6
		.amdhsa_user_sgpr_private_segment_buffer 1
		.amdhsa_user_sgpr_dispatch_ptr 0
		.amdhsa_user_sgpr_queue_ptr 0
		.amdhsa_user_sgpr_kernarg_segment_ptr 1
		.amdhsa_user_sgpr_dispatch_id 0
		.amdhsa_user_sgpr_flat_scratch_init 0
		.amdhsa_user_sgpr_private_segment_size 0
		.amdhsa_uses_dynamic_stack 0
		.amdhsa_system_sgpr_private_segment_wavefront_offset 0
		.amdhsa_system_sgpr_workgroup_id_x 1
		.amdhsa_system_sgpr_workgroup_id_y 0
		.amdhsa_system_sgpr_workgroup_id_z 0
		.amdhsa_system_sgpr_workgroup_info 0
		.amdhsa_system_vgpr_workitem_id 0
		.amdhsa_next_free_vgpr 23
		.amdhsa_next_free_sgpr 19
		.amdhsa_reserve_vcc 1
		.amdhsa_reserve_flat_scratch 0
		.amdhsa_float_round_mode_32 0
		.amdhsa_float_round_mode_16_64 0
		.amdhsa_float_denorm_mode_32 3
		.amdhsa_float_denorm_mode_16_64 3
		.amdhsa_dx10_clamp 1
		.amdhsa_ieee_mode 1
		.amdhsa_fp16_overflow 0
		.amdhsa_exception_fp_ieee_invalid_op 0
		.amdhsa_exception_fp_denorm_src 0
		.amdhsa_exception_fp_ieee_div_zero 0
		.amdhsa_exception_fp_ieee_overflow 0
		.amdhsa_exception_fp_ieee_underflow 0
		.amdhsa_exception_fp_ieee_inexact 0
		.amdhsa_exception_int_div_zero 0
	.end_amdhsa_kernel
	.section	.text._Z6kernelI14inclusive_scanILN6hipcub18BlockScanAlgorithmE0EEhLj64ELj16ELj100EEvPKT0_PS4_S4_,"axG",@progbits,_Z6kernelI14inclusive_scanILN6hipcub18BlockScanAlgorithmE0EEhLj64ELj16ELj100EEvPKT0_PS4_S4_,comdat
.Lfunc_end77:
	.size	_Z6kernelI14inclusive_scanILN6hipcub18BlockScanAlgorithmE0EEhLj64ELj16ELj100EEvPKT0_PS4_S4_, .Lfunc_end77-_Z6kernelI14inclusive_scanILN6hipcub18BlockScanAlgorithmE0EEhLj64ELj16ELj100EEvPKT0_PS4_S4_
                                        ; -- End function
	.set _Z6kernelI14inclusive_scanILN6hipcub18BlockScanAlgorithmE0EEhLj64ELj16ELj100EEvPKT0_PS4_S4_.num_vgpr, 23
	.set _Z6kernelI14inclusive_scanILN6hipcub18BlockScanAlgorithmE0EEhLj64ELj16ELj100EEvPKT0_PS4_S4_.num_agpr, 0
	.set _Z6kernelI14inclusive_scanILN6hipcub18BlockScanAlgorithmE0EEhLj64ELj16ELj100EEvPKT0_PS4_S4_.numbered_sgpr, 19
	.set _Z6kernelI14inclusive_scanILN6hipcub18BlockScanAlgorithmE0EEhLj64ELj16ELj100EEvPKT0_PS4_S4_.num_named_barrier, 0
	.set _Z6kernelI14inclusive_scanILN6hipcub18BlockScanAlgorithmE0EEhLj64ELj16ELj100EEvPKT0_PS4_S4_.private_seg_size, 0
	.set _Z6kernelI14inclusive_scanILN6hipcub18BlockScanAlgorithmE0EEhLj64ELj16ELj100EEvPKT0_PS4_S4_.uses_vcc, 1
	.set _Z6kernelI14inclusive_scanILN6hipcub18BlockScanAlgorithmE0EEhLj64ELj16ELj100EEvPKT0_PS4_S4_.uses_flat_scratch, 0
	.set _Z6kernelI14inclusive_scanILN6hipcub18BlockScanAlgorithmE0EEhLj64ELj16ELj100EEvPKT0_PS4_S4_.has_dyn_sized_stack, 0
	.set _Z6kernelI14inclusive_scanILN6hipcub18BlockScanAlgorithmE0EEhLj64ELj16ELj100EEvPKT0_PS4_S4_.has_recursion, 0
	.set _Z6kernelI14inclusive_scanILN6hipcub18BlockScanAlgorithmE0EEhLj64ELj16ELj100EEvPKT0_PS4_S4_.has_indirect_call, 0
	.section	.AMDGPU.csdata,"",@progbits
; Kernel info:
; codeLenInByte = 892
; TotalNumSgprs: 23
; NumVgprs: 23
; ScratchSize: 0
; MemoryBound: 0
; FloatMode: 240
; IeeeMode: 1
; LDSByteSize: 1 bytes/workgroup (compile time only)
; SGPRBlocks: 2
; VGPRBlocks: 5
; NumSGPRsForWavesPerEU: 23
; NumVGPRsForWavesPerEU: 23
; Occupancy: 10
; WaveLimiterHint : 0
; COMPUTE_PGM_RSRC2:SCRATCH_EN: 0
; COMPUTE_PGM_RSRC2:USER_SGPR: 6
; COMPUTE_PGM_RSRC2:TRAP_HANDLER: 0
; COMPUTE_PGM_RSRC2:TGID_X_EN: 1
; COMPUTE_PGM_RSRC2:TGID_Y_EN: 0
; COMPUTE_PGM_RSRC2:TGID_Z_EN: 0
; COMPUTE_PGM_RSRC2:TIDIG_COMP_CNT: 0
	.section	.text._Z6kernelI14inclusive_scanILN6hipcub18BlockScanAlgorithmE0EEiLj256ELj1ELj100EEvPKT0_PS4_S4_,"axG",@progbits,_Z6kernelI14inclusive_scanILN6hipcub18BlockScanAlgorithmE0EEiLj256ELj1ELj100EEvPKT0_PS4_S4_,comdat
	.protected	_Z6kernelI14inclusive_scanILN6hipcub18BlockScanAlgorithmE0EEiLj256ELj1ELj100EEvPKT0_PS4_S4_ ; -- Begin function _Z6kernelI14inclusive_scanILN6hipcub18BlockScanAlgorithmE0EEiLj256ELj1ELj100EEvPKT0_PS4_S4_
	.globl	_Z6kernelI14inclusive_scanILN6hipcub18BlockScanAlgorithmE0EEiLj256ELj1ELj100EEvPKT0_PS4_S4_
	.p2align	8
	.type	_Z6kernelI14inclusive_scanILN6hipcub18BlockScanAlgorithmE0EEiLj256ELj1ELj100EEvPKT0_PS4_S4_,@function
_Z6kernelI14inclusive_scanILN6hipcub18BlockScanAlgorithmE0EEiLj256ELj1ELj100EEvPKT0_PS4_S4_: ; @_Z6kernelI14inclusive_scanILN6hipcub18BlockScanAlgorithmE0EEiLj256ELj1ELj100EEvPKT0_PS4_S4_
; %bb.0:
	s_load_dword s0, s[4:5], 0x24
	s_load_dwordx4 s[20:23], s[4:5], 0x0
	v_mov_b32_e32 v2, 0
	v_cmp_gt_u32_e64 s[12:13], 4, v0
	v_cmp_lt_u32_e64 s[14:15], 63, v0
	s_waitcnt lgkmcnt(0)
	s_and_b32 s0, s0, 0xffff
	s_mul_i32 s6, s6, s0
	v_add_u32_e32 v1, s6, v0
	v_lshlrev_b64 v[1:2], 2, v[1:2]
	v_mov_b32_e32 v4, s21
	v_add_co_u32_e32 v3, vcc, s20, v1
	v_addc_co_u32_e32 v4, vcc, v4, v2, vcc
	global_load_dword v3, v[3:4], off
	v_mbcnt_lo_u32_b32 v4, -1, 0
	v_mbcnt_hi_u32_b32 v5, -1, v4
	v_and_b32_e32 v4, 15, v5
	v_cmp_eq_u32_e32 vcc, 0, v4
	v_cmp_lt_u32_e64 s[0:1], 1, v4
	v_cmp_lt_u32_e64 s[2:3], 3, v4
	;; [unrolled: 1-line block ×3, first 2 shown]
	v_and_b32_e32 v4, 16, v5
	v_cmp_eq_u32_e64 s[6:7], 0, v4
	v_or_b32_e32 v4, 63, v0
	v_cmp_eq_u32_e64 s[10:11], v0, v4
	v_lshrrev_b32_e32 v4, 4, v0
	v_cmp_lt_u32_e64 s[8:9], 31, v5
	v_and_b32_e32 v4, 12, v4
	v_and_b32_e32 v5, 3, v5
	v_lshlrev_b32_e32 v0, 2, v0
	v_cmp_eq_u32_e64 s[16:17], 0, v5
	v_cmp_lt_u32_e64 s[18:19], 1, v5
	v_add_u32_e32 v5, -4, v4
	s_movk_i32 s24, 0x64
	s_branch .LBB78_2
.LBB78_1:                               ;   in Loop: Header=BB78_2 Depth=1
	s_or_b64 exec, exec, s[20:21]
	s_add_i32 s24, s24, -1
	s_cmp_lg_u32 s24, 0
	s_cbranch_scc0 .LBB78_8
.LBB78_2:                               ; =>This Inner Loop Header: Depth=1
	s_waitcnt vmcnt(0)
	v_mov_b32_dpp v6, v3 row_shr:1 row_mask:0xf bank_mask:0xf
	v_cndmask_b32_e64 v6, v6, 0, vcc
	v_add_u32_e32 v3, v6, v3
	s_nop 1
	v_mov_b32_dpp v6, v3 row_shr:2 row_mask:0xf bank_mask:0xf
	v_cndmask_b32_e64 v6, 0, v6, s[0:1]
	v_add_u32_e32 v3, v3, v6
	s_nop 1
	v_mov_b32_dpp v6, v3 row_shr:4 row_mask:0xf bank_mask:0xf
	v_cndmask_b32_e64 v6, 0, v6, s[2:3]
	;; [unrolled: 4-line block ×3, first 2 shown]
	v_add_u32_e32 v3, v3, v6
	s_nop 1
	v_mov_b32_dpp v6, v3 row_bcast:15 row_mask:0xf bank_mask:0xf
	v_cndmask_b32_e64 v6, v6, 0, s[6:7]
	v_add_u32_e32 v3, v3, v6
	s_nop 1
	v_mov_b32_dpp v6, v3 row_bcast:31 row_mask:0xf bank_mask:0xf
	v_cndmask_b32_e64 v6, 0, v6, s[8:9]
	v_add_u32_e32 v3, v3, v6
	s_and_saveexec_b64 s[20:21], s[10:11]
; %bb.3:                                ;   in Loop: Header=BB78_2 Depth=1
	ds_write_b32 v4, v3
; %bb.4:                                ;   in Loop: Header=BB78_2 Depth=1
	s_or_b64 exec, exec, s[20:21]
	s_waitcnt lgkmcnt(0)
	s_barrier
	s_and_saveexec_b64 s[20:21], s[12:13]
	s_cbranch_execz .LBB78_6
; %bb.5:                                ;   in Loop: Header=BB78_2 Depth=1
	ds_read_b32 v6, v0
	s_waitcnt lgkmcnt(0)
	s_nop 0
	v_mov_b32_dpp v7, v6 row_shr:1 row_mask:0xf bank_mask:0xf
	v_cndmask_b32_e64 v7, v7, 0, s[16:17]
	v_add_u32_e32 v6, v7, v6
	s_nop 1
	v_mov_b32_dpp v7, v6 row_shr:2 row_mask:0xf bank_mask:0xf
	v_cndmask_b32_e64 v7, 0, v7, s[18:19]
	v_add_u32_e32 v6, v6, v7
	ds_write_b32 v0, v6
.LBB78_6:                               ;   in Loop: Header=BB78_2 Depth=1
	s_or_b64 exec, exec, s[20:21]
	s_waitcnt lgkmcnt(0)
	s_barrier
	s_and_saveexec_b64 s[20:21], s[14:15]
	s_cbranch_execz .LBB78_1
; %bb.7:                                ;   in Loop: Header=BB78_2 Depth=1
	ds_read_b32 v6, v5
	s_waitcnt lgkmcnt(0)
	v_add_u32_e32 v3, v6, v3
	s_branch .LBB78_1
.LBB78_8:
	v_mov_b32_e32 v4, s23
	v_add_co_u32_e32 v0, vcc, s22, v1
	v_addc_co_u32_e32 v1, vcc, v4, v2, vcc
	global_store_dword v[0:1], v3, off
	s_endpgm
	.section	.rodata,"a",@progbits
	.p2align	6, 0x0
	.amdhsa_kernel _Z6kernelI14inclusive_scanILN6hipcub18BlockScanAlgorithmE0EEiLj256ELj1ELj100EEvPKT0_PS4_S4_
		.amdhsa_group_segment_fixed_size 16
		.amdhsa_private_segment_fixed_size 0
		.amdhsa_kernarg_size 280
		.amdhsa_user_sgpr_count 6
		.amdhsa_user_sgpr_private_segment_buffer 1
		.amdhsa_user_sgpr_dispatch_ptr 0
		.amdhsa_user_sgpr_queue_ptr 0
		.amdhsa_user_sgpr_kernarg_segment_ptr 1
		.amdhsa_user_sgpr_dispatch_id 0
		.amdhsa_user_sgpr_flat_scratch_init 0
		.amdhsa_user_sgpr_private_segment_size 0
		.amdhsa_uses_dynamic_stack 0
		.amdhsa_system_sgpr_private_segment_wavefront_offset 0
		.amdhsa_system_sgpr_workgroup_id_x 1
		.amdhsa_system_sgpr_workgroup_id_y 0
		.amdhsa_system_sgpr_workgroup_id_z 0
		.amdhsa_system_sgpr_workgroup_info 0
		.amdhsa_system_vgpr_workitem_id 0
		.amdhsa_next_free_vgpr 8
		.amdhsa_next_free_sgpr 25
		.amdhsa_reserve_vcc 1
		.amdhsa_reserve_flat_scratch 0
		.amdhsa_float_round_mode_32 0
		.amdhsa_float_round_mode_16_64 0
		.amdhsa_float_denorm_mode_32 3
		.amdhsa_float_denorm_mode_16_64 3
		.amdhsa_dx10_clamp 1
		.amdhsa_ieee_mode 1
		.amdhsa_fp16_overflow 0
		.amdhsa_exception_fp_ieee_invalid_op 0
		.amdhsa_exception_fp_denorm_src 0
		.amdhsa_exception_fp_ieee_div_zero 0
		.amdhsa_exception_fp_ieee_overflow 0
		.amdhsa_exception_fp_ieee_underflow 0
		.amdhsa_exception_fp_ieee_inexact 0
		.amdhsa_exception_int_div_zero 0
	.end_amdhsa_kernel
	.section	.text._Z6kernelI14inclusive_scanILN6hipcub18BlockScanAlgorithmE0EEiLj256ELj1ELj100EEvPKT0_PS4_S4_,"axG",@progbits,_Z6kernelI14inclusive_scanILN6hipcub18BlockScanAlgorithmE0EEiLj256ELj1ELj100EEvPKT0_PS4_S4_,comdat
.Lfunc_end78:
	.size	_Z6kernelI14inclusive_scanILN6hipcub18BlockScanAlgorithmE0EEiLj256ELj1ELj100EEvPKT0_PS4_S4_, .Lfunc_end78-_Z6kernelI14inclusive_scanILN6hipcub18BlockScanAlgorithmE0EEiLj256ELj1ELj100EEvPKT0_PS4_S4_
                                        ; -- End function
	.set _Z6kernelI14inclusive_scanILN6hipcub18BlockScanAlgorithmE0EEiLj256ELj1ELj100EEvPKT0_PS4_S4_.num_vgpr, 8
	.set _Z6kernelI14inclusive_scanILN6hipcub18BlockScanAlgorithmE0EEiLj256ELj1ELj100EEvPKT0_PS4_S4_.num_agpr, 0
	.set _Z6kernelI14inclusive_scanILN6hipcub18BlockScanAlgorithmE0EEiLj256ELj1ELj100EEvPKT0_PS4_S4_.numbered_sgpr, 25
	.set _Z6kernelI14inclusive_scanILN6hipcub18BlockScanAlgorithmE0EEiLj256ELj1ELj100EEvPKT0_PS4_S4_.num_named_barrier, 0
	.set _Z6kernelI14inclusive_scanILN6hipcub18BlockScanAlgorithmE0EEiLj256ELj1ELj100EEvPKT0_PS4_S4_.private_seg_size, 0
	.set _Z6kernelI14inclusive_scanILN6hipcub18BlockScanAlgorithmE0EEiLj256ELj1ELj100EEvPKT0_PS4_S4_.uses_vcc, 1
	.set _Z6kernelI14inclusive_scanILN6hipcub18BlockScanAlgorithmE0EEiLj256ELj1ELj100EEvPKT0_PS4_S4_.uses_flat_scratch, 0
	.set _Z6kernelI14inclusive_scanILN6hipcub18BlockScanAlgorithmE0EEiLj256ELj1ELj100EEvPKT0_PS4_S4_.has_dyn_sized_stack, 0
	.set _Z6kernelI14inclusive_scanILN6hipcub18BlockScanAlgorithmE0EEiLj256ELj1ELj100EEvPKT0_PS4_S4_.has_recursion, 0
	.set _Z6kernelI14inclusive_scanILN6hipcub18BlockScanAlgorithmE0EEiLj256ELj1ELj100EEvPKT0_PS4_S4_.has_indirect_call, 0
	.section	.AMDGPU.csdata,"",@progbits
; Kernel info:
; codeLenInByte = 532
; TotalNumSgprs: 29
; NumVgprs: 8
; ScratchSize: 0
; MemoryBound: 0
; FloatMode: 240
; IeeeMode: 1
; LDSByteSize: 16 bytes/workgroup (compile time only)
; SGPRBlocks: 3
; VGPRBlocks: 1
; NumSGPRsForWavesPerEU: 29
; NumVGPRsForWavesPerEU: 8
; Occupancy: 10
; WaveLimiterHint : 0
; COMPUTE_PGM_RSRC2:SCRATCH_EN: 0
; COMPUTE_PGM_RSRC2:USER_SGPR: 6
; COMPUTE_PGM_RSRC2:TRAP_HANDLER: 0
; COMPUTE_PGM_RSRC2:TGID_X_EN: 1
; COMPUTE_PGM_RSRC2:TGID_Y_EN: 0
; COMPUTE_PGM_RSRC2:TGID_Z_EN: 0
; COMPUTE_PGM_RSRC2:TIDIG_COMP_CNT: 0
	.section	.text._Z6kernelI14inclusive_scanILN6hipcub18BlockScanAlgorithmE0EEiLj256ELj3ELj100EEvPKT0_PS4_S4_,"axG",@progbits,_Z6kernelI14inclusive_scanILN6hipcub18BlockScanAlgorithmE0EEiLj256ELj3ELj100EEvPKT0_PS4_S4_,comdat
	.protected	_Z6kernelI14inclusive_scanILN6hipcub18BlockScanAlgorithmE0EEiLj256ELj3ELj100EEvPKT0_PS4_S4_ ; -- Begin function _Z6kernelI14inclusive_scanILN6hipcub18BlockScanAlgorithmE0EEiLj256ELj3ELj100EEvPKT0_PS4_S4_
	.globl	_Z6kernelI14inclusive_scanILN6hipcub18BlockScanAlgorithmE0EEiLj256ELj3ELj100EEvPKT0_PS4_S4_
	.p2align	8
	.type	_Z6kernelI14inclusive_scanILN6hipcub18BlockScanAlgorithmE0EEiLj256ELj3ELj100EEvPKT0_PS4_S4_,@function
_Z6kernelI14inclusive_scanILN6hipcub18BlockScanAlgorithmE0EEiLj256ELj3ELj100EEvPKT0_PS4_S4_: ; @_Z6kernelI14inclusive_scanILN6hipcub18BlockScanAlgorithmE0EEiLj256ELj3ELj100EEvPKT0_PS4_S4_
; %bb.0:
	s_load_dword s0, s[4:5], 0x24
	s_load_dwordx4 s[24:27], s[4:5], 0x0
	v_mov_b32_e32 v6, 0
	v_mov_b32_e32 v4, v6
	v_cmp_gt_u32_e64 s[12:13], 4, v0
	s_waitcnt lgkmcnt(0)
	s_and_b32 s0, s0, 0xffff
	s_mul_i32 s6, s6, s0
	v_add_u32_e32 v1, s6, v0
	v_lshl_add_u32 v5, v1, 1, v1
	v_lshlrev_b64 v[1:2], 2, v[5:6]
	v_mov_b32_e32 v3, s25
	v_add_co_u32_e32 v10, vcc, s24, v1
	v_addc_co_u32_e32 v11, vcc, v3, v2, vcc
	v_add_u32_e32 v3, 1, v5
	v_lshlrev_b64 v[3:4], 2, v[3:4]
	v_add_u32_e32 v5, 2, v5
	v_mov_b32_e32 v7, s25
	v_add_co_u32_e32 v12, vcc, s24, v3
	v_lshlrev_b64 v[5:6], 2, v[5:6]
	v_addc_co_u32_e32 v13, vcc, v7, v4, vcc
	v_add_co_u32_e32 v14, vcc, s24, v5
	v_addc_co_u32_e32 v15, vcc, v7, v6, vcc
	global_load_dword v9, v[10:11], off
	global_load_dword v8, v[12:13], off
	;; [unrolled: 1-line block ×3, first 2 shown]
	v_mbcnt_lo_u32_b32 v10, -1, 0
	v_mbcnt_hi_u32_b32 v12, -1, v10
	v_and_b32_e32 v10, 15, v12
	v_cmp_eq_u32_e32 vcc, 0, v10
	v_cmp_lt_u32_e64 s[0:1], 1, v10
	v_cmp_lt_u32_e64 s[2:3], 3, v10
	;; [unrolled: 1-line block ×3, first 2 shown]
	v_and_b32_e32 v10, 16, v12
	v_cmp_eq_u32_e64 s[6:7], 0, v10
	v_or_b32_e32 v10, 63, v0
	v_cmp_eq_u32_e64 s[10:11], v0, v10
	v_subrev_co_u32_e64 v10, s[16:17], 1, v12
	v_and_b32_e32 v11, 64, v12
	v_cmp_lt_i32_e64 s[18:19], v10, v11
	v_lshrrev_b32_e32 v11, 4, v0
	v_cmp_lt_u32_e64 s[8:9], 31, v12
	v_cndmask_b32_e64 v10, v10, v12, s[18:19]
	v_and_b32_e32 v11, 12, v11
	v_and_b32_e32 v12, 3, v12
	v_cmp_lt_u32_e64 s[14:15], 63, v0
	v_lshlrev_b32_e32 v10, 2, v10
	v_cmp_eq_u32_e64 s[18:19], 0, v0
	v_lshlrev_b32_e32 v0, 2, v0
	v_cmp_eq_u32_e64 s[20:21], 0, v12
	v_cmp_lt_u32_e64 s[22:23], 1, v12
	v_add_u32_e32 v12, -4, v11
	s_movk_i32 s28, 0x64
	s_branch .LBB79_2
.LBB79_1:                               ;   in Loop: Header=BB79_2 Depth=1
	s_or_b64 exec, exec, s[24:25]
	ds_bpermute_b32 v13, v10, v13
	s_add_i32 s28, s28, -1
	s_cmp_lg_u32 s28, 0
	s_waitcnt lgkmcnt(0)
	v_cndmask_b32_e64 v13, v13, v14, s[16:17]
	v_cndmask_b32_e64 v13, v13, 0, s[18:19]
	v_add_u32_e32 v9, v13, v9
	v_add_u32_e32 v8, v9, v8
	;; [unrolled: 1-line block ×3, first 2 shown]
	s_cbranch_scc0 .LBB79_8
.LBB79_2:                               ; =>This Inner Loop Header: Depth=1
	s_waitcnt vmcnt(0)
	v_add3_u32 v13, v8, v9, v7
	s_nop 1
	v_mov_b32_dpp v14, v13 row_shr:1 row_mask:0xf bank_mask:0xf
	v_cndmask_b32_e64 v14, v14, 0, vcc
	v_add_u32_e32 v13, v13, v14
	s_nop 1
	v_mov_b32_dpp v14, v13 row_shr:2 row_mask:0xf bank_mask:0xf
	v_cndmask_b32_e64 v14, 0, v14, s[0:1]
	v_add_u32_e32 v13, v13, v14
	s_nop 1
	v_mov_b32_dpp v14, v13 row_shr:4 row_mask:0xf bank_mask:0xf
	v_cndmask_b32_e64 v14, 0, v14, s[2:3]
	;; [unrolled: 4-line block ×3, first 2 shown]
	v_add_u32_e32 v13, v13, v14
	s_nop 1
	v_mov_b32_dpp v14, v13 row_bcast:15 row_mask:0xf bank_mask:0xf
	v_cndmask_b32_e64 v14, v14, 0, s[6:7]
	v_add_u32_e32 v13, v13, v14
	s_nop 1
	v_mov_b32_dpp v14, v13 row_bcast:31 row_mask:0xf bank_mask:0xf
	v_cndmask_b32_e64 v14, 0, v14, s[8:9]
	v_add_u32_e32 v13, v13, v14
	s_and_saveexec_b64 s[24:25], s[10:11]
; %bb.3:                                ;   in Loop: Header=BB79_2 Depth=1
	ds_write_b32 v11, v13
; %bb.4:                                ;   in Loop: Header=BB79_2 Depth=1
	s_or_b64 exec, exec, s[24:25]
	s_waitcnt lgkmcnt(0)
	s_barrier
	s_and_saveexec_b64 s[24:25], s[12:13]
	s_cbranch_execz .LBB79_6
; %bb.5:                                ;   in Loop: Header=BB79_2 Depth=1
	ds_read_b32 v14, v0
	s_waitcnt lgkmcnt(0)
	s_nop 0
	v_mov_b32_dpp v15, v14 row_shr:1 row_mask:0xf bank_mask:0xf
	v_cndmask_b32_e64 v15, v15, 0, s[20:21]
	v_add_u32_e32 v14, v15, v14
	s_nop 1
	v_mov_b32_dpp v15, v14 row_shr:2 row_mask:0xf bank_mask:0xf
	v_cndmask_b32_e64 v15, 0, v15, s[22:23]
	v_add_u32_e32 v14, v14, v15
	ds_write_b32 v0, v14
.LBB79_6:                               ;   in Loop: Header=BB79_2 Depth=1
	s_or_b64 exec, exec, s[24:25]
	s_waitcnt lgkmcnt(0)
	s_barrier
                                        ; implicit-def: $vgpr14
	s_and_saveexec_b64 s[24:25], s[14:15]
	s_cbranch_execz .LBB79_1
; %bb.7:                                ;   in Loop: Header=BB79_2 Depth=1
	ds_read_b32 v14, v12
	s_waitcnt lgkmcnt(0)
	v_add_u32_e32 v13, v14, v13
	s_branch .LBB79_1
.LBB79_8:
	v_mov_b32_e32 v10, s27
	v_add_co_u32_e32 v0, vcc, s26, v1
	v_addc_co_u32_e32 v1, vcc, v10, v2, vcc
	global_store_dword v[0:1], v9, off
	v_mov_b32_e32 v1, s27
	v_add_co_u32_e32 v0, vcc, s26, v3
	v_addc_co_u32_e32 v1, vcc, v1, v4, vcc
	global_store_dword v[0:1], v8, off
	;; [unrolled: 4-line block ×3, first 2 shown]
	s_endpgm
	.section	.rodata,"a",@progbits
	.p2align	6, 0x0
	.amdhsa_kernel _Z6kernelI14inclusive_scanILN6hipcub18BlockScanAlgorithmE0EEiLj256ELj3ELj100EEvPKT0_PS4_S4_
		.amdhsa_group_segment_fixed_size 16
		.amdhsa_private_segment_fixed_size 0
		.amdhsa_kernarg_size 280
		.amdhsa_user_sgpr_count 6
		.amdhsa_user_sgpr_private_segment_buffer 1
		.amdhsa_user_sgpr_dispatch_ptr 0
		.amdhsa_user_sgpr_queue_ptr 0
		.amdhsa_user_sgpr_kernarg_segment_ptr 1
		.amdhsa_user_sgpr_dispatch_id 0
		.amdhsa_user_sgpr_flat_scratch_init 0
		.amdhsa_user_sgpr_private_segment_size 0
		.amdhsa_uses_dynamic_stack 0
		.amdhsa_system_sgpr_private_segment_wavefront_offset 0
		.amdhsa_system_sgpr_workgroup_id_x 1
		.amdhsa_system_sgpr_workgroup_id_y 0
		.amdhsa_system_sgpr_workgroup_id_z 0
		.amdhsa_system_sgpr_workgroup_info 0
		.amdhsa_system_vgpr_workitem_id 0
		.amdhsa_next_free_vgpr 16
		.amdhsa_next_free_sgpr 29
		.amdhsa_reserve_vcc 1
		.amdhsa_reserve_flat_scratch 0
		.amdhsa_float_round_mode_32 0
		.amdhsa_float_round_mode_16_64 0
		.amdhsa_float_denorm_mode_32 3
		.amdhsa_float_denorm_mode_16_64 3
		.amdhsa_dx10_clamp 1
		.amdhsa_ieee_mode 1
		.amdhsa_fp16_overflow 0
		.amdhsa_exception_fp_ieee_invalid_op 0
		.amdhsa_exception_fp_denorm_src 0
		.amdhsa_exception_fp_ieee_div_zero 0
		.amdhsa_exception_fp_ieee_overflow 0
		.amdhsa_exception_fp_ieee_underflow 0
		.amdhsa_exception_fp_ieee_inexact 0
		.amdhsa_exception_int_div_zero 0
	.end_amdhsa_kernel
	.section	.text._Z6kernelI14inclusive_scanILN6hipcub18BlockScanAlgorithmE0EEiLj256ELj3ELj100EEvPKT0_PS4_S4_,"axG",@progbits,_Z6kernelI14inclusive_scanILN6hipcub18BlockScanAlgorithmE0EEiLj256ELj3ELj100EEvPKT0_PS4_S4_,comdat
.Lfunc_end79:
	.size	_Z6kernelI14inclusive_scanILN6hipcub18BlockScanAlgorithmE0EEiLj256ELj3ELj100EEvPKT0_PS4_S4_, .Lfunc_end79-_Z6kernelI14inclusive_scanILN6hipcub18BlockScanAlgorithmE0EEiLj256ELj3ELj100EEvPKT0_PS4_S4_
                                        ; -- End function
	.set _Z6kernelI14inclusive_scanILN6hipcub18BlockScanAlgorithmE0EEiLj256ELj3ELj100EEvPKT0_PS4_S4_.num_vgpr, 16
	.set _Z6kernelI14inclusive_scanILN6hipcub18BlockScanAlgorithmE0EEiLj256ELj3ELj100EEvPKT0_PS4_S4_.num_agpr, 0
	.set _Z6kernelI14inclusive_scanILN6hipcub18BlockScanAlgorithmE0EEiLj256ELj3ELj100EEvPKT0_PS4_S4_.numbered_sgpr, 29
	.set _Z6kernelI14inclusive_scanILN6hipcub18BlockScanAlgorithmE0EEiLj256ELj3ELj100EEvPKT0_PS4_S4_.num_named_barrier, 0
	.set _Z6kernelI14inclusive_scanILN6hipcub18BlockScanAlgorithmE0EEiLj256ELj3ELj100EEvPKT0_PS4_S4_.private_seg_size, 0
	.set _Z6kernelI14inclusive_scanILN6hipcub18BlockScanAlgorithmE0EEiLj256ELj3ELj100EEvPKT0_PS4_S4_.uses_vcc, 1
	.set _Z6kernelI14inclusive_scanILN6hipcub18BlockScanAlgorithmE0EEiLj256ELj3ELj100EEvPKT0_PS4_S4_.uses_flat_scratch, 0
	.set _Z6kernelI14inclusive_scanILN6hipcub18BlockScanAlgorithmE0EEiLj256ELj3ELj100EEvPKT0_PS4_S4_.has_dyn_sized_stack, 0
	.set _Z6kernelI14inclusive_scanILN6hipcub18BlockScanAlgorithmE0EEiLj256ELj3ELj100EEvPKT0_PS4_S4_.has_recursion, 0
	.set _Z6kernelI14inclusive_scanILN6hipcub18BlockScanAlgorithmE0EEiLj256ELj3ELj100EEvPKT0_PS4_S4_.has_indirect_call, 0
	.section	.AMDGPU.csdata,"",@progbits
; Kernel info:
; codeLenInByte = 736
; TotalNumSgprs: 33
; NumVgprs: 16
; ScratchSize: 0
; MemoryBound: 0
; FloatMode: 240
; IeeeMode: 1
; LDSByteSize: 16 bytes/workgroup (compile time only)
; SGPRBlocks: 4
; VGPRBlocks: 3
; NumSGPRsForWavesPerEU: 33
; NumVGPRsForWavesPerEU: 16
; Occupancy: 10
; WaveLimiterHint : 0
; COMPUTE_PGM_RSRC2:SCRATCH_EN: 0
; COMPUTE_PGM_RSRC2:USER_SGPR: 6
; COMPUTE_PGM_RSRC2:TRAP_HANDLER: 0
; COMPUTE_PGM_RSRC2:TGID_X_EN: 1
; COMPUTE_PGM_RSRC2:TGID_Y_EN: 0
; COMPUTE_PGM_RSRC2:TGID_Z_EN: 0
; COMPUTE_PGM_RSRC2:TIDIG_COMP_CNT: 0
	.section	.text._Z6kernelI14inclusive_scanILN6hipcub18BlockScanAlgorithmE0EEiLj256ELj4ELj100EEvPKT0_PS4_S4_,"axG",@progbits,_Z6kernelI14inclusive_scanILN6hipcub18BlockScanAlgorithmE0EEiLj256ELj4ELj100EEvPKT0_PS4_S4_,comdat
	.protected	_Z6kernelI14inclusive_scanILN6hipcub18BlockScanAlgorithmE0EEiLj256ELj4ELj100EEvPKT0_PS4_S4_ ; -- Begin function _Z6kernelI14inclusive_scanILN6hipcub18BlockScanAlgorithmE0EEiLj256ELj4ELj100EEvPKT0_PS4_S4_
	.globl	_Z6kernelI14inclusive_scanILN6hipcub18BlockScanAlgorithmE0EEiLj256ELj4ELj100EEvPKT0_PS4_S4_
	.p2align	8
	.type	_Z6kernelI14inclusive_scanILN6hipcub18BlockScanAlgorithmE0EEiLj256ELj4ELj100EEvPKT0_PS4_S4_,@function
_Z6kernelI14inclusive_scanILN6hipcub18BlockScanAlgorithmE0EEiLj256ELj4ELj100EEvPKT0_PS4_S4_: ; @_Z6kernelI14inclusive_scanILN6hipcub18BlockScanAlgorithmE0EEiLj256ELj4ELj100EEvPKT0_PS4_S4_
; %bb.0:
	s_load_dword s0, s[4:5], 0x24
	s_load_dwordx4 s[24:27], s[4:5], 0x0
	v_mov_b32_e32 v2, 0
	v_mbcnt_lo_u32_b32 v7, -1, 0
	v_mbcnt_hi_u32_b32 v9, -1, v7
	s_waitcnt lgkmcnt(0)
	s_and_b32 s0, s0, 0xffff
	s_mul_i32 s6, s6, s0
	v_add_lshl_u32 v1, s6, v0, 2
	v_lshlrev_b64 v[5:6], 2, v[1:2]
	v_mov_b32_e32 v2, s25
	v_add_co_u32_e32 v1, vcc, s24, v5
	v_addc_co_u32_e32 v2, vcc, v2, v6, vcc
	global_load_dwordx4 v[1:4], v[1:2], off
	v_and_b32_e32 v7, 15, v9
	v_cmp_eq_u32_e32 vcc, 0, v7
	v_cmp_lt_u32_e64 s[0:1], 1, v7
	v_cmp_lt_u32_e64 s[2:3], 3, v7
	;; [unrolled: 1-line block ×3, first 2 shown]
	v_and_b32_e32 v7, 16, v9
	v_cmp_eq_u32_e64 s[6:7], 0, v7
	v_or_b32_e32 v7, 63, v0
	v_cmp_eq_u32_e64 s[10:11], v0, v7
	v_subrev_co_u32_e64 v7, s[16:17], 1, v9
	v_and_b32_e32 v8, 64, v9
	v_cmp_lt_i32_e64 s[18:19], v7, v8
	v_lshrrev_b32_e32 v8, 4, v0
	v_cmp_lt_u32_e64 s[8:9], 31, v9
	v_cndmask_b32_e64 v7, v7, v9, s[18:19]
	v_and_b32_e32 v8, 12, v8
	v_and_b32_e32 v9, 3, v9
	v_cmp_gt_u32_e64 s[12:13], 4, v0
	v_cmp_lt_u32_e64 s[14:15], 63, v0
	v_lshlrev_b32_e32 v7, 2, v7
	v_cmp_eq_u32_e64 s[18:19], 0, v0
	v_lshlrev_b32_e32 v0, 2, v0
	v_cmp_eq_u32_e64 s[20:21], 0, v9
	v_cmp_lt_u32_e64 s[22:23], 1, v9
	v_add_u32_e32 v9, -4, v8
	s_movk_i32 s28, 0x64
	s_branch .LBB80_2
.LBB80_1:                               ;   in Loop: Header=BB80_2 Depth=1
	s_or_b64 exec, exec, s[24:25]
	ds_bpermute_b32 v10, v7, v10
	s_add_i32 s28, s28, -1
	s_cmp_lg_u32 s28, 0
	s_waitcnt lgkmcnt(0)
	v_cndmask_b32_e64 v10, v10, v11, s[16:17]
	v_cndmask_b32_e64 v10, v10, 0, s[18:19]
	v_add_u32_e32 v1, v10, v1
	v_add_u32_e32 v2, v1, v2
	;; [unrolled: 1-line block ×4, first 2 shown]
	s_cbranch_scc0 .LBB80_8
.LBB80_2:                               ; =>This Inner Loop Header: Depth=1
	s_waitcnt vmcnt(0)
	v_add_u32_e32 v10, v2, v1
	v_add3_u32 v10, v10, v3, v4
	s_nop 1
	v_mov_b32_dpp v11, v10 row_shr:1 row_mask:0xf bank_mask:0xf
	v_cndmask_b32_e64 v11, v11, 0, vcc
	v_add_u32_e32 v10, v10, v11
	s_nop 1
	v_mov_b32_dpp v11, v10 row_shr:2 row_mask:0xf bank_mask:0xf
	v_cndmask_b32_e64 v11, 0, v11, s[0:1]
	v_add_u32_e32 v10, v10, v11
	s_nop 1
	v_mov_b32_dpp v11, v10 row_shr:4 row_mask:0xf bank_mask:0xf
	v_cndmask_b32_e64 v11, 0, v11, s[2:3]
	;; [unrolled: 4-line block ×3, first 2 shown]
	v_add_u32_e32 v10, v10, v11
	s_nop 1
	v_mov_b32_dpp v11, v10 row_bcast:15 row_mask:0xf bank_mask:0xf
	v_cndmask_b32_e64 v11, v11, 0, s[6:7]
	v_add_u32_e32 v10, v10, v11
	s_nop 1
	v_mov_b32_dpp v11, v10 row_bcast:31 row_mask:0xf bank_mask:0xf
	v_cndmask_b32_e64 v11, 0, v11, s[8:9]
	v_add_u32_e32 v10, v10, v11
	s_and_saveexec_b64 s[24:25], s[10:11]
; %bb.3:                                ;   in Loop: Header=BB80_2 Depth=1
	ds_write_b32 v8, v10
; %bb.4:                                ;   in Loop: Header=BB80_2 Depth=1
	s_or_b64 exec, exec, s[24:25]
	s_waitcnt lgkmcnt(0)
	s_barrier
	s_and_saveexec_b64 s[24:25], s[12:13]
	s_cbranch_execz .LBB80_6
; %bb.5:                                ;   in Loop: Header=BB80_2 Depth=1
	ds_read_b32 v11, v0
	s_waitcnt lgkmcnt(0)
	s_nop 0
	v_mov_b32_dpp v12, v11 row_shr:1 row_mask:0xf bank_mask:0xf
	v_cndmask_b32_e64 v12, v12, 0, s[20:21]
	v_add_u32_e32 v11, v12, v11
	s_nop 1
	v_mov_b32_dpp v12, v11 row_shr:2 row_mask:0xf bank_mask:0xf
	v_cndmask_b32_e64 v12, 0, v12, s[22:23]
	v_add_u32_e32 v11, v11, v12
	ds_write_b32 v0, v11
.LBB80_6:                               ;   in Loop: Header=BB80_2 Depth=1
	s_or_b64 exec, exec, s[24:25]
	s_waitcnt lgkmcnt(0)
	s_barrier
                                        ; implicit-def: $vgpr11
	s_and_saveexec_b64 s[24:25], s[14:15]
	s_cbranch_execz .LBB80_1
; %bb.7:                                ;   in Loop: Header=BB80_2 Depth=1
	ds_read_b32 v11, v9
	s_waitcnt lgkmcnt(0)
	v_add_u32_e32 v10, v11, v10
	s_branch .LBB80_1
.LBB80_8:
	v_mov_b32_e32 v0, s27
	v_add_co_u32_e32 v5, vcc, s26, v5
	v_addc_co_u32_e32 v6, vcc, v0, v6, vcc
	global_store_dwordx4 v[5:6], v[1:4], off
	s_endpgm
	.section	.rodata,"a",@progbits
	.p2align	6, 0x0
	.amdhsa_kernel _Z6kernelI14inclusive_scanILN6hipcub18BlockScanAlgorithmE0EEiLj256ELj4ELj100EEvPKT0_PS4_S4_
		.amdhsa_group_segment_fixed_size 16
		.amdhsa_private_segment_fixed_size 0
		.amdhsa_kernarg_size 280
		.amdhsa_user_sgpr_count 6
		.amdhsa_user_sgpr_private_segment_buffer 1
		.amdhsa_user_sgpr_dispatch_ptr 0
		.amdhsa_user_sgpr_queue_ptr 0
		.amdhsa_user_sgpr_kernarg_segment_ptr 1
		.amdhsa_user_sgpr_dispatch_id 0
		.amdhsa_user_sgpr_flat_scratch_init 0
		.amdhsa_user_sgpr_private_segment_size 0
		.amdhsa_uses_dynamic_stack 0
		.amdhsa_system_sgpr_private_segment_wavefront_offset 0
		.amdhsa_system_sgpr_workgroup_id_x 1
		.amdhsa_system_sgpr_workgroup_id_y 0
		.amdhsa_system_sgpr_workgroup_id_z 0
		.amdhsa_system_sgpr_workgroup_info 0
		.amdhsa_system_vgpr_workitem_id 0
		.amdhsa_next_free_vgpr 13
		.amdhsa_next_free_sgpr 29
		.amdhsa_reserve_vcc 1
		.amdhsa_reserve_flat_scratch 0
		.amdhsa_float_round_mode_32 0
		.amdhsa_float_round_mode_16_64 0
		.amdhsa_float_denorm_mode_32 3
		.amdhsa_float_denorm_mode_16_64 3
		.amdhsa_dx10_clamp 1
		.amdhsa_ieee_mode 1
		.amdhsa_fp16_overflow 0
		.amdhsa_exception_fp_ieee_invalid_op 0
		.amdhsa_exception_fp_denorm_src 0
		.amdhsa_exception_fp_ieee_div_zero 0
		.amdhsa_exception_fp_ieee_overflow 0
		.amdhsa_exception_fp_ieee_underflow 0
		.amdhsa_exception_fp_ieee_inexact 0
		.amdhsa_exception_int_div_zero 0
	.end_amdhsa_kernel
	.section	.text._Z6kernelI14inclusive_scanILN6hipcub18BlockScanAlgorithmE0EEiLj256ELj4ELj100EEvPKT0_PS4_S4_,"axG",@progbits,_Z6kernelI14inclusive_scanILN6hipcub18BlockScanAlgorithmE0EEiLj256ELj4ELj100EEvPKT0_PS4_S4_,comdat
.Lfunc_end80:
	.size	_Z6kernelI14inclusive_scanILN6hipcub18BlockScanAlgorithmE0EEiLj256ELj4ELj100EEvPKT0_PS4_S4_, .Lfunc_end80-_Z6kernelI14inclusive_scanILN6hipcub18BlockScanAlgorithmE0EEiLj256ELj4ELj100EEvPKT0_PS4_S4_
                                        ; -- End function
	.set _Z6kernelI14inclusive_scanILN6hipcub18BlockScanAlgorithmE0EEiLj256ELj4ELj100EEvPKT0_PS4_S4_.num_vgpr, 13
	.set _Z6kernelI14inclusive_scanILN6hipcub18BlockScanAlgorithmE0EEiLj256ELj4ELj100EEvPKT0_PS4_S4_.num_agpr, 0
	.set _Z6kernelI14inclusive_scanILN6hipcub18BlockScanAlgorithmE0EEiLj256ELj4ELj100EEvPKT0_PS4_S4_.numbered_sgpr, 29
	.set _Z6kernelI14inclusive_scanILN6hipcub18BlockScanAlgorithmE0EEiLj256ELj4ELj100EEvPKT0_PS4_S4_.num_named_barrier, 0
	.set _Z6kernelI14inclusive_scanILN6hipcub18BlockScanAlgorithmE0EEiLj256ELj4ELj100EEvPKT0_PS4_S4_.private_seg_size, 0
	.set _Z6kernelI14inclusive_scanILN6hipcub18BlockScanAlgorithmE0EEiLj256ELj4ELj100EEvPKT0_PS4_S4_.uses_vcc, 1
	.set _Z6kernelI14inclusive_scanILN6hipcub18BlockScanAlgorithmE0EEiLj256ELj4ELj100EEvPKT0_PS4_S4_.uses_flat_scratch, 0
	.set _Z6kernelI14inclusive_scanILN6hipcub18BlockScanAlgorithmE0EEiLj256ELj4ELj100EEvPKT0_PS4_S4_.has_dyn_sized_stack, 0
	.set _Z6kernelI14inclusive_scanILN6hipcub18BlockScanAlgorithmE0EEiLj256ELj4ELj100EEvPKT0_PS4_S4_.has_recursion, 0
	.set _Z6kernelI14inclusive_scanILN6hipcub18BlockScanAlgorithmE0EEiLj256ELj4ELj100EEvPKT0_PS4_S4_.has_indirect_call, 0
	.section	.AMDGPU.csdata,"",@progbits
; Kernel info:
; codeLenInByte = 636
; TotalNumSgprs: 33
; NumVgprs: 13
; ScratchSize: 0
; MemoryBound: 0
; FloatMode: 240
; IeeeMode: 1
; LDSByteSize: 16 bytes/workgroup (compile time only)
; SGPRBlocks: 4
; VGPRBlocks: 3
; NumSGPRsForWavesPerEU: 33
; NumVGPRsForWavesPerEU: 13
; Occupancy: 10
; WaveLimiterHint : 0
; COMPUTE_PGM_RSRC2:SCRATCH_EN: 0
; COMPUTE_PGM_RSRC2:USER_SGPR: 6
; COMPUTE_PGM_RSRC2:TRAP_HANDLER: 0
; COMPUTE_PGM_RSRC2:TGID_X_EN: 1
; COMPUTE_PGM_RSRC2:TGID_Y_EN: 0
; COMPUTE_PGM_RSRC2:TGID_Z_EN: 0
; COMPUTE_PGM_RSRC2:TIDIG_COMP_CNT: 0
	.section	.text._Z6kernelI14inclusive_scanILN6hipcub18BlockScanAlgorithmE0EEiLj256ELj8ELj100EEvPKT0_PS4_S4_,"axG",@progbits,_Z6kernelI14inclusive_scanILN6hipcub18BlockScanAlgorithmE0EEiLj256ELj8ELj100EEvPKT0_PS4_S4_,comdat
	.protected	_Z6kernelI14inclusive_scanILN6hipcub18BlockScanAlgorithmE0EEiLj256ELj8ELj100EEvPKT0_PS4_S4_ ; -- Begin function _Z6kernelI14inclusive_scanILN6hipcub18BlockScanAlgorithmE0EEiLj256ELj8ELj100EEvPKT0_PS4_S4_
	.globl	_Z6kernelI14inclusive_scanILN6hipcub18BlockScanAlgorithmE0EEiLj256ELj8ELj100EEvPKT0_PS4_S4_
	.p2align	8
	.type	_Z6kernelI14inclusive_scanILN6hipcub18BlockScanAlgorithmE0EEiLj256ELj8ELj100EEvPKT0_PS4_S4_,@function
_Z6kernelI14inclusive_scanILN6hipcub18BlockScanAlgorithmE0EEiLj256ELj8ELj100EEvPKT0_PS4_S4_: ; @_Z6kernelI14inclusive_scanILN6hipcub18BlockScanAlgorithmE0EEiLj256ELj8ELj100EEvPKT0_PS4_S4_
; %bb.0:
	s_load_dword s0, s[4:5], 0x24
	s_load_dwordx4 s[24:27], s[4:5], 0x0
	v_mov_b32_e32 v2, 0
	v_cmp_gt_u32_e64 s[12:13], 4, v0
	v_cmp_lt_u32_e64 s[14:15], 63, v0
	s_waitcnt lgkmcnt(0)
	s_and_b32 s0, s0, 0xffff
	s_mul_i32 s6, s6, s0
	v_add_lshl_u32 v1, s6, v0, 3
	v_lshlrev_b64 v[9:10], 2, v[1:2]
	v_mov_b32_e32 v1, s25
	v_add_co_u32_e32 v11, vcc, s24, v9
	v_addc_co_u32_e32 v12, vcc, v1, v10, vcc
	global_load_dwordx4 v[5:8], v[11:12], off
	global_load_dwordx4 v[1:4], v[11:12], off offset:16
	v_mbcnt_lo_u32_b32 v11, -1, 0
	v_mbcnt_hi_u32_b32 v13, -1, v11
	v_and_b32_e32 v11, 15, v13
	v_cmp_eq_u32_e32 vcc, 0, v11
	v_cmp_lt_u32_e64 s[0:1], 1, v11
	v_cmp_lt_u32_e64 s[2:3], 3, v11
	;; [unrolled: 1-line block ×3, first 2 shown]
	v_and_b32_e32 v11, 16, v13
	v_cmp_eq_u32_e64 s[6:7], 0, v11
	v_or_b32_e32 v11, 63, v0
	v_cmp_eq_u32_e64 s[10:11], v0, v11
	v_subrev_co_u32_e64 v11, s[16:17], 1, v13
	v_and_b32_e32 v12, 64, v13
	v_cmp_lt_i32_e64 s[18:19], v11, v12
	v_lshrrev_b32_e32 v12, 4, v0
	v_cmp_lt_u32_e64 s[8:9], 31, v13
	v_cndmask_b32_e64 v11, v11, v13, s[18:19]
	v_and_b32_e32 v12, 12, v12
	v_and_b32_e32 v13, 3, v13
	v_lshlrev_b32_e32 v11, 2, v11
	v_cmp_eq_u32_e64 s[18:19], 0, v0
	v_lshlrev_b32_e32 v0, 2, v0
	v_cmp_eq_u32_e64 s[20:21], 0, v13
	v_cmp_lt_u32_e64 s[22:23], 1, v13
	v_add_u32_e32 v13, -4, v12
	s_movk_i32 s28, 0x64
	s_branch .LBB81_2
.LBB81_1:                               ;   in Loop: Header=BB81_2 Depth=1
	s_or_b64 exec, exec, s[24:25]
	ds_bpermute_b32 v14, v11, v14
	s_add_i32 s28, s28, -1
	s_cmp_lg_u32 s28, 0
	s_waitcnt lgkmcnt(0)
	v_cndmask_b32_e64 v14, v14, v15, s[16:17]
	v_cndmask_b32_e64 v14, v14, 0, s[18:19]
	v_add_u32_e32 v5, v14, v5
	v_add_u32_e32 v6, v5, v6
	;; [unrolled: 1-line block ×8, first 2 shown]
	s_cbranch_scc0 .LBB81_8
.LBB81_2:                               ; =>This Inner Loop Header: Depth=1
	s_waitcnt vmcnt(1)
	v_add_u32_e32 v14, v6, v5
	v_add3_u32 v14, v14, v7, v8
	s_waitcnt vmcnt(0)
	v_add3_u32 v14, v14, v1, v2
	v_add3_u32 v14, v14, v3, v4
	s_nop 1
	v_mov_b32_dpp v15, v14 row_shr:1 row_mask:0xf bank_mask:0xf
	v_cndmask_b32_e64 v15, v15, 0, vcc
	v_add_u32_e32 v14, v14, v15
	s_nop 1
	v_mov_b32_dpp v15, v14 row_shr:2 row_mask:0xf bank_mask:0xf
	v_cndmask_b32_e64 v15, 0, v15, s[0:1]
	v_add_u32_e32 v14, v14, v15
	s_nop 1
	v_mov_b32_dpp v15, v14 row_shr:4 row_mask:0xf bank_mask:0xf
	v_cndmask_b32_e64 v15, 0, v15, s[2:3]
	;; [unrolled: 4-line block ×3, first 2 shown]
	v_add_u32_e32 v14, v14, v15
	s_nop 1
	v_mov_b32_dpp v15, v14 row_bcast:15 row_mask:0xf bank_mask:0xf
	v_cndmask_b32_e64 v15, v15, 0, s[6:7]
	v_add_u32_e32 v14, v14, v15
	s_nop 1
	v_mov_b32_dpp v15, v14 row_bcast:31 row_mask:0xf bank_mask:0xf
	v_cndmask_b32_e64 v15, 0, v15, s[8:9]
	v_add_u32_e32 v14, v14, v15
	s_and_saveexec_b64 s[24:25], s[10:11]
; %bb.3:                                ;   in Loop: Header=BB81_2 Depth=1
	ds_write_b32 v12, v14
; %bb.4:                                ;   in Loop: Header=BB81_2 Depth=1
	s_or_b64 exec, exec, s[24:25]
	s_waitcnt lgkmcnt(0)
	s_barrier
	s_and_saveexec_b64 s[24:25], s[12:13]
	s_cbranch_execz .LBB81_6
; %bb.5:                                ;   in Loop: Header=BB81_2 Depth=1
	ds_read_b32 v15, v0
	s_waitcnt lgkmcnt(0)
	s_nop 0
	v_mov_b32_dpp v16, v15 row_shr:1 row_mask:0xf bank_mask:0xf
	v_cndmask_b32_e64 v16, v16, 0, s[20:21]
	v_add_u32_e32 v15, v16, v15
	s_nop 1
	v_mov_b32_dpp v16, v15 row_shr:2 row_mask:0xf bank_mask:0xf
	v_cndmask_b32_e64 v16, 0, v16, s[22:23]
	v_add_u32_e32 v15, v15, v16
	ds_write_b32 v0, v15
.LBB81_6:                               ;   in Loop: Header=BB81_2 Depth=1
	s_or_b64 exec, exec, s[24:25]
	s_waitcnt lgkmcnt(0)
	s_barrier
                                        ; implicit-def: $vgpr15
	s_and_saveexec_b64 s[24:25], s[14:15]
	s_cbranch_execz .LBB81_1
; %bb.7:                                ;   in Loop: Header=BB81_2 Depth=1
	ds_read_b32 v15, v13
	s_waitcnt lgkmcnt(0)
	v_add_u32_e32 v14, v15, v14
	s_branch .LBB81_1
.LBB81_8:
	v_mov_b32_e32 v0, s27
	v_add_co_u32_e32 v9, vcc, s26, v9
	v_addc_co_u32_e32 v10, vcc, v0, v10, vcc
	global_store_dwordx4 v[9:10], v[5:8], off
	global_store_dwordx4 v[9:10], v[1:4], off offset:16
	s_endpgm
	.section	.rodata,"a",@progbits
	.p2align	6, 0x0
	.amdhsa_kernel _Z6kernelI14inclusive_scanILN6hipcub18BlockScanAlgorithmE0EEiLj256ELj8ELj100EEvPKT0_PS4_S4_
		.amdhsa_group_segment_fixed_size 16
		.amdhsa_private_segment_fixed_size 0
		.amdhsa_kernarg_size 280
		.amdhsa_user_sgpr_count 6
		.amdhsa_user_sgpr_private_segment_buffer 1
		.amdhsa_user_sgpr_dispatch_ptr 0
		.amdhsa_user_sgpr_queue_ptr 0
		.amdhsa_user_sgpr_kernarg_segment_ptr 1
		.amdhsa_user_sgpr_dispatch_id 0
		.amdhsa_user_sgpr_flat_scratch_init 0
		.amdhsa_user_sgpr_private_segment_size 0
		.amdhsa_uses_dynamic_stack 0
		.amdhsa_system_sgpr_private_segment_wavefront_offset 0
		.amdhsa_system_sgpr_workgroup_id_x 1
		.amdhsa_system_sgpr_workgroup_id_y 0
		.amdhsa_system_sgpr_workgroup_id_z 0
		.amdhsa_system_sgpr_workgroup_info 0
		.amdhsa_system_vgpr_workitem_id 0
		.amdhsa_next_free_vgpr 17
		.amdhsa_next_free_sgpr 29
		.amdhsa_reserve_vcc 1
		.amdhsa_reserve_flat_scratch 0
		.amdhsa_float_round_mode_32 0
		.amdhsa_float_round_mode_16_64 0
		.amdhsa_float_denorm_mode_32 3
		.amdhsa_float_denorm_mode_16_64 3
		.amdhsa_dx10_clamp 1
		.amdhsa_ieee_mode 1
		.amdhsa_fp16_overflow 0
		.amdhsa_exception_fp_ieee_invalid_op 0
		.amdhsa_exception_fp_denorm_src 0
		.amdhsa_exception_fp_ieee_div_zero 0
		.amdhsa_exception_fp_ieee_overflow 0
		.amdhsa_exception_fp_ieee_underflow 0
		.amdhsa_exception_fp_ieee_inexact 0
		.amdhsa_exception_int_div_zero 0
	.end_amdhsa_kernel
	.section	.text._Z6kernelI14inclusive_scanILN6hipcub18BlockScanAlgorithmE0EEiLj256ELj8ELj100EEvPKT0_PS4_S4_,"axG",@progbits,_Z6kernelI14inclusive_scanILN6hipcub18BlockScanAlgorithmE0EEiLj256ELj8ELj100EEvPKT0_PS4_S4_,comdat
.Lfunc_end81:
	.size	_Z6kernelI14inclusive_scanILN6hipcub18BlockScanAlgorithmE0EEiLj256ELj8ELj100EEvPKT0_PS4_S4_, .Lfunc_end81-_Z6kernelI14inclusive_scanILN6hipcub18BlockScanAlgorithmE0EEiLj256ELj8ELj100EEvPKT0_PS4_S4_
                                        ; -- End function
	.set _Z6kernelI14inclusive_scanILN6hipcub18BlockScanAlgorithmE0EEiLj256ELj8ELj100EEvPKT0_PS4_S4_.num_vgpr, 17
	.set _Z6kernelI14inclusive_scanILN6hipcub18BlockScanAlgorithmE0EEiLj256ELj8ELj100EEvPKT0_PS4_S4_.num_agpr, 0
	.set _Z6kernelI14inclusive_scanILN6hipcub18BlockScanAlgorithmE0EEiLj256ELj8ELj100EEvPKT0_PS4_S4_.numbered_sgpr, 29
	.set _Z6kernelI14inclusive_scanILN6hipcub18BlockScanAlgorithmE0EEiLj256ELj8ELj100EEvPKT0_PS4_S4_.num_named_barrier, 0
	.set _Z6kernelI14inclusive_scanILN6hipcub18BlockScanAlgorithmE0EEiLj256ELj8ELj100EEvPKT0_PS4_S4_.private_seg_size, 0
	.set _Z6kernelI14inclusive_scanILN6hipcub18BlockScanAlgorithmE0EEiLj256ELj8ELj100EEvPKT0_PS4_S4_.uses_vcc, 1
	.set _Z6kernelI14inclusive_scanILN6hipcub18BlockScanAlgorithmE0EEiLj256ELj8ELj100EEvPKT0_PS4_S4_.uses_flat_scratch, 0
	.set _Z6kernelI14inclusive_scanILN6hipcub18BlockScanAlgorithmE0EEiLj256ELj8ELj100EEvPKT0_PS4_S4_.has_dyn_sized_stack, 0
	.set _Z6kernelI14inclusive_scanILN6hipcub18BlockScanAlgorithmE0EEiLj256ELj8ELj100EEvPKT0_PS4_S4_.has_recursion, 0
	.set _Z6kernelI14inclusive_scanILN6hipcub18BlockScanAlgorithmE0EEiLj256ELj8ELj100EEvPKT0_PS4_S4_.has_indirect_call, 0
	.section	.AMDGPU.csdata,"",@progbits
; Kernel info:
; codeLenInByte = 688
; TotalNumSgprs: 33
; NumVgprs: 17
; ScratchSize: 0
; MemoryBound: 0
; FloatMode: 240
; IeeeMode: 1
; LDSByteSize: 16 bytes/workgroup (compile time only)
; SGPRBlocks: 4
; VGPRBlocks: 4
; NumSGPRsForWavesPerEU: 33
; NumVGPRsForWavesPerEU: 17
; Occupancy: 10
; WaveLimiterHint : 0
; COMPUTE_PGM_RSRC2:SCRATCH_EN: 0
; COMPUTE_PGM_RSRC2:USER_SGPR: 6
; COMPUTE_PGM_RSRC2:TRAP_HANDLER: 0
; COMPUTE_PGM_RSRC2:TGID_X_EN: 1
; COMPUTE_PGM_RSRC2:TGID_Y_EN: 0
; COMPUTE_PGM_RSRC2:TGID_Z_EN: 0
; COMPUTE_PGM_RSRC2:TIDIG_COMP_CNT: 0
	.section	.text._Z6kernelI14inclusive_scanILN6hipcub18BlockScanAlgorithmE0EEiLj256ELj11ELj100EEvPKT0_PS4_S4_,"axG",@progbits,_Z6kernelI14inclusive_scanILN6hipcub18BlockScanAlgorithmE0EEiLj256ELj11ELj100EEvPKT0_PS4_S4_,comdat
	.protected	_Z6kernelI14inclusive_scanILN6hipcub18BlockScanAlgorithmE0EEiLj256ELj11ELj100EEvPKT0_PS4_S4_ ; -- Begin function _Z6kernelI14inclusive_scanILN6hipcub18BlockScanAlgorithmE0EEiLj256ELj11ELj100EEvPKT0_PS4_S4_
	.globl	_Z6kernelI14inclusive_scanILN6hipcub18BlockScanAlgorithmE0EEiLj256ELj11ELj100EEvPKT0_PS4_S4_
	.p2align	8
	.type	_Z6kernelI14inclusive_scanILN6hipcub18BlockScanAlgorithmE0EEiLj256ELj11ELj100EEvPKT0_PS4_S4_,@function
_Z6kernelI14inclusive_scanILN6hipcub18BlockScanAlgorithmE0EEiLj256ELj11ELj100EEvPKT0_PS4_S4_: ; @_Z6kernelI14inclusive_scanILN6hipcub18BlockScanAlgorithmE0EEiLj256ELj11ELj100EEvPKT0_PS4_S4_
; %bb.0:
	s_load_dword s0, s[4:5], 0x24
	s_load_dwordx4 s[24:27], s[4:5], 0x0
	v_mov_b32_e32 v22, 0
	v_mov_b32_e32 v4, v22
	;; [unrolled: 1-line block ×3, first 2 shown]
	s_waitcnt lgkmcnt(0)
	s_and_b32 s0, s0, 0xffff
	s_mul_i32 s6, s6, s0
	v_add_u32_e32 v1, s6, v0
	v_mul_lo_u32 v21, v1, 11
	v_mov_b32_e32 v3, s25
	v_mov_b32_e32 v5, s25
	;; [unrolled: 1-line block ×3, first 2 shown]
	v_lshlrev_b64 v[1:2], 2, v[21:22]
	v_mov_b32_e32 v8, v22
	v_add_co_u32_e32 v17, vcc, s24, v1
	v_addc_co_u32_e32 v18, vcc, v3, v2, vcc
	v_add_u32_e32 v3, 1, v21
	v_lshlrev_b64 v[3:4], 2, v[3:4]
	v_mov_b32_e32 v9, s25
	v_add_co_u32_e32 v19, vcc, s24, v3
	v_addc_co_u32_e32 v20, vcc, v5, v4, vcc
	v_add_u32_e32 v5, 2, v21
	;; [unrolled: 5-line block ×6, first 2 shown]
	v_mov_b32_e32 v14, v22
	v_lshlrev_b64 v[13:14], 2, v[13:14]
	v_mov_b32_e32 v15, s25
	v_add_co_u32_e32 v40, vcc, s24, v13
	v_addc_co_u32_e32 v41, vcc, v15, v14, vcc
	v_add_u32_e32 v15, 7, v21
	v_mov_b32_e32 v16, v22
	v_lshlrev_b64 v[15:16], 2, v[15:16]
	v_mov_b32_e32 v25, s25
	v_add_co_u32_e32 v42, vcc, s24, v15
	v_addc_co_u32_e32 v43, vcc, v25, v16, vcc
	global_load_dword v33, v[17:18], off
	global_load_dword v32, v[19:20], off
	;; [unrolled: 1-line block ×5, first 2 shown]
                                        ; kill: killed $vgpr34 killed $vgpr35
                                        ; kill: killed $vgpr19 killed $vgpr20
                                        ; kill: killed $vgpr23 killed $vgpr24
                                        ; kill: killed $vgpr36 killed $vgpr37
                                        ; kill: killed $vgpr17 killed $vgpr18
	global_load_dword v25, v[38:39], off
	s_nop 0
	global_load_dword v24, v[40:41], off
	global_load_dword v23, v[42:43], off
	v_add_u32_e32 v17, 8, v21
	v_mov_b32_e32 v18, v22
	v_lshlrev_b64 v[17:18], 2, v[17:18]
	v_mov_b32_e32 v19, s25
	v_add_co_u32_e32 v34, vcc, s24, v17
	v_addc_co_u32_e32 v35, vcc, v19, v18, vcc
	v_add_u32_e32 v19, 9, v21
	v_mov_b32_e32 v20, v22
	v_lshlrev_b64 v[19:20], 2, v[19:20]
	v_add_u32_e32 v21, 10, v21
	v_mov_b32_e32 v27, s25
	v_add_co_u32_e32 v36, vcc, s24, v19
	v_lshlrev_b64 v[21:22], 2, v[21:22]
	v_addc_co_u32_e32 v37, vcc, v27, v20, vcc
	v_add_co_u32_e32 v38, vcc, s24, v21
	v_addc_co_u32_e32 v39, vcc, v27, v22, vcc
	global_load_dword v31, v[34:35], off
	global_load_dword v29, v[36:37], off
	;; [unrolled: 1-line block ×3, first 2 shown]
	v_mbcnt_lo_u32_b32 v34, -1, 0
	v_mbcnt_hi_u32_b32 v34, -1, v34
	v_and_b32_e32 v35, 15, v34
	v_cmp_eq_u32_e32 vcc, 0, v35
	v_cmp_lt_u32_e64 s[0:1], 1, v35
	v_cmp_lt_u32_e64 s[2:3], 3, v35
	;; [unrolled: 1-line block ×3, first 2 shown]
	v_and_b32_e32 v35, 16, v34
	v_cmp_eq_u32_e64 s[6:7], 0, v35
	v_or_b32_e32 v35, 63, v0
	v_cmp_eq_u32_e64 s[8:9], v0, v35
	v_subrev_co_u32_e64 v35, s[10:11], 1, v34
	v_and_b32_e32 v36, 64, v34
	v_cmp_lt_i32_e64 s[14:15], v35, v36
	v_cmp_lt_u32_e64 s[12:13], 31, v34
	v_cndmask_b32_e64 v35, v35, v34, s[14:15]
	v_and_b32_e32 v34, 3, v34
	v_cmp_eq_u32_e64 s[14:15], 0, v34
	v_cmp_lt_u32_e64 s[16:17], 1, v34
	v_lshlrev_b32_e32 v34, 2, v35
	v_lshrrev_b32_e32 v35, 4, v0
	v_cmp_gt_u32_e64 s[18:19], 4, v0
	v_cmp_lt_u32_e64 s[20:21], 63, v0
	v_cmp_eq_u32_e64 s[22:23], 0, v0
	v_and_b32_e32 v35, 12, v35
	v_lshlrev_b32_e32 v0, 2, v0
	s_movk_i32 s28, 0x64
	s_branch .LBB82_2
.LBB82_1:                               ;   in Loop: Header=BB82_2 Depth=1
	s_or_b64 exec, exec, s[24:25]
	ds_bpermute_b32 v36, v34, v36
	s_add_i32 s28, s28, -1
	s_cmp_lg_u32 s28, 0
	s_waitcnt lgkmcnt(0)
	v_cndmask_b32_e64 v36, v36, v37, s[10:11]
	v_cndmask_b32_e64 v36, v36, 0, s[22:23]
	v_add_u32_e32 v33, v36, v33
	v_add_u32_e32 v32, v33, v32
	;; [unrolled: 1-line block ×11, first 2 shown]
	s_cbranch_scc0 .LBB82_8
.LBB82_2:                               ; =>This Inner Loop Header: Depth=1
	s_waitcnt vmcnt(0)
	v_add3_u32 v36, v29, v27, v31
	v_add3_u32 v36, v36, v23, v24
	;; [unrolled: 1-line block ×5, first 2 shown]
	s_nop 1
	v_mov_b32_dpp v37, v36 row_shr:1 row_mask:0xf bank_mask:0xf
	v_cndmask_b32_e64 v37, v37, 0, vcc
	v_add_u32_e32 v36, v36, v37
	s_nop 1
	v_mov_b32_dpp v37, v36 row_shr:2 row_mask:0xf bank_mask:0xf
	v_cndmask_b32_e64 v37, 0, v37, s[0:1]
	v_add_u32_e32 v36, v36, v37
	s_nop 1
	v_mov_b32_dpp v37, v36 row_shr:4 row_mask:0xf bank_mask:0xf
	v_cndmask_b32_e64 v37, 0, v37, s[2:3]
	;; [unrolled: 4-line block ×3, first 2 shown]
	v_add_u32_e32 v36, v36, v37
	s_nop 1
	v_mov_b32_dpp v37, v36 row_bcast:15 row_mask:0xf bank_mask:0xf
	v_cndmask_b32_e64 v37, v37, 0, s[6:7]
	v_add_u32_e32 v36, v36, v37
	s_nop 1
	v_mov_b32_dpp v37, v36 row_bcast:31 row_mask:0xf bank_mask:0xf
	v_cndmask_b32_e64 v37, 0, v37, s[12:13]
	v_add_u32_e32 v36, v36, v37
	s_and_saveexec_b64 s[24:25], s[8:9]
; %bb.3:                                ;   in Loop: Header=BB82_2 Depth=1
	ds_write_b32 v35, v36
; %bb.4:                                ;   in Loop: Header=BB82_2 Depth=1
	s_or_b64 exec, exec, s[24:25]
	s_waitcnt lgkmcnt(0)
	s_barrier
	s_and_saveexec_b64 s[24:25], s[18:19]
	s_cbranch_execz .LBB82_6
; %bb.5:                                ;   in Loop: Header=BB82_2 Depth=1
	ds_read_b32 v37, v0
	s_waitcnt lgkmcnt(0)
	s_nop 0
	v_mov_b32_dpp v38, v37 row_shr:1 row_mask:0xf bank_mask:0xf
	v_cndmask_b32_e64 v38, v38, 0, s[14:15]
	v_add_u32_e32 v37, v38, v37
	s_nop 1
	v_mov_b32_dpp v38, v37 row_shr:2 row_mask:0xf bank_mask:0xf
	v_cndmask_b32_e64 v38, 0, v38, s[16:17]
	v_add_u32_e32 v37, v37, v38
	ds_write_b32 v0, v37
.LBB82_6:                               ;   in Loop: Header=BB82_2 Depth=1
	s_or_b64 exec, exec, s[24:25]
	s_waitcnt lgkmcnt(0)
	s_barrier
                                        ; implicit-def: $vgpr37
	s_and_saveexec_b64 s[24:25], s[20:21]
	s_cbranch_execz .LBB82_1
; %bb.7:                                ;   in Loop: Header=BB82_2 Depth=1
	v_add_u32_e32 v37, -4, v35
	ds_read_b32 v37, v37
	s_waitcnt lgkmcnt(0)
	v_add_u32_e32 v36, v37, v36
	s_branch .LBB82_1
.LBB82_8:
	v_mov_b32_e32 v34, s27
	v_add_co_u32_e32 v0, vcc, s26, v1
	v_addc_co_u32_e32 v1, vcc, v34, v2, vcc
	global_store_dword v[0:1], v33, off
	v_mov_b32_e32 v1, s27
	v_add_co_u32_e32 v0, vcc, s26, v3
	v_addc_co_u32_e32 v1, vcc, v1, v4, vcc
	global_store_dword v[0:1], v32, off
	;; [unrolled: 4-line block ×11, first 2 shown]
	s_endpgm
	.section	.rodata,"a",@progbits
	.p2align	6, 0x0
	.amdhsa_kernel _Z6kernelI14inclusive_scanILN6hipcub18BlockScanAlgorithmE0EEiLj256ELj11ELj100EEvPKT0_PS4_S4_
		.amdhsa_group_segment_fixed_size 16
		.amdhsa_private_segment_fixed_size 0
		.amdhsa_kernarg_size 280
		.amdhsa_user_sgpr_count 6
		.amdhsa_user_sgpr_private_segment_buffer 1
		.amdhsa_user_sgpr_dispatch_ptr 0
		.amdhsa_user_sgpr_queue_ptr 0
		.amdhsa_user_sgpr_kernarg_segment_ptr 1
		.amdhsa_user_sgpr_dispatch_id 0
		.amdhsa_user_sgpr_flat_scratch_init 0
		.amdhsa_user_sgpr_private_segment_size 0
		.amdhsa_uses_dynamic_stack 0
		.amdhsa_system_sgpr_private_segment_wavefront_offset 0
		.amdhsa_system_sgpr_workgroup_id_x 1
		.amdhsa_system_sgpr_workgroup_id_y 0
		.amdhsa_system_sgpr_workgroup_id_z 0
		.amdhsa_system_sgpr_workgroup_info 0
		.amdhsa_system_vgpr_workitem_id 0
		.amdhsa_next_free_vgpr 44
		.amdhsa_next_free_sgpr 29
		.amdhsa_reserve_vcc 1
		.amdhsa_reserve_flat_scratch 0
		.amdhsa_float_round_mode_32 0
		.amdhsa_float_round_mode_16_64 0
		.amdhsa_float_denorm_mode_32 3
		.amdhsa_float_denorm_mode_16_64 3
		.amdhsa_dx10_clamp 1
		.amdhsa_ieee_mode 1
		.amdhsa_fp16_overflow 0
		.amdhsa_exception_fp_ieee_invalid_op 0
		.amdhsa_exception_fp_denorm_src 0
		.amdhsa_exception_fp_ieee_div_zero 0
		.amdhsa_exception_fp_ieee_overflow 0
		.amdhsa_exception_fp_ieee_underflow 0
		.amdhsa_exception_fp_ieee_inexact 0
		.amdhsa_exception_int_div_zero 0
	.end_amdhsa_kernel
	.section	.text._Z6kernelI14inclusive_scanILN6hipcub18BlockScanAlgorithmE0EEiLj256ELj11ELj100EEvPKT0_PS4_S4_,"axG",@progbits,_Z6kernelI14inclusive_scanILN6hipcub18BlockScanAlgorithmE0EEiLj256ELj11ELj100EEvPKT0_PS4_S4_,comdat
.Lfunc_end82:
	.size	_Z6kernelI14inclusive_scanILN6hipcub18BlockScanAlgorithmE0EEiLj256ELj11ELj100EEvPKT0_PS4_S4_, .Lfunc_end82-_Z6kernelI14inclusive_scanILN6hipcub18BlockScanAlgorithmE0EEiLj256ELj11ELj100EEvPKT0_PS4_S4_
                                        ; -- End function
	.set _Z6kernelI14inclusive_scanILN6hipcub18BlockScanAlgorithmE0EEiLj256ELj11ELj100EEvPKT0_PS4_S4_.num_vgpr, 44
	.set _Z6kernelI14inclusive_scanILN6hipcub18BlockScanAlgorithmE0EEiLj256ELj11ELj100EEvPKT0_PS4_S4_.num_agpr, 0
	.set _Z6kernelI14inclusive_scanILN6hipcub18BlockScanAlgorithmE0EEiLj256ELj11ELj100EEvPKT0_PS4_S4_.numbered_sgpr, 29
	.set _Z6kernelI14inclusive_scanILN6hipcub18BlockScanAlgorithmE0EEiLj256ELj11ELj100EEvPKT0_PS4_S4_.num_named_barrier, 0
	.set _Z6kernelI14inclusive_scanILN6hipcub18BlockScanAlgorithmE0EEiLj256ELj11ELj100EEvPKT0_PS4_S4_.private_seg_size, 0
	.set _Z6kernelI14inclusive_scanILN6hipcub18BlockScanAlgorithmE0EEiLj256ELj11ELj100EEvPKT0_PS4_S4_.uses_vcc, 1
	.set _Z6kernelI14inclusive_scanILN6hipcub18BlockScanAlgorithmE0EEiLj256ELj11ELj100EEvPKT0_PS4_S4_.uses_flat_scratch, 0
	.set _Z6kernelI14inclusive_scanILN6hipcub18BlockScanAlgorithmE0EEiLj256ELj11ELj100EEvPKT0_PS4_S4_.has_dyn_sized_stack, 0
	.set _Z6kernelI14inclusive_scanILN6hipcub18BlockScanAlgorithmE0EEiLj256ELj11ELj100EEvPKT0_PS4_S4_.has_recursion, 0
	.set _Z6kernelI14inclusive_scanILN6hipcub18BlockScanAlgorithmE0EEiLj256ELj11ELj100EEvPKT0_PS4_S4_.has_indirect_call, 0
	.section	.AMDGPU.csdata,"",@progbits
; Kernel info:
; codeLenInByte = 1252
; TotalNumSgprs: 33
; NumVgprs: 44
; ScratchSize: 0
; MemoryBound: 0
; FloatMode: 240
; IeeeMode: 1
; LDSByteSize: 16 bytes/workgroup (compile time only)
; SGPRBlocks: 4
; VGPRBlocks: 10
; NumSGPRsForWavesPerEU: 33
; NumVGPRsForWavesPerEU: 44
; Occupancy: 5
; WaveLimiterHint : 0
; COMPUTE_PGM_RSRC2:SCRATCH_EN: 0
; COMPUTE_PGM_RSRC2:USER_SGPR: 6
; COMPUTE_PGM_RSRC2:TRAP_HANDLER: 0
; COMPUTE_PGM_RSRC2:TGID_X_EN: 1
; COMPUTE_PGM_RSRC2:TGID_Y_EN: 0
; COMPUTE_PGM_RSRC2:TGID_Z_EN: 0
; COMPUTE_PGM_RSRC2:TIDIG_COMP_CNT: 0
	.section	.text._Z6kernelI14inclusive_scanILN6hipcub18BlockScanAlgorithmE0EEiLj256ELj16ELj100EEvPKT0_PS4_S4_,"axG",@progbits,_Z6kernelI14inclusive_scanILN6hipcub18BlockScanAlgorithmE0EEiLj256ELj16ELj100EEvPKT0_PS4_S4_,comdat
	.protected	_Z6kernelI14inclusive_scanILN6hipcub18BlockScanAlgorithmE0EEiLj256ELj16ELj100EEvPKT0_PS4_S4_ ; -- Begin function _Z6kernelI14inclusive_scanILN6hipcub18BlockScanAlgorithmE0EEiLj256ELj16ELj100EEvPKT0_PS4_S4_
	.globl	_Z6kernelI14inclusive_scanILN6hipcub18BlockScanAlgorithmE0EEiLj256ELj16ELj100EEvPKT0_PS4_S4_
	.p2align	8
	.type	_Z6kernelI14inclusive_scanILN6hipcub18BlockScanAlgorithmE0EEiLj256ELj16ELj100EEvPKT0_PS4_S4_,@function
_Z6kernelI14inclusive_scanILN6hipcub18BlockScanAlgorithmE0EEiLj256ELj16ELj100EEvPKT0_PS4_S4_: ; @_Z6kernelI14inclusive_scanILN6hipcub18BlockScanAlgorithmE0EEiLj256ELj16ELj100EEvPKT0_PS4_S4_
; %bb.0:
	s_load_dword s0, s[4:5], 0x24
	s_load_dwordx4 s[24:27], s[4:5], 0x0
	v_mov_b32_e32 v2, 0
	v_cmp_gt_u32_e64 s[12:13], 4, v0
	v_cmp_lt_u32_e64 s[14:15], 63, v0
	s_waitcnt lgkmcnt(0)
	s_and_b32 s0, s0, 0xffff
	s_mul_i32 s6, s6, s0
	v_add_lshl_u32 v1, s6, v0, 4
	v_lshlrev_b64 v[17:18], 2, v[1:2]
	v_mov_b32_e32 v1, s25
	v_add_co_u32_e32 v19, vcc, s24, v17
	v_addc_co_u32_e32 v20, vcc, v1, v18, vcc
	global_load_dwordx4 v[5:8], v[19:20], off
	global_load_dwordx4 v[1:4], v[19:20], off offset:16
	global_load_dwordx4 v[13:16], v[19:20], off offset:32
	;; [unrolled: 1-line block ×3, first 2 shown]
	v_mbcnt_lo_u32_b32 v19, -1, 0
	v_mbcnt_hi_u32_b32 v21, -1, v19
	v_and_b32_e32 v19, 15, v21
	v_cmp_eq_u32_e32 vcc, 0, v19
	v_cmp_lt_u32_e64 s[0:1], 1, v19
	v_cmp_lt_u32_e64 s[2:3], 3, v19
	;; [unrolled: 1-line block ×3, first 2 shown]
	v_and_b32_e32 v19, 16, v21
	v_cmp_eq_u32_e64 s[6:7], 0, v19
	v_or_b32_e32 v19, 63, v0
	v_cmp_eq_u32_e64 s[10:11], v0, v19
	v_subrev_co_u32_e64 v19, s[16:17], 1, v21
	v_and_b32_e32 v20, 64, v21
	v_cmp_lt_i32_e64 s[18:19], v19, v20
	v_lshrrev_b32_e32 v20, 4, v0
	v_cmp_lt_u32_e64 s[8:9], 31, v21
	v_cndmask_b32_e64 v19, v19, v21, s[18:19]
	v_and_b32_e32 v20, 12, v20
	v_and_b32_e32 v21, 3, v21
	v_lshlrev_b32_e32 v19, 2, v19
	v_cmp_eq_u32_e64 s[18:19], 0, v0
	v_lshlrev_b32_e32 v0, 2, v0
	v_cmp_eq_u32_e64 s[20:21], 0, v21
	v_cmp_lt_u32_e64 s[22:23], 1, v21
	v_add_u32_e32 v21, -4, v20
	s_movk_i32 s28, 0x64
	s_branch .LBB83_2
.LBB83_1:                               ;   in Loop: Header=BB83_2 Depth=1
	s_or_b64 exec, exec, s[24:25]
	ds_bpermute_b32 v22, v19, v22
	s_add_i32 s28, s28, -1
	s_cmp_lg_u32 s28, 0
	s_waitcnt lgkmcnt(0)
	v_cndmask_b32_e64 v22, v22, v23, s[16:17]
	v_cndmask_b32_e64 v22, v22, 0, s[18:19]
	v_add_u32_e32 v5, v22, v5
	v_add_u32_e32 v6, v5, v6
	;; [unrolled: 1-line block ×16, first 2 shown]
	s_cbranch_scc0 .LBB83_8
.LBB83_2:                               ; =>This Inner Loop Header: Depth=1
	s_waitcnt vmcnt(0)
	v_add_u32_e32 v22, v11, v12
	v_add3_u32 v22, v22, v10, v9
	v_add3_u32 v22, v22, v16, v15
	;; [unrolled: 1-line block ×7, first 2 shown]
	s_nop 1
	v_mov_b32_dpp v23, v22 row_shr:1 row_mask:0xf bank_mask:0xf
	v_cndmask_b32_e64 v23, v23, 0, vcc
	v_add_u32_e32 v22, v22, v23
	s_nop 1
	v_mov_b32_dpp v23, v22 row_shr:2 row_mask:0xf bank_mask:0xf
	v_cndmask_b32_e64 v23, 0, v23, s[0:1]
	v_add_u32_e32 v22, v22, v23
	s_nop 1
	v_mov_b32_dpp v23, v22 row_shr:4 row_mask:0xf bank_mask:0xf
	v_cndmask_b32_e64 v23, 0, v23, s[2:3]
	;; [unrolled: 4-line block ×3, first 2 shown]
	v_add_u32_e32 v22, v22, v23
	s_nop 1
	v_mov_b32_dpp v23, v22 row_bcast:15 row_mask:0xf bank_mask:0xf
	v_cndmask_b32_e64 v23, v23, 0, s[6:7]
	v_add_u32_e32 v22, v22, v23
	s_nop 1
	v_mov_b32_dpp v23, v22 row_bcast:31 row_mask:0xf bank_mask:0xf
	v_cndmask_b32_e64 v23, 0, v23, s[8:9]
	v_add_u32_e32 v22, v22, v23
	s_and_saveexec_b64 s[24:25], s[10:11]
; %bb.3:                                ;   in Loop: Header=BB83_2 Depth=1
	ds_write_b32 v20, v22
; %bb.4:                                ;   in Loop: Header=BB83_2 Depth=1
	s_or_b64 exec, exec, s[24:25]
	s_waitcnt lgkmcnt(0)
	s_barrier
	s_and_saveexec_b64 s[24:25], s[12:13]
	s_cbranch_execz .LBB83_6
; %bb.5:                                ;   in Loop: Header=BB83_2 Depth=1
	ds_read_b32 v23, v0
	s_waitcnt lgkmcnt(0)
	s_nop 0
	v_mov_b32_dpp v24, v23 row_shr:1 row_mask:0xf bank_mask:0xf
	v_cndmask_b32_e64 v24, v24, 0, s[20:21]
	v_add_u32_e32 v23, v24, v23
	s_nop 1
	v_mov_b32_dpp v24, v23 row_shr:2 row_mask:0xf bank_mask:0xf
	v_cndmask_b32_e64 v24, 0, v24, s[22:23]
	v_add_u32_e32 v23, v23, v24
	ds_write_b32 v0, v23
.LBB83_6:                               ;   in Loop: Header=BB83_2 Depth=1
	s_or_b64 exec, exec, s[24:25]
	s_waitcnt lgkmcnt(0)
	s_barrier
                                        ; implicit-def: $vgpr23
	s_and_saveexec_b64 s[24:25], s[14:15]
	s_cbranch_execz .LBB83_1
; %bb.7:                                ;   in Loop: Header=BB83_2 Depth=1
	ds_read_b32 v23, v21
	s_waitcnt lgkmcnt(0)
	v_add_u32_e32 v22, v23, v22
	s_branch .LBB83_1
.LBB83_8:
	v_mov_b32_e32 v0, s27
	v_add_co_u32_e32 v17, vcc, s26, v17
	v_addc_co_u32_e32 v18, vcc, v0, v18, vcc
	global_store_dwordx4 v[17:18], v[5:8], off
	global_store_dwordx4 v[17:18], v[1:4], off offset:16
	global_store_dwordx4 v[17:18], v[13:16], off offset:32
	global_store_dwordx4 v[17:18], v[9:12], off offset:48
	s_endpgm
	.section	.rodata,"a",@progbits
	.p2align	6, 0x0
	.amdhsa_kernel _Z6kernelI14inclusive_scanILN6hipcub18BlockScanAlgorithmE0EEiLj256ELj16ELj100EEvPKT0_PS4_S4_
		.amdhsa_group_segment_fixed_size 16
		.amdhsa_private_segment_fixed_size 0
		.amdhsa_kernarg_size 280
		.amdhsa_user_sgpr_count 6
		.amdhsa_user_sgpr_private_segment_buffer 1
		.amdhsa_user_sgpr_dispatch_ptr 0
		.amdhsa_user_sgpr_queue_ptr 0
		.amdhsa_user_sgpr_kernarg_segment_ptr 1
		.amdhsa_user_sgpr_dispatch_id 0
		.amdhsa_user_sgpr_flat_scratch_init 0
		.amdhsa_user_sgpr_private_segment_size 0
		.amdhsa_uses_dynamic_stack 0
		.amdhsa_system_sgpr_private_segment_wavefront_offset 0
		.amdhsa_system_sgpr_workgroup_id_x 1
		.amdhsa_system_sgpr_workgroup_id_y 0
		.amdhsa_system_sgpr_workgroup_id_z 0
		.amdhsa_system_sgpr_workgroup_info 0
		.amdhsa_system_vgpr_workitem_id 0
		.amdhsa_next_free_vgpr 25
		.amdhsa_next_free_sgpr 29
		.amdhsa_reserve_vcc 1
		.amdhsa_reserve_flat_scratch 0
		.amdhsa_float_round_mode_32 0
		.amdhsa_float_round_mode_16_64 0
		.amdhsa_float_denorm_mode_32 3
		.amdhsa_float_denorm_mode_16_64 3
		.amdhsa_dx10_clamp 1
		.amdhsa_ieee_mode 1
		.amdhsa_fp16_overflow 0
		.amdhsa_exception_fp_ieee_invalid_op 0
		.amdhsa_exception_fp_denorm_src 0
		.amdhsa_exception_fp_ieee_div_zero 0
		.amdhsa_exception_fp_ieee_overflow 0
		.amdhsa_exception_fp_ieee_underflow 0
		.amdhsa_exception_fp_ieee_inexact 0
		.amdhsa_exception_int_div_zero 0
	.end_amdhsa_kernel
	.section	.text._Z6kernelI14inclusive_scanILN6hipcub18BlockScanAlgorithmE0EEiLj256ELj16ELj100EEvPKT0_PS4_S4_,"axG",@progbits,_Z6kernelI14inclusive_scanILN6hipcub18BlockScanAlgorithmE0EEiLj256ELj16ELj100EEvPKT0_PS4_S4_,comdat
.Lfunc_end83:
	.size	_Z6kernelI14inclusive_scanILN6hipcub18BlockScanAlgorithmE0EEiLj256ELj16ELj100EEvPKT0_PS4_S4_, .Lfunc_end83-_Z6kernelI14inclusive_scanILN6hipcub18BlockScanAlgorithmE0EEiLj256ELj16ELj100EEvPKT0_PS4_S4_
                                        ; -- End function
	.set _Z6kernelI14inclusive_scanILN6hipcub18BlockScanAlgorithmE0EEiLj256ELj16ELj100EEvPKT0_PS4_S4_.num_vgpr, 25
	.set _Z6kernelI14inclusive_scanILN6hipcub18BlockScanAlgorithmE0EEiLj256ELj16ELj100EEvPKT0_PS4_S4_.num_agpr, 0
	.set _Z6kernelI14inclusive_scanILN6hipcub18BlockScanAlgorithmE0EEiLj256ELj16ELj100EEvPKT0_PS4_S4_.numbered_sgpr, 29
	.set _Z6kernelI14inclusive_scanILN6hipcub18BlockScanAlgorithmE0EEiLj256ELj16ELj100EEvPKT0_PS4_S4_.num_named_barrier, 0
	.set _Z6kernelI14inclusive_scanILN6hipcub18BlockScanAlgorithmE0EEiLj256ELj16ELj100EEvPKT0_PS4_S4_.private_seg_size, 0
	.set _Z6kernelI14inclusive_scanILN6hipcub18BlockScanAlgorithmE0EEiLj256ELj16ELj100EEvPKT0_PS4_S4_.uses_vcc, 1
	.set _Z6kernelI14inclusive_scanILN6hipcub18BlockScanAlgorithmE0EEiLj256ELj16ELj100EEvPKT0_PS4_S4_.uses_flat_scratch, 0
	.set _Z6kernelI14inclusive_scanILN6hipcub18BlockScanAlgorithmE0EEiLj256ELj16ELj100EEvPKT0_PS4_S4_.has_dyn_sized_stack, 0
	.set _Z6kernelI14inclusive_scanILN6hipcub18BlockScanAlgorithmE0EEiLj256ELj16ELj100EEvPKT0_PS4_S4_.has_recursion, 0
	.set _Z6kernelI14inclusive_scanILN6hipcub18BlockScanAlgorithmE0EEiLj256ELj16ELj100EEvPKT0_PS4_S4_.has_indirect_call, 0
	.section	.AMDGPU.csdata,"",@progbits
; Kernel info:
; codeLenInByte = 780
; TotalNumSgprs: 33
; NumVgprs: 25
; ScratchSize: 0
; MemoryBound: 0
; FloatMode: 240
; IeeeMode: 1
; LDSByteSize: 16 bytes/workgroup (compile time only)
; SGPRBlocks: 4
; VGPRBlocks: 6
; NumSGPRsForWavesPerEU: 33
; NumVGPRsForWavesPerEU: 25
; Occupancy: 9
; WaveLimiterHint : 0
; COMPUTE_PGM_RSRC2:SCRATCH_EN: 0
; COMPUTE_PGM_RSRC2:USER_SGPR: 6
; COMPUTE_PGM_RSRC2:TRAP_HANDLER: 0
; COMPUTE_PGM_RSRC2:TGID_X_EN: 1
; COMPUTE_PGM_RSRC2:TGID_Y_EN: 0
; COMPUTE_PGM_RSRC2:TGID_Z_EN: 0
; COMPUTE_PGM_RSRC2:TIDIG_COMP_CNT: 0
	.section	.text._Z6kernelI14inclusive_scanILN6hipcub18BlockScanAlgorithmE0EEfLj256ELj1ELj100EEvPKT0_PS4_S4_,"axG",@progbits,_Z6kernelI14inclusive_scanILN6hipcub18BlockScanAlgorithmE0EEfLj256ELj1ELj100EEvPKT0_PS4_S4_,comdat
	.protected	_Z6kernelI14inclusive_scanILN6hipcub18BlockScanAlgorithmE0EEfLj256ELj1ELj100EEvPKT0_PS4_S4_ ; -- Begin function _Z6kernelI14inclusive_scanILN6hipcub18BlockScanAlgorithmE0EEfLj256ELj1ELj100EEvPKT0_PS4_S4_
	.globl	_Z6kernelI14inclusive_scanILN6hipcub18BlockScanAlgorithmE0EEfLj256ELj1ELj100EEvPKT0_PS4_S4_
	.p2align	8
	.type	_Z6kernelI14inclusive_scanILN6hipcub18BlockScanAlgorithmE0EEfLj256ELj1ELj100EEvPKT0_PS4_S4_,@function
_Z6kernelI14inclusive_scanILN6hipcub18BlockScanAlgorithmE0EEfLj256ELj1ELj100EEvPKT0_PS4_S4_: ; @_Z6kernelI14inclusive_scanILN6hipcub18BlockScanAlgorithmE0EEfLj256ELj1ELj100EEvPKT0_PS4_S4_
; %bb.0:
	s_load_dword s0, s[4:5], 0x24
	s_load_dwordx4 s[20:23], s[4:5], 0x0
	v_mov_b32_e32 v2, 0
	v_cmp_gt_u32_e64 s[12:13], 4, v0
	v_cmp_lt_u32_e64 s[14:15], 63, v0
	s_waitcnt lgkmcnt(0)
	s_and_b32 s0, s0, 0xffff
	s_mul_i32 s6, s6, s0
	v_add_u32_e32 v1, s6, v0
	v_lshlrev_b64 v[1:2], 2, v[1:2]
	v_mov_b32_e32 v4, s21
	v_add_co_u32_e32 v3, vcc, s20, v1
	v_addc_co_u32_e32 v4, vcc, v4, v2, vcc
	global_load_dword v3, v[3:4], off
	v_mbcnt_lo_u32_b32 v4, -1, 0
	v_mbcnt_hi_u32_b32 v5, -1, v4
	v_and_b32_e32 v4, 15, v5
	v_cmp_eq_u32_e32 vcc, 0, v4
	v_cmp_lt_u32_e64 s[0:1], 1, v4
	v_cmp_lt_u32_e64 s[2:3], 3, v4
	;; [unrolled: 1-line block ×3, first 2 shown]
	v_and_b32_e32 v4, 16, v5
	v_cmp_eq_u32_e64 s[6:7], 0, v4
	v_or_b32_e32 v4, 63, v0
	v_cmp_eq_u32_e64 s[10:11], v0, v4
	v_lshrrev_b32_e32 v4, 4, v0
	v_cmp_lt_u32_e64 s[8:9], 31, v5
	v_and_b32_e32 v4, 12, v4
	v_and_b32_e32 v5, 3, v5
	v_lshlrev_b32_e32 v0, 2, v0
	v_cmp_eq_u32_e64 s[16:17], 0, v5
	v_cmp_lt_u32_e64 s[18:19], 1, v5
	v_add_u32_e32 v5, -4, v4
	s_movk_i32 s24, 0x64
	s_branch .LBB84_2
.LBB84_1:                               ;   in Loop: Header=BB84_2 Depth=1
	s_or_b64 exec, exec, s[20:21]
	s_add_i32 s24, s24, -1
	s_cmp_lg_u32 s24, 0
	s_cbranch_scc0 .LBB84_8
.LBB84_2:                               ; =>This Inner Loop Header: Depth=1
	s_waitcnt vmcnt(0)
	v_mov_b32_dpp v6, v3 row_shr:1 row_mask:0xf bank_mask:0xf
	v_add_f32_e32 v6, v3, v6
	v_cndmask_b32_e32 v3, v6, v3, vcc
	s_nop 1
	v_mov_b32_dpp v6, v3 row_shr:2 row_mask:0xf bank_mask:0xf
	v_add_f32_e32 v6, v3, v6
	v_cndmask_b32_e64 v3, v3, v6, s[0:1]
	s_nop 1
	v_mov_b32_dpp v6, v3 row_shr:4 row_mask:0xf bank_mask:0xf
	v_add_f32_e32 v6, v3, v6
	v_cndmask_b32_e64 v3, v3, v6, s[2:3]
	;; [unrolled: 4-line block ×3, first 2 shown]
	s_nop 1
	v_mov_b32_dpp v6, v3 row_bcast:15 row_mask:0xf bank_mask:0xf
	v_add_f32_e32 v6, v3, v6
	v_cndmask_b32_e64 v3, v6, v3, s[6:7]
	s_nop 1
	v_mov_b32_dpp v6, v3 row_bcast:31 row_mask:0xf bank_mask:0xf
	v_add_f32_e32 v6, v3, v6
	v_cndmask_b32_e64 v3, v3, v6, s[8:9]
	s_and_saveexec_b64 s[20:21], s[10:11]
; %bb.3:                                ;   in Loop: Header=BB84_2 Depth=1
	ds_write_b32 v4, v3
; %bb.4:                                ;   in Loop: Header=BB84_2 Depth=1
	s_or_b64 exec, exec, s[20:21]
	s_waitcnt lgkmcnt(0)
	s_barrier
	s_and_saveexec_b64 s[20:21], s[12:13]
	s_cbranch_execz .LBB84_6
; %bb.5:                                ;   in Loop: Header=BB84_2 Depth=1
	ds_read_b32 v6, v0
	s_waitcnt lgkmcnt(0)
	s_nop 0
	v_mov_b32_dpp v7, v6 row_shr:1 row_mask:0xf bank_mask:0xf
	v_add_f32_e32 v7, v6, v7
	v_cndmask_b32_e64 v6, v7, v6, s[16:17]
	s_nop 1
	v_mov_b32_dpp v7, v6 row_shr:2 row_mask:0xf bank_mask:0xf
	v_add_f32_e32 v7, v6, v7
	v_cndmask_b32_e64 v6, v6, v7, s[18:19]
	ds_write_b32 v0, v6
.LBB84_6:                               ;   in Loop: Header=BB84_2 Depth=1
	s_or_b64 exec, exec, s[20:21]
	s_waitcnt lgkmcnt(0)
	s_barrier
	s_and_saveexec_b64 s[20:21], s[14:15]
	s_cbranch_execz .LBB84_1
; %bb.7:                                ;   in Loop: Header=BB84_2 Depth=1
	ds_read_b32 v6, v5
	s_waitcnt lgkmcnt(0)
	v_add_f32_e32 v3, v3, v6
	s_branch .LBB84_1
.LBB84_8:
	v_mov_b32_e32 v4, s23
	v_add_co_u32_e32 v0, vcc, s22, v1
	v_addc_co_u32_e32 v1, vcc, v4, v2, vcc
	global_store_dword v[0:1], v3, off
	s_endpgm
	.section	.rodata,"a",@progbits
	.p2align	6, 0x0
	.amdhsa_kernel _Z6kernelI14inclusive_scanILN6hipcub18BlockScanAlgorithmE0EEfLj256ELj1ELj100EEvPKT0_PS4_S4_
		.amdhsa_group_segment_fixed_size 16
		.amdhsa_private_segment_fixed_size 0
		.amdhsa_kernarg_size 280
		.amdhsa_user_sgpr_count 6
		.amdhsa_user_sgpr_private_segment_buffer 1
		.amdhsa_user_sgpr_dispatch_ptr 0
		.amdhsa_user_sgpr_queue_ptr 0
		.amdhsa_user_sgpr_kernarg_segment_ptr 1
		.amdhsa_user_sgpr_dispatch_id 0
		.amdhsa_user_sgpr_flat_scratch_init 0
		.amdhsa_user_sgpr_private_segment_size 0
		.amdhsa_uses_dynamic_stack 0
		.amdhsa_system_sgpr_private_segment_wavefront_offset 0
		.amdhsa_system_sgpr_workgroup_id_x 1
		.amdhsa_system_sgpr_workgroup_id_y 0
		.amdhsa_system_sgpr_workgroup_id_z 0
		.amdhsa_system_sgpr_workgroup_info 0
		.amdhsa_system_vgpr_workitem_id 0
		.amdhsa_next_free_vgpr 8
		.amdhsa_next_free_sgpr 25
		.amdhsa_reserve_vcc 1
		.amdhsa_reserve_flat_scratch 0
		.amdhsa_float_round_mode_32 0
		.amdhsa_float_round_mode_16_64 0
		.amdhsa_float_denorm_mode_32 3
		.amdhsa_float_denorm_mode_16_64 3
		.amdhsa_dx10_clamp 1
		.amdhsa_ieee_mode 1
		.amdhsa_fp16_overflow 0
		.amdhsa_exception_fp_ieee_invalid_op 0
		.amdhsa_exception_fp_denorm_src 0
		.amdhsa_exception_fp_ieee_div_zero 0
		.amdhsa_exception_fp_ieee_overflow 0
		.amdhsa_exception_fp_ieee_underflow 0
		.amdhsa_exception_fp_ieee_inexact 0
		.amdhsa_exception_int_div_zero 0
	.end_amdhsa_kernel
	.section	.text._Z6kernelI14inclusive_scanILN6hipcub18BlockScanAlgorithmE0EEfLj256ELj1ELj100EEvPKT0_PS4_S4_,"axG",@progbits,_Z6kernelI14inclusive_scanILN6hipcub18BlockScanAlgorithmE0EEfLj256ELj1ELj100EEvPKT0_PS4_S4_,comdat
.Lfunc_end84:
	.size	_Z6kernelI14inclusive_scanILN6hipcub18BlockScanAlgorithmE0EEfLj256ELj1ELj100EEvPKT0_PS4_S4_, .Lfunc_end84-_Z6kernelI14inclusive_scanILN6hipcub18BlockScanAlgorithmE0EEfLj256ELj1ELj100EEvPKT0_PS4_S4_
                                        ; -- End function
	.set _Z6kernelI14inclusive_scanILN6hipcub18BlockScanAlgorithmE0EEfLj256ELj1ELj100EEvPKT0_PS4_S4_.num_vgpr, 8
	.set _Z6kernelI14inclusive_scanILN6hipcub18BlockScanAlgorithmE0EEfLj256ELj1ELj100EEvPKT0_PS4_S4_.num_agpr, 0
	.set _Z6kernelI14inclusive_scanILN6hipcub18BlockScanAlgorithmE0EEfLj256ELj1ELj100EEvPKT0_PS4_S4_.numbered_sgpr, 25
	.set _Z6kernelI14inclusive_scanILN6hipcub18BlockScanAlgorithmE0EEfLj256ELj1ELj100EEvPKT0_PS4_S4_.num_named_barrier, 0
	.set _Z6kernelI14inclusive_scanILN6hipcub18BlockScanAlgorithmE0EEfLj256ELj1ELj100EEvPKT0_PS4_S4_.private_seg_size, 0
	.set _Z6kernelI14inclusive_scanILN6hipcub18BlockScanAlgorithmE0EEfLj256ELj1ELj100EEvPKT0_PS4_S4_.uses_vcc, 1
	.set _Z6kernelI14inclusive_scanILN6hipcub18BlockScanAlgorithmE0EEfLj256ELj1ELj100EEvPKT0_PS4_S4_.uses_flat_scratch, 0
	.set _Z6kernelI14inclusive_scanILN6hipcub18BlockScanAlgorithmE0EEfLj256ELj1ELj100EEvPKT0_PS4_S4_.has_dyn_sized_stack, 0
	.set _Z6kernelI14inclusive_scanILN6hipcub18BlockScanAlgorithmE0EEfLj256ELj1ELj100EEvPKT0_PS4_S4_.has_recursion, 0
	.set _Z6kernelI14inclusive_scanILN6hipcub18BlockScanAlgorithmE0EEfLj256ELj1ELj100EEvPKT0_PS4_S4_.has_indirect_call, 0
	.section	.AMDGPU.csdata,"",@progbits
; Kernel info:
; codeLenInByte = 528
; TotalNumSgprs: 29
; NumVgprs: 8
; ScratchSize: 0
; MemoryBound: 0
; FloatMode: 240
; IeeeMode: 1
; LDSByteSize: 16 bytes/workgroup (compile time only)
; SGPRBlocks: 3
; VGPRBlocks: 1
; NumSGPRsForWavesPerEU: 29
; NumVGPRsForWavesPerEU: 8
; Occupancy: 10
; WaveLimiterHint : 0
; COMPUTE_PGM_RSRC2:SCRATCH_EN: 0
; COMPUTE_PGM_RSRC2:USER_SGPR: 6
; COMPUTE_PGM_RSRC2:TRAP_HANDLER: 0
; COMPUTE_PGM_RSRC2:TGID_X_EN: 1
; COMPUTE_PGM_RSRC2:TGID_Y_EN: 0
; COMPUTE_PGM_RSRC2:TGID_Z_EN: 0
; COMPUTE_PGM_RSRC2:TIDIG_COMP_CNT: 0
	.section	.text._Z6kernelI14inclusive_scanILN6hipcub18BlockScanAlgorithmE0EEfLj256ELj3ELj100EEvPKT0_PS4_S4_,"axG",@progbits,_Z6kernelI14inclusive_scanILN6hipcub18BlockScanAlgorithmE0EEfLj256ELj3ELj100EEvPKT0_PS4_S4_,comdat
	.protected	_Z6kernelI14inclusive_scanILN6hipcub18BlockScanAlgorithmE0EEfLj256ELj3ELj100EEvPKT0_PS4_S4_ ; -- Begin function _Z6kernelI14inclusive_scanILN6hipcub18BlockScanAlgorithmE0EEfLj256ELj3ELj100EEvPKT0_PS4_S4_
	.globl	_Z6kernelI14inclusive_scanILN6hipcub18BlockScanAlgorithmE0EEfLj256ELj3ELj100EEvPKT0_PS4_S4_
	.p2align	8
	.type	_Z6kernelI14inclusive_scanILN6hipcub18BlockScanAlgorithmE0EEfLj256ELj3ELj100EEvPKT0_PS4_S4_,@function
_Z6kernelI14inclusive_scanILN6hipcub18BlockScanAlgorithmE0EEfLj256ELj3ELj100EEvPKT0_PS4_S4_: ; @_Z6kernelI14inclusive_scanILN6hipcub18BlockScanAlgorithmE0EEfLj256ELj3ELj100EEvPKT0_PS4_S4_
; %bb.0:
	s_load_dword s0, s[4:5], 0x24
	s_load_dwordx4 s[24:27], s[4:5], 0x0
	v_mov_b32_e32 v6, 0
	v_mov_b32_e32 v4, v6
	v_cmp_gt_u32_e64 s[12:13], 4, v0
	s_waitcnt lgkmcnt(0)
	s_and_b32 s0, s0, 0xffff
	s_mul_i32 s6, s6, s0
	v_add_u32_e32 v1, s6, v0
	v_lshl_add_u32 v5, v1, 1, v1
	v_lshlrev_b64 v[1:2], 2, v[5:6]
	v_mov_b32_e32 v3, s25
	v_add_co_u32_e32 v10, vcc, s24, v1
	v_addc_co_u32_e32 v11, vcc, v3, v2, vcc
	v_add_u32_e32 v3, 1, v5
	v_lshlrev_b64 v[3:4], 2, v[3:4]
	v_add_u32_e32 v5, 2, v5
	v_mov_b32_e32 v7, s25
	v_add_co_u32_e32 v12, vcc, s24, v3
	v_lshlrev_b64 v[5:6], 2, v[5:6]
	v_addc_co_u32_e32 v13, vcc, v7, v4, vcc
	v_add_co_u32_e32 v14, vcc, s24, v5
	v_addc_co_u32_e32 v15, vcc, v7, v6, vcc
	global_load_dword v9, v[10:11], off
	global_load_dword v8, v[12:13], off
	;; [unrolled: 1-line block ×3, first 2 shown]
	v_mbcnt_lo_u32_b32 v10, -1, 0
	v_mbcnt_hi_u32_b32 v12, -1, v10
	v_and_b32_e32 v10, 15, v12
	v_cmp_eq_u32_e32 vcc, 0, v10
	v_cmp_lt_u32_e64 s[0:1], 1, v10
	v_cmp_lt_u32_e64 s[2:3], 3, v10
	;; [unrolled: 1-line block ×3, first 2 shown]
	v_and_b32_e32 v10, 16, v12
	v_cmp_eq_u32_e64 s[6:7], 0, v10
	v_or_b32_e32 v10, 63, v0
	v_cmp_eq_u32_e64 s[10:11], v0, v10
	v_subrev_co_u32_e64 v10, s[16:17], 1, v12
	v_and_b32_e32 v11, 64, v12
	v_cmp_lt_i32_e64 s[18:19], v10, v11
	v_lshrrev_b32_e32 v11, 4, v0
	v_cmp_lt_u32_e64 s[8:9], 31, v12
	v_cndmask_b32_e64 v10, v10, v12, s[18:19]
	v_and_b32_e32 v11, 12, v11
	v_and_b32_e32 v12, 3, v12
	v_cmp_lt_u32_e64 s[14:15], 63, v0
	v_lshlrev_b32_e32 v10, 2, v10
	v_cmp_eq_u32_e64 s[18:19], 0, v0
	v_lshlrev_b32_e32 v0, 2, v0
	v_cmp_eq_u32_e64 s[20:21], 0, v12
	v_cmp_lt_u32_e64 s[22:23], 1, v12
	v_add_u32_e32 v12, -4, v11
	s_movk_i32 s28, 0x64
	s_branch .LBB85_2
.LBB85_1:                               ;   in Loop: Header=BB85_2 Depth=1
	s_or_b64 exec, exec, s[24:25]
	ds_bpermute_b32 v13, v10, v13
	s_add_i32 s28, s28, -1
	s_cmp_lg_u32 s28, 0
	s_waitcnt lgkmcnt(0)
	v_cndmask_b32_e64 v13, v13, v14, s[16:17]
	v_add_f32_e32 v13, v9, v13
	v_cndmask_b32_e64 v9, v13, v9, s[18:19]
	v_add_f32_e32 v8, v8, v9
	v_add_f32_e32 v7, v7, v8
	s_cbranch_scc0 .LBB85_8
.LBB85_2:                               ; =>This Inner Loop Header: Depth=1
	s_waitcnt vmcnt(1)
	v_add_f32_e32 v13, v9, v8
	s_waitcnt vmcnt(0)
	v_add_f32_e32 v13, v7, v13
	s_nop 1
	v_mov_b32_dpp v14, v13 row_shr:1 row_mask:0xf bank_mask:0xf
	v_add_f32_e32 v14, v13, v14
	v_cndmask_b32_e32 v13, v14, v13, vcc
	s_nop 1
	v_mov_b32_dpp v14, v13 row_shr:2 row_mask:0xf bank_mask:0xf
	v_add_f32_e32 v14, v13, v14
	v_cndmask_b32_e64 v13, v13, v14, s[0:1]
	s_nop 1
	v_mov_b32_dpp v14, v13 row_shr:4 row_mask:0xf bank_mask:0xf
	v_add_f32_e32 v14, v13, v14
	v_cndmask_b32_e64 v13, v13, v14, s[2:3]
	;; [unrolled: 4-line block ×3, first 2 shown]
	s_nop 1
	v_mov_b32_dpp v14, v13 row_bcast:15 row_mask:0xf bank_mask:0xf
	v_add_f32_e32 v14, v13, v14
	v_cndmask_b32_e64 v13, v14, v13, s[6:7]
	s_nop 1
	v_mov_b32_dpp v14, v13 row_bcast:31 row_mask:0xf bank_mask:0xf
	v_add_f32_e32 v14, v13, v14
	v_cndmask_b32_e64 v13, v13, v14, s[8:9]
	s_and_saveexec_b64 s[24:25], s[10:11]
; %bb.3:                                ;   in Loop: Header=BB85_2 Depth=1
	ds_write_b32 v11, v13
; %bb.4:                                ;   in Loop: Header=BB85_2 Depth=1
	s_or_b64 exec, exec, s[24:25]
	s_waitcnt lgkmcnt(0)
	s_barrier
	s_and_saveexec_b64 s[24:25], s[12:13]
	s_cbranch_execz .LBB85_6
; %bb.5:                                ;   in Loop: Header=BB85_2 Depth=1
	ds_read_b32 v14, v0
	s_waitcnt lgkmcnt(0)
	s_nop 0
	v_mov_b32_dpp v15, v14 row_shr:1 row_mask:0xf bank_mask:0xf
	v_add_f32_e32 v15, v14, v15
	v_cndmask_b32_e64 v14, v15, v14, s[20:21]
	s_nop 1
	v_mov_b32_dpp v15, v14 row_shr:2 row_mask:0xf bank_mask:0xf
	v_add_f32_e32 v15, v14, v15
	v_cndmask_b32_e64 v14, v14, v15, s[22:23]
	ds_write_b32 v0, v14
.LBB85_6:                               ;   in Loop: Header=BB85_2 Depth=1
	s_or_b64 exec, exec, s[24:25]
	s_waitcnt lgkmcnt(0)
	s_barrier
                                        ; implicit-def: $vgpr14
	s_and_saveexec_b64 s[24:25], s[14:15]
	s_cbranch_execz .LBB85_1
; %bb.7:                                ;   in Loop: Header=BB85_2 Depth=1
	ds_read_b32 v14, v12
	s_waitcnt lgkmcnt(0)
	v_add_f32_e32 v13, v13, v14
	s_branch .LBB85_1
.LBB85_8:
	v_mov_b32_e32 v10, s27
	v_add_co_u32_e32 v0, vcc, s26, v1
	v_addc_co_u32_e32 v1, vcc, v10, v2, vcc
	global_store_dword v[0:1], v9, off
	v_mov_b32_e32 v1, s27
	v_add_co_u32_e32 v0, vcc, s26, v3
	v_addc_co_u32_e32 v1, vcc, v1, v4, vcc
	global_store_dword v[0:1], v8, off
	;; [unrolled: 4-line block ×3, first 2 shown]
	s_endpgm
	.section	.rodata,"a",@progbits
	.p2align	6, 0x0
	.amdhsa_kernel _Z6kernelI14inclusive_scanILN6hipcub18BlockScanAlgorithmE0EEfLj256ELj3ELj100EEvPKT0_PS4_S4_
		.amdhsa_group_segment_fixed_size 16
		.amdhsa_private_segment_fixed_size 0
		.amdhsa_kernarg_size 280
		.amdhsa_user_sgpr_count 6
		.amdhsa_user_sgpr_private_segment_buffer 1
		.amdhsa_user_sgpr_dispatch_ptr 0
		.amdhsa_user_sgpr_queue_ptr 0
		.amdhsa_user_sgpr_kernarg_segment_ptr 1
		.amdhsa_user_sgpr_dispatch_id 0
		.amdhsa_user_sgpr_flat_scratch_init 0
		.amdhsa_user_sgpr_private_segment_size 0
		.amdhsa_uses_dynamic_stack 0
		.amdhsa_system_sgpr_private_segment_wavefront_offset 0
		.amdhsa_system_sgpr_workgroup_id_x 1
		.amdhsa_system_sgpr_workgroup_id_y 0
		.amdhsa_system_sgpr_workgroup_id_z 0
		.amdhsa_system_sgpr_workgroup_info 0
		.amdhsa_system_vgpr_workitem_id 0
		.amdhsa_next_free_vgpr 16
		.amdhsa_next_free_sgpr 29
		.amdhsa_reserve_vcc 1
		.amdhsa_reserve_flat_scratch 0
		.amdhsa_float_round_mode_32 0
		.amdhsa_float_round_mode_16_64 0
		.amdhsa_float_denorm_mode_32 3
		.amdhsa_float_denorm_mode_16_64 3
		.amdhsa_dx10_clamp 1
		.amdhsa_ieee_mode 1
		.amdhsa_fp16_overflow 0
		.amdhsa_exception_fp_ieee_invalid_op 0
		.amdhsa_exception_fp_denorm_src 0
		.amdhsa_exception_fp_ieee_div_zero 0
		.amdhsa_exception_fp_ieee_overflow 0
		.amdhsa_exception_fp_ieee_underflow 0
		.amdhsa_exception_fp_ieee_inexact 0
		.amdhsa_exception_int_div_zero 0
	.end_amdhsa_kernel
	.section	.text._Z6kernelI14inclusive_scanILN6hipcub18BlockScanAlgorithmE0EEfLj256ELj3ELj100EEvPKT0_PS4_S4_,"axG",@progbits,_Z6kernelI14inclusive_scanILN6hipcub18BlockScanAlgorithmE0EEfLj256ELj3ELj100EEvPKT0_PS4_S4_,comdat
.Lfunc_end85:
	.size	_Z6kernelI14inclusive_scanILN6hipcub18BlockScanAlgorithmE0EEfLj256ELj3ELj100EEvPKT0_PS4_S4_, .Lfunc_end85-_Z6kernelI14inclusive_scanILN6hipcub18BlockScanAlgorithmE0EEfLj256ELj3ELj100EEvPKT0_PS4_S4_
                                        ; -- End function
	.set _Z6kernelI14inclusive_scanILN6hipcub18BlockScanAlgorithmE0EEfLj256ELj3ELj100EEvPKT0_PS4_S4_.num_vgpr, 16
	.set _Z6kernelI14inclusive_scanILN6hipcub18BlockScanAlgorithmE0EEfLj256ELj3ELj100EEvPKT0_PS4_S4_.num_agpr, 0
	.set _Z6kernelI14inclusive_scanILN6hipcub18BlockScanAlgorithmE0EEfLj256ELj3ELj100EEvPKT0_PS4_S4_.numbered_sgpr, 29
	.set _Z6kernelI14inclusive_scanILN6hipcub18BlockScanAlgorithmE0EEfLj256ELj3ELj100EEvPKT0_PS4_S4_.num_named_barrier, 0
	.set _Z6kernelI14inclusive_scanILN6hipcub18BlockScanAlgorithmE0EEfLj256ELj3ELj100EEvPKT0_PS4_S4_.private_seg_size, 0
	.set _Z6kernelI14inclusive_scanILN6hipcub18BlockScanAlgorithmE0EEfLj256ELj3ELj100EEvPKT0_PS4_S4_.uses_vcc, 1
	.set _Z6kernelI14inclusive_scanILN6hipcub18BlockScanAlgorithmE0EEfLj256ELj3ELj100EEvPKT0_PS4_S4_.uses_flat_scratch, 0
	.set _Z6kernelI14inclusive_scanILN6hipcub18BlockScanAlgorithmE0EEfLj256ELj3ELj100EEvPKT0_PS4_S4_.has_dyn_sized_stack, 0
	.set _Z6kernelI14inclusive_scanILN6hipcub18BlockScanAlgorithmE0EEfLj256ELj3ELj100EEvPKT0_PS4_S4_.has_recursion, 0
	.set _Z6kernelI14inclusive_scanILN6hipcub18BlockScanAlgorithmE0EEfLj256ELj3ELj100EEvPKT0_PS4_S4_.has_indirect_call, 0
	.section	.AMDGPU.csdata,"",@progbits
; Kernel info:
; codeLenInByte = 736
; TotalNumSgprs: 33
; NumVgprs: 16
; ScratchSize: 0
; MemoryBound: 0
; FloatMode: 240
; IeeeMode: 1
; LDSByteSize: 16 bytes/workgroup (compile time only)
; SGPRBlocks: 4
; VGPRBlocks: 3
; NumSGPRsForWavesPerEU: 33
; NumVGPRsForWavesPerEU: 16
; Occupancy: 10
; WaveLimiterHint : 0
; COMPUTE_PGM_RSRC2:SCRATCH_EN: 0
; COMPUTE_PGM_RSRC2:USER_SGPR: 6
; COMPUTE_PGM_RSRC2:TRAP_HANDLER: 0
; COMPUTE_PGM_RSRC2:TGID_X_EN: 1
; COMPUTE_PGM_RSRC2:TGID_Y_EN: 0
; COMPUTE_PGM_RSRC2:TGID_Z_EN: 0
; COMPUTE_PGM_RSRC2:TIDIG_COMP_CNT: 0
	.section	.text._Z6kernelI14inclusive_scanILN6hipcub18BlockScanAlgorithmE0EEfLj256ELj4ELj100EEvPKT0_PS4_S4_,"axG",@progbits,_Z6kernelI14inclusive_scanILN6hipcub18BlockScanAlgorithmE0EEfLj256ELj4ELj100EEvPKT0_PS4_S4_,comdat
	.protected	_Z6kernelI14inclusive_scanILN6hipcub18BlockScanAlgorithmE0EEfLj256ELj4ELj100EEvPKT0_PS4_S4_ ; -- Begin function _Z6kernelI14inclusive_scanILN6hipcub18BlockScanAlgorithmE0EEfLj256ELj4ELj100EEvPKT0_PS4_S4_
	.globl	_Z6kernelI14inclusive_scanILN6hipcub18BlockScanAlgorithmE0EEfLj256ELj4ELj100EEvPKT0_PS4_S4_
	.p2align	8
	.type	_Z6kernelI14inclusive_scanILN6hipcub18BlockScanAlgorithmE0EEfLj256ELj4ELj100EEvPKT0_PS4_S4_,@function
_Z6kernelI14inclusive_scanILN6hipcub18BlockScanAlgorithmE0EEfLj256ELj4ELj100EEvPKT0_PS4_S4_: ; @_Z6kernelI14inclusive_scanILN6hipcub18BlockScanAlgorithmE0EEfLj256ELj4ELj100EEvPKT0_PS4_S4_
; %bb.0:
	s_load_dword s0, s[4:5], 0x24
	s_load_dwordx4 s[24:27], s[4:5], 0x0
	v_mov_b32_e32 v2, 0
	v_mbcnt_lo_u32_b32 v7, -1, 0
	v_mbcnt_hi_u32_b32 v9, -1, v7
	s_waitcnt lgkmcnt(0)
	s_and_b32 s0, s0, 0xffff
	s_mul_i32 s6, s6, s0
	v_add_lshl_u32 v1, s6, v0, 2
	v_lshlrev_b64 v[5:6], 2, v[1:2]
	v_mov_b32_e32 v2, s25
	v_add_co_u32_e32 v1, vcc, s24, v5
	v_addc_co_u32_e32 v2, vcc, v2, v6, vcc
	global_load_dwordx4 v[1:4], v[1:2], off
	v_and_b32_e32 v7, 15, v9
	v_cmp_eq_u32_e32 vcc, 0, v7
	v_cmp_lt_u32_e64 s[0:1], 1, v7
	v_cmp_lt_u32_e64 s[2:3], 3, v7
	;; [unrolled: 1-line block ×3, first 2 shown]
	v_and_b32_e32 v7, 16, v9
	v_cmp_eq_u32_e64 s[6:7], 0, v7
	v_or_b32_e32 v7, 63, v0
	v_cmp_eq_u32_e64 s[10:11], v0, v7
	v_subrev_co_u32_e64 v7, s[16:17], 1, v9
	v_and_b32_e32 v8, 64, v9
	v_cmp_lt_i32_e64 s[18:19], v7, v8
	v_lshrrev_b32_e32 v8, 4, v0
	v_cmp_lt_u32_e64 s[8:9], 31, v9
	v_cndmask_b32_e64 v7, v7, v9, s[18:19]
	v_and_b32_e32 v8, 12, v8
	v_and_b32_e32 v9, 3, v9
	v_cmp_gt_u32_e64 s[12:13], 4, v0
	v_cmp_lt_u32_e64 s[14:15], 63, v0
	v_lshlrev_b32_e32 v7, 2, v7
	v_cmp_eq_u32_e64 s[18:19], 0, v0
	v_lshlrev_b32_e32 v0, 2, v0
	v_cmp_eq_u32_e64 s[20:21], 0, v9
	v_cmp_lt_u32_e64 s[22:23], 1, v9
	v_add_u32_e32 v9, -4, v8
	s_movk_i32 s28, 0x64
	s_branch .LBB86_2
.LBB86_1:                               ;   in Loop: Header=BB86_2 Depth=1
	s_or_b64 exec, exec, s[24:25]
	ds_bpermute_b32 v10, v7, v10
	s_add_i32 s28, s28, -1
	s_cmp_lg_u32 s28, 0
	s_waitcnt lgkmcnt(0)
	v_cndmask_b32_e64 v10, v10, v11, s[16:17]
	v_add_f32_e32 v10, v1, v10
	v_cndmask_b32_e64 v1, v10, v1, s[18:19]
	v_add_f32_e32 v2, v2, v1
	v_add_f32_e32 v3, v3, v2
	;; [unrolled: 1-line block ×3, first 2 shown]
	s_cbranch_scc0 .LBB86_8
.LBB86_2:                               ; =>This Inner Loop Header: Depth=1
	s_waitcnt vmcnt(0)
	v_add_f32_e32 v10, v1, v2
	v_add_f32_e32 v10, v3, v10
	;; [unrolled: 1-line block ×3, first 2 shown]
	s_nop 1
	v_mov_b32_dpp v11, v10 row_shr:1 row_mask:0xf bank_mask:0xf
	v_add_f32_e32 v11, v10, v11
	v_cndmask_b32_e32 v10, v11, v10, vcc
	s_nop 1
	v_mov_b32_dpp v11, v10 row_shr:2 row_mask:0xf bank_mask:0xf
	v_add_f32_e32 v11, v10, v11
	v_cndmask_b32_e64 v10, v10, v11, s[0:1]
	s_nop 1
	v_mov_b32_dpp v11, v10 row_shr:4 row_mask:0xf bank_mask:0xf
	v_add_f32_e32 v11, v10, v11
	v_cndmask_b32_e64 v10, v10, v11, s[2:3]
	;; [unrolled: 4-line block ×3, first 2 shown]
	s_nop 1
	v_mov_b32_dpp v11, v10 row_bcast:15 row_mask:0xf bank_mask:0xf
	v_add_f32_e32 v11, v10, v11
	v_cndmask_b32_e64 v10, v11, v10, s[6:7]
	s_nop 1
	v_mov_b32_dpp v11, v10 row_bcast:31 row_mask:0xf bank_mask:0xf
	v_add_f32_e32 v11, v10, v11
	v_cndmask_b32_e64 v10, v10, v11, s[8:9]
	s_and_saveexec_b64 s[24:25], s[10:11]
; %bb.3:                                ;   in Loop: Header=BB86_2 Depth=1
	ds_write_b32 v8, v10
; %bb.4:                                ;   in Loop: Header=BB86_2 Depth=1
	s_or_b64 exec, exec, s[24:25]
	s_waitcnt lgkmcnt(0)
	s_barrier
	s_and_saveexec_b64 s[24:25], s[12:13]
	s_cbranch_execz .LBB86_6
; %bb.5:                                ;   in Loop: Header=BB86_2 Depth=1
	ds_read_b32 v11, v0
	s_waitcnt lgkmcnt(0)
	s_nop 0
	v_mov_b32_dpp v12, v11 row_shr:1 row_mask:0xf bank_mask:0xf
	v_add_f32_e32 v12, v11, v12
	v_cndmask_b32_e64 v11, v12, v11, s[20:21]
	s_nop 1
	v_mov_b32_dpp v12, v11 row_shr:2 row_mask:0xf bank_mask:0xf
	v_add_f32_e32 v12, v11, v12
	v_cndmask_b32_e64 v11, v11, v12, s[22:23]
	ds_write_b32 v0, v11
.LBB86_6:                               ;   in Loop: Header=BB86_2 Depth=1
	s_or_b64 exec, exec, s[24:25]
	s_waitcnt lgkmcnt(0)
	s_barrier
                                        ; implicit-def: $vgpr11
	s_and_saveexec_b64 s[24:25], s[14:15]
	s_cbranch_execz .LBB86_1
; %bb.7:                                ;   in Loop: Header=BB86_2 Depth=1
	ds_read_b32 v11, v9
	s_waitcnt lgkmcnt(0)
	v_add_f32_e32 v10, v10, v11
	s_branch .LBB86_1
.LBB86_8:
	v_mov_b32_e32 v0, s27
	v_add_co_u32_e32 v5, vcc, s26, v5
	v_addc_co_u32_e32 v6, vcc, v0, v6, vcc
	global_store_dwordx4 v[5:6], v[1:4], off
	s_endpgm
	.section	.rodata,"a",@progbits
	.p2align	6, 0x0
	.amdhsa_kernel _Z6kernelI14inclusive_scanILN6hipcub18BlockScanAlgorithmE0EEfLj256ELj4ELj100EEvPKT0_PS4_S4_
		.amdhsa_group_segment_fixed_size 16
		.amdhsa_private_segment_fixed_size 0
		.amdhsa_kernarg_size 280
		.amdhsa_user_sgpr_count 6
		.amdhsa_user_sgpr_private_segment_buffer 1
		.amdhsa_user_sgpr_dispatch_ptr 0
		.amdhsa_user_sgpr_queue_ptr 0
		.amdhsa_user_sgpr_kernarg_segment_ptr 1
		.amdhsa_user_sgpr_dispatch_id 0
		.amdhsa_user_sgpr_flat_scratch_init 0
		.amdhsa_user_sgpr_private_segment_size 0
		.amdhsa_uses_dynamic_stack 0
		.amdhsa_system_sgpr_private_segment_wavefront_offset 0
		.amdhsa_system_sgpr_workgroup_id_x 1
		.amdhsa_system_sgpr_workgroup_id_y 0
		.amdhsa_system_sgpr_workgroup_id_z 0
		.amdhsa_system_sgpr_workgroup_info 0
		.amdhsa_system_vgpr_workitem_id 0
		.amdhsa_next_free_vgpr 13
		.amdhsa_next_free_sgpr 29
		.amdhsa_reserve_vcc 1
		.amdhsa_reserve_flat_scratch 0
		.amdhsa_float_round_mode_32 0
		.amdhsa_float_round_mode_16_64 0
		.amdhsa_float_denorm_mode_32 3
		.amdhsa_float_denorm_mode_16_64 3
		.amdhsa_dx10_clamp 1
		.amdhsa_ieee_mode 1
		.amdhsa_fp16_overflow 0
		.amdhsa_exception_fp_ieee_invalid_op 0
		.amdhsa_exception_fp_denorm_src 0
		.amdhsa_exception_fp_ieee_div_zero 0
		.amdhsa_exception_fp_ieee_overflow 0
		.amdhsa_exception_fp_ieee_underflow 0
		.amdhsa_exception_fp_ieee_inexact 0
		.amdhsa_exception_int_div_zero 0
	.end_amdhsa_kernel
	.section	.text._Z6kernelI14inclusive_scanILN6hipcub18BlockScanAlgorithmE0EEfLj256ELj4ELj100EEvPKT0_PS4_S4_,"axG",@progbits,_Z6kernelI14inclusive_scanILN6hipcub18BlockScanAlgorithmE0EEfLj256ELj4ELj100EEvPKT0_PS4_S4_,comdat
.Lfunc_end86:
	.size	_Z6kernelI14inclusive_scanILN6hipcub18BlockScanAlgorithmE0EEfLj256ELj4ELj100EEvPKT0_PS4_S4_, .Lfunc_end86-_Z6kernelI14inclusive_scanILN6hipcub18BlockScanAlgorithmE0EEfLj256ELj4ELj100EEvPKT0_PS4_S4_
                                        ; -- End function
	.set _Z6kernelI14inclusive_scanILN6hipcub18BlockScanAlgorithmE0EEfLj256ELj4ELj100EEvPKT0_PS4_S4_.num_vgpr, 13
	.set _Z6kernelI14inclusive_scanILN6hipcub18BlockScanAlgorithmE0EEfLj256ELj4ELj100EEvPKT0_PS4_S4_.num_agpr, 0
	.set _Z6kernelI14inclusive_scanILN6hipcub18BlockScanAlgorithmE0EEfLj256ELj4ELj100EEvPKT0_PS4_S4_.numbered_sgpr, 29
	.set _Z6kernelI14inclusive_scanILN6hipcub18BlockScanAlgorithmE0EEfLj256ELj4ELj100EEvPKT0_PS4_S4_.num_named_barrier, 0
	.set _Z6kernelI14inclusive_scanILN6hipcub18BlockScanAlgorithmE0EEfLj256ELj4ELj100EEvPKT0_PS4_S4_.private_seg_size, 0
	.set _Z6kernelI14inclusive_scanILN6hipcub18BlockScanAlgorithmE0EEfLj256ELj4ELj100EEvPKT0_PS4_S4_.uses_vcc, 1
	.set _Z6kernelI14inclusive_scanILN6hipcub18BlockScanAlgorithmE0EEfLj256ELj4ELj100EEvPKT0_PS4_S4_.uses_flat_scratch, 0
	.set _Z6kernelI14inclusive_scanILN6hipcub18BlockScanAlgorithmE0EEfLj256ELj4ELj100EEvPKT0_PS4_S4_.has_dyn_sized_stack, 0
	.set _Z6kernelI14inclusive_scanILN6hipcub18BlockScanAlgorithmE0EEfLj256ELj4ELj100EEvPKT0_PS4_S4_.has_recursion, 0
	.set _Z6kernelI14inclusive_scanILN6hipcub18BlockScanAlgorithmE0EEfLj256ELj4ELj100EEvPKT0_PS4_S4_.has_indirect_call, 0
	.section	.AMDGPU.csdata,"",@progbits
; Kernel info:
; codeLenInByte = 632
; TotalNumSgprs: 33
; NumVgprs: 13
; ScratchSize: 0
; MemoryBound: 0
; FloatMode: 240
; IeeeMode: 1
; LDSByteSize: 16 bytes/workgroup (compile time only)
; SGPRBlocks: 4
; VGPRBlocks: 3
; NumSGPRsForWavesPerEU: 33
; NumVGPRsForWavesPerEU: 13
; Occupancy: 10
; WaveLimiterHint : 0
; COMPUTE_PGM_RSRC2:SCRATCH_EN: 0
; COMPUTE_PGM_RSRC2:USER_SGPR: 6
; COMPUTE_PGM_RSRC2:TRAP_HANDLER: 0
; COMPUTE_PGM_RSRC2:TGID_X_EN: 1
; COMPUTE_PGM_RSRC2:TGID_Y_EN: 0
; COMPUTE_PGM_RSRC2:TGID_Z_EN: 0
; COMPUTE_PGM_RSRC2:TIDIG_COMP_CNT: 0
	.section	.text._Z6kernelI14inclusive_scanILN6hipcub18BlockScanAlgorithmE0EEfLj256ELj8ELj100EEvPKT0_PS4_S4_,"axG",@progbits,_Z6kernelI14inclusive_scanILN6hipcub18BlockScanAlgorithmE0EEfLj256ELj8ELj100EEvPKT0_PS4_S4_,comdat
	.protected	_Z6kernelI14inclusive_scanILN6hipcub18BlockScanAlgorithmE0EEfLj256ELj8ELj100EEvPKT0_PS4_S4_ ; -- Begin function _Z6kernelI14inclusive_scanILN6hipcub18BlockScanAlgorithmE0EEfLj256ELj8ELj100EEvPKT0_PS4_S4_
	.globl	_Z6kernelI14inclusive_scanILN6hipcub18BlockScanAlgorithmE0EEfLj256ELj8ELj100EEvPKT0_PS4_S4_
	.p2align	8
	.type	_Z6kernelI14inclusive_scanILN6hipcub18BlockScanAlgorithmE0EEfLj256ELj8ELj100EEvPKT0_PS4_S4_,@function
_Z6kernelI14inclusive_scanILN6hipcub18BlockScanAlgorithmE0EEfLj256ELj8ELj100EEvPKT0_PS4_S4_: ; @_Z6kernelI14inclusive_scanILN6hipcub18BlockScanAlgorithmE0EEfLj256ELj8ELj100EEvPKT0_PS4_S4_
; %bb.0:
	s_load_dword s0, s[4:5], 0x24
	s_load_dwordx4 s[24:27], s[4:5], 0x0
	v_mov_b32_e32 v2, 0
	v_cmp_gt_u32_e64 s[12:13], 4, v0
	v_cmp_lt_u32_e64 s[14:15], 63, v0
	s_waitcnt lgkmcnt(0)
	s_and_b32 s0, s0, 0xffff
	s_mul_i32 s6, s6, s0
	v_add_lshl_u32 v1, s6, v0, 3
	v_lshlrev_b64 v[9:10], 2, v[1:2]
	v_mov_b32_e32 v1, s25
	v_add_co_u32_e32 v11, vcc, s24, v9
	v_addc_co_u32_e32 v12, vcc, v1, v10, vcc
	global_load_dwordx4 v[5:8], v[11:12], off
	global_load_dwordx4 v[1:4], v[11:12], off offset:16
	v_mbcnt_lo_u32_b32 v11, -1, 0
	v_mbcnt_hi_u32_b32 v13, -1, v11
	v_and_b32_e32 v11, 15, v13
	v_cmp_eq_u32_e32 vcc, 0, v11
	v_cmp_lt_u32_e64 s[0:1], 1, v11
	v_cmp_lt_u32_e64 s[2:3], 3, v11
	;; [unrolled: 1-line block ×3, first 2 shown]
	v_and_b32_e32 v11, 16, v13
	v_cmp_eq_u32_e64 s[6:7], 0, v11
	v_or_b32_e32 v11, 63, v0
	v_cmp_eq_u32_e64 s[10:11], v0, v11
	v_subrev_co_u32_e64 v11, s[16:17], 1, v13
	v_and_b32_e32 v12, 64, v13
	v_cmp_lt_i32_e64 s[18:19], v11, v12
	v_lshrrev_b32_e32 v12, 4, v0
	v_cmp_lt_u32_e64 s[8:9], 31, v13
	v_cndmask_b32_e64 v11, v11, v13, s[18:19]
	v_and_b32_e32 v12, 12, v12
	v_and_b32_e32 v13, 3, v13
	v_lshlrev_b32_e32 v11, 2, v11
	v_cmp_eq_u32_e64 s[18:19], 0, v0
	v_lshlrev_b32_e32 v0, 2, v0
	v_cmp_eq_u32_e64 s[20:21], 0, v13
	v_cmp_lt_u32_e64 s[22:23], 1, v13
	v_add_u32_e32 v13, -4, v12
	s_movk_i32 s28, 0x64
	s_branch .LBB87_2
.LBB87_1:                               ;   in Loop: Header=BB87_2 Depth=1
	s_or_b64 exec, exec, s[24:25]
	ds_bpermute_b32 v14, v11, v14
	s_add_i32 s28, s28, -1
	s_cmp_lg_u32 s28, 0
	s_waitcnt lgkmcnt(0)
	v_cndmask_b32_e64 v14, v14, v15, s[16:17]
	v_add_f32_e32 v14, v5, v14
	v_cndmask_b32_e64 v5, v14, v5, s[18:19]
	v_add_f32_e32 v6, v6, v5
	v_add_f32_e32 v7, v7, v6
	;; [unrolled: 1-line block ×7, first 2 shown]
	s_cbranch_scc0 .LBB87_8
.LBB87_2:                               ; =>This Inner Loop Header: Depth=1
	s_waitcnt vmcnt(1)
	v_add_f32_e32 v14, v5, v6
	v_add_f32_e32 v14, v7, v14
	v_add_f32_e32 v14, v8, v14
	s_waitcnt vmcnt(0)
	v_add_f32_e32 v14, v1, v14
	v_add_f32_e32 v14, v2, v14
	;; [unrolled: 1-line block ×4, first 2 shown]
	s_nop 1
	v_mov_b32_dpp v15, v14 row_shr:1 row_mask:0xf bank_mask:0xf
	v_add_f32_e32 v15, v14, v15
	v_cndmask_b32_e32 v14, v15, v14, vcc
	s_nop 1
	v_mov_b32_dpp v15, v14 row_shr:2 row_mask:0xf bank_mask:0xf
	v_add_f32_e32 v15, v14, v15
	v_cndmask_b32_e64 v14, v14, v15, s[0:1]
	s_nop 1
	v_mov_b32_dpp v15, v14 row_shr:4 row_mask:0xf bank_mask:0xf
	v_add_f32_e32 v15, v14, v15
	v_cndmask_b32_e64 v14, v14, v15, s[2:3]
	;; [unrolled: 4-line block ×3, first 2 shown]
	s_nop 1
	v_mov_b32_dpp v15, v14 row_bcast:15 row_mask:0xf bank_mask:0xf
	v_add_f32_e32 v15, v14, v15
	v_cndmask_b32_e64 v14, v15, v14, s[6:7]
	s_nop 1
	v_mov_b32_dpp v15, v14 row_bcast:31 row_mask:0xf bank_mask:0xf
	v_add_f32_e32 v15, v14, v15
	v_cndmask_b32_e64 v14, v14, v15, s[8:9]
	s_and_saveexec_b64 s[24:25], s[10:11]
; %bb.3:                                ;   in Loop: Header=BB87_2 Depth=1
	ds_write_b32 v12, v14
; %bb.4:                                ;   in Loop: Header=BB87_2 Depth=1
	s_or_b64 exec, exec, s[24:25]
	s_waitcnt lgkmcnt(0)
	s_barrier
	s_and_saveexec_b64 s[24:25], s[12:13]
	s_cbranch_execz .LBB87_6
; %bb.5:                                ;   in Loop: Header=BB87_2 Depth=1
	ds_read_b32 v15, v0
	s_waitcnt lgkmcnt(0)
	s_nop 0
	v_mov_b32_dpp v16, v15 row_shr:1 row_mask:0xf bank_mask:0xf
	v_add_f32_e32 v16, v15, v16
	v_cndmask_b32_e64 v15, v16, v15, s[20:21]
	s_nop 1
	v_mov_b32_dpp v16, v15 row_shr:2 row_mask:0xf bank_mask:0xf
	v_add_f32_e32 v16, v15, v16
	v_cndmask_b32_e64 v15, v15, v16, s[22:23]
	ds_write_b32 v0, v15
.LBB87_6:                               ;   in Loop: Header=BB87_2 Depth=1
	s_or_b64 exec, exec, s[24:25]
	s_waitcnt lgkmcnt(0)
	s_barrier
                                        ; implicit-def: $vgpr15
	s_and_saveexec_b64 s[24:25], s[14:15]
	s_cbranch_execz .LBB87_1
; %bb.7:                                ;   in Loop: Header=BB87_2 Depth=1
	ds_read_b32 v15, v13
	s_waitcnt lgkmcnt(0)
	v_add_f32_e32 v14, v14, v15
	s_branch .LBB87_1
.LBB87_8:
	v_mov_b32_e32 v0, s27
	v_add_co_u32_e32 v9, vcc, s26, v9
	v_addc_co_u32_e32 v10, vcc, v0, v10, vcc
	global_store_dwordx4 v[9:10], v[5:8], off
	global_store_dwordx4 v[9:10], v[1:4], off offset:16
	s_endpgm
	.section	.rodata,"a",@progbits
	.p2align	6, 0x0
	.amdhsa_kernel _Z6kernelI14inclusive_scanILN6hipcub18BlockScanAlgorithmE0EEfLj256ELj8ELj100EEvPKT0_PS4_S4_
		.amdhsa_group_segment_fixed_size 16
		.amdhsa_private_segment_fixed_size 0
		.amdhsa_kernarg_size 280
		.amdhsa_user_sgpr_count 6
		.amdhsa_user_sgpr_private_segment_buffer 1
		.amdhsa_user_sgpr_dispatch_ptr 0
		.amdhsa_user_sgpr_queue_ptr 0
		.amdhsa_user_sgpr_kernarg_segment_ptr 1
		.amdhsa_user_sgpr_dispatch_id 0
		.amdhsa_user_sgpr_flat_scratch_init 0
		.amdhsa_user_sgpr_private_segment_size 0
		.amdhsa_uses_dynamic_stack 0
		.amdhsa_system_sgpr_private_segment_wavefront_offset 0
		.amdhsa_system_sgpr_workgroup_id_x 1
		.amdhsa_system_sgpr_workgroup_id_y 0
		.amdhsa_system_sgpr_workgroup_id_z 0
		.amdhsa_system_sgpr_workgroup_info 0
		.amdhsa_system_vgpr_workitem_id 0
		.amdhsa_next_free_vgpr 17
		.amdhsa_next_free_sgpr 29
		.amdhsa_reserve_vcc 1
		.amdhsa_reserve_flat_scratch 0
		.amdhsa_float_round_mode_32 0
		.amdhsa_float_round_mode_16_64 0
		.amdhsa_float_denorm_mode_32 3
		.amdhsa_float_denorm_mode_16_64 3
		.amdhsa_dx10_clamp 1
		.amdhsa_ieee_mode 1
		.amdhsa_fp16_overflow 0
		.amdhsa_exception_fp_ieee_invalid_op 0
		.amdhsa_exception_fp_denorm_src 0
		.amdhsa_exception_fp_ieee_div_zero 0
		.amdhsa_exception_fp_ieee_overflow 0
		.amdhsa_exception_fp_ieee_underflow 0
		.amdhsa_exception_fp_ieee_inexact 0
		.amdhsa_exception_int_div_zero 0
	.end_amdhsa_kernel
	.section	.text._Z6kernelI14inclusive_scanILN6hipcub18BlockScanAlgorithmE0EEfLj256ELj8ELj100EEvPKT0_PS4_S4_,"axG",@progbits,_Z6kernelI14inclusive_scanILN6hipcub18BlockScanAlgorithmE0EEfLj256ELj8ELj100EEvPKT0_PS4_S4_,comdat
.Lfunc_end87:
	.size	_Z6kernelI14inclusive_scanILN6hipcub18BlockScanAlgorithmE0EEfLj256ELj8ELj100EEvPKT0_PS4_S4_, .Lfunc_end87-_Z6kernelI14inclusive_scanILN6hipcub18BlockScanAlgorithmE0EEfLj256ELj8ELj100EEvPKT0_PS4_S4_
                                        ; -- End function
	.set _Z6kernelI14inclusive_scanILN6hipcub18BlockScanAlgorithmE0EEfLj256ELj8ELj100EEvPKT0_PS4_S4_.num_vgpr, 17
	.set _Z6kernelI14inclusive_scanILN6hipcub18BlockScanAlgorithmE0EEfLj256ELj8ELj100EEvPKT0_PS4_S4_.num_agpr, 0
	.set _Z6kernelI14inclusive_scanILN6hipcub18BlockScanAlgorithmE0EEfLj256ELj8ELj100EEvPKT0_PS4_S4_.numbered_sgpr, 29
	.set _Z6kernelI14inclusive_scanILN6hipcub18BlockScanAlgorithmE0EEfLj256ELj8ELj100EEvPKT0_PS4_S4_.num_named_barrier, 0
	.set _Z6kernelI14inclusive_scanILN6hipcub18BlockScanAlgorithmE0EEfLj256ELj8ELj100EEvPKT0_PS4_S4_.private_seg_size, 0
	.set _Z6kernelI14inclusive_scanILN6hipcub18BlockScanAlgorithmE0EEfLj256ELj8ELj100EEvPKT0_PS4_S4_.uses_vcc, 1
	.set _Z6kernelI14inclusive_scanILN6hipcub18BlockScanAlgorithmE0EEfLj256ELj8ELj100EEvPKT0_PS4_S4_.uses_flat_scratch, 0
	.set _Z6kernelI14inclusive_scanILN6hipcub18BlockScanAlgorithmE0EEfLj256ELj8ELj100EEvPKT0_PS4_S4_.has_dyn_sized_stack, 0
	.set _Z6kernelI14inclusive_scanILN6hipcub18BlockScanAlgorithmE0EEfLj256ELj8ELj100EEvPKT0_PS4_S4_.has_recursion, 0
	.set _Z6kernelI14inclusive_scanILN6hipcub18BlockScanAlgorithmE0EEfLj256ELj8ELj100EEvPKT0_PS4_S4_.has_indirect_call, 0
	.section	.AMDGPU.csdata,"",@progbits
; Kernel info:
; codeLenInByte = 684
; TotalNumSgprs: 33
; NumVgprs: 17
; ScratchSize: 0
; MemoryBound: 0
; FloatMode: 240
; IeeeMode: 1
; LDSByteSize: 16 bytes/workgroup (compile time only)
; SGPRBlocks: 4
; VGPRBlocks: 4
; NumSGPRsForWavesPerEU: 33
; NumVGPRsForWavesPerEU: 17
; Occupancy: 10
; WaveLimiterHint : 0
; COMPUTE_PGM_RSRC2:SCRATCH_EN: 0
; COMPUTE_PGM_RSRC2:USER_SGPR: 6
; COMPUTE_PGM_RSRC2:TRAP_HANDLER: 0
; COMPUTE_PGM_RSRC2:TGID_X_EN: 1
; COMPUTE_PGM_RSRC2:TGID_Y_EN: 0
; COMPUTE_PGM_RSRC2:TGID_Z_EN: 0
; COMPUTE_PGM_RSRC2:TIDIG_COMP_CNT: 0
	.section	.text._Z6kernelI14inclusive_scanILN6hipcub18BlockScanAlgorithmE0EEfLj256ELj11ELj100EEvPKT0_PS4_S4_,"axG",@progbits,_Z6kernelI14inclusive_scanILN6hipcub18BlockScanAlgorithmE0EEfLj256ELj11ELj100EEvPKT0_PS4_S4_,comdat
	.protected	_Z6kernelI14inclusive_scanILN6hipcub18BlockScanAlgorithmE0EEfLj256ELj11ELj100EEvPKT0_PS4_S4_ ; -- Begin function _Z6kernelI14inclusive_scanILN6hipcub18BlockScanAlgorithmE0EEfLj256ELj11ELj100EEvPKT0_PS4_S4_
	.globl	_Z6kernelI14inclusive_scanILN6hipcub18BlockScanAlgorithmE0EEfLj256ELj11ELj100EEvPKT0_PS4_S4_
	.p2align	8
	.type	_Z6kernelI14inclusive_scanILN6hipcub18BlockScanAlgorithmE0EEfLj256ELj11ELj100EEvPKT0_PS4_S4_,@function
_Z6kernelI14inclusive_scanILN6hipcub18BlockScanAlgorithmE0EEfLj256ELj11ELj100EEvPKT0_PS4_S4_: ; @_Z6kernelI14inclusive_scanILN6hipcub18BlockScanAlgorithmE0EEfLj256ELj11ELj100EEvPKT0_PS4_S4_
; %bb.0:
	s_load_dword s0, s[4:5], 0x24
	s_load_dwordx4 s[24:27], s[4:5], 0x0
	v_mov_b32_e32 v22, 0
	v_mov_b32_e32 v4, v22
	;; [unrolled: 1-line block ×3, first 2 shown]
	s_waitcnt lgkmcnt(0)
	s_and_b32 s0, s0, 0xffff
	s_mul_i32 s6, s6, s0
	v_add_u32_e32 v1, s6, v0
	v_mul_lo_u32 v21, v1, 11
	v_mov_b32_e32 v3, s25
	v_mov_b32_e32 v5, s25
	v_mov_b32_e32 v7, s25
	v_lshlrev_b64 v[1:2], 2, v[21:22]
	v_mov_b32_e32 v8, v22
	v_add_co_u32_e32 v17, vcc, s24, v1
	v_addc_co_u32_e32 v18, vcc, v3, v2, vcc
	v_add_u32_e32 v3, 1, v21
	v_lshlrev_b64 v[3:4], 2, v[3:4]
	v_mov_b32_e32 v9, s25
	v_add_co_u32_e32 v19, vcc, s24, v3
	v_addc_co_u32_e32 v20, vcc, v5, v4, vcc
	v_add_u32_e32 v5, 2, v21
	v_lshlrev_b64 v[5:6], 2, v[5:6]
	v_mov_b32_e32 v10, v22
	v_add_co_u32_e32 v23, vcc, s24, v5
	v_addc_co_u32_e32 v24, vcc, v7, v6, vcc
	v_add_u32_e32 v7, 3, v21
	v_lshlrev_b64 v[7:8], 2, v[7:8]
	v_mov_b32_e32 v11, s25
	v_add_co_u32_e32 v34, vcc, s24, v7
	v_addc_co_u32_e32 v35, vcc, v9, v8, vcc
	v_add_u32_e32 v9, 4, v21
	v_lshlrev_b64 v[9:10], 2, v[9:10]
	v_mov_b32_e32 v12, v22
	v_add_co_u32_e32 v36, vcc, s24, v9
	v_addc_co_u32_e32 v37, vcc, v11, v10, vcc
	v_add_u32_e32 v11, 5, v21
	v_lshlrev_b64 v[11:12], 2, v[11:12]
	v_mov_b32_e32 v13, s25
	v_add_co_u32_e32 v38, vcc, s24, v11
	v_addc_co_u32_e32 v39, vcc, v13, v12, vcc
	v_add_u32_e32 v13, 6, v21
	v_mov_b32_e32 v14, v22
	v_lshlrev_b64 v[13:14], 2, v[13:14]
	v_mov_b32_e32 v15, s25
	v_add_co_u32_e32 v40, vcc, s24, v13
	v_addc_co_u32_e32 v41, vcc, v15, v14, vcc
	v_add_u32_e32 v15, 7, v21
	v_mov_b32_e32 v16, v22
	v_lshlrev_b64 v[15:16], 2, v[15:16]
	v_mov_b32_e32 v25, s25
	v_add_co_u32_e32 v42, vcc, s24, v15
	v_addc_co_u32_e32 v43, vcc, v25, v16, vcc
	global_load_dword v33, v[17:18], off
	global_load_dword v32, v[19:20], off
	;; [unrolled: 1-line block ×5, first 2 shown]
                                        ; kill: killed $vgpr34 killed $vgpr35
                                        ; kill: killed $vgpr19 killed $vgpr20
                                        ; kill: killed $vgpr23 killed $vgpr24
                                        ; kill: killed $vgpr36 killed $vgpr37
                                        ; kill: killed $vgpr17 killed $vgpr18
	global_load_dword v25, v[38:39], off
	s_nop 0
	global_load_dword v24, v[40:41], off
	global_load_dword v23, v[42:43], off
	v_add_u32_e32 v17, 8, v21
	v_mov_b32_e32 v18, v22
	v_lshlrev_b64 v[17:18], 2, v[17:18]
	v_mov_b32_e32 v19, s25
	v_add_co_u32_e32 v34, vcc, s24, v17
	v_addc_co_u32_e32 v35, vcc, v19, v18, vcc
	v_add_u32_e32 v19, 9, v21
	v_mov_b32_e32 v20, v22
	v_lshlrev_b64 v[19:20], 2, v[19:20]
	v_add_u32_e32 v21, 10, v21
	v_mov_b32_e32 v27, s25
	v_add_co_u32_e32 v36, vcc, s24, v19
	v_lshlrev_b64 v[21:22], 2, v[21:22]
	v_addc_co_u32_e32 v37, vcc, v27, v20, vcc
	v_add_co_u32_e32 v38, vcc, s24, v21
	v_addc_co_u32_e32 v39, vcc, v27, v22, vcc
	global_load_dword v31, v[34:35], off
	global_load_dword v29, v[36:37], off
	;; [unrolled: 1-line block ×3, first 2 shown]
	v_mbcnt_lo_u32_b32 v34, -1, 0
	v_mbcnt_hi_u32_b32 v34, -1, v34
	v_and_b32_e32 v35, 15, v34
	v_cmp_eq_u32_e32 vcc, 0, v35
	v_cmp_lt_u32_e64 s[0:1], 1, v35
	v_cmp_lt_u32_e64 s[2:3], 3, v35
	;; [unrolled: 1-line block ×3, first 2 shown]
	v_and_b32_e32 v35, 16, v34
	v_cmp_eq_u32_e64 s[6:7], 0, v35
	v_or_b32_e32 v35, 63, v0
	v_cmp_eq_u32_e64 s[8:9], v0, v35
	v_subrev_co_u32_e64 v35, s[10:11], 1, v34
	v_and_b32_e32 v36, 64, v34
	v_cmp_lt_i32_e64 s[14:15], v35, v36
	v_cmp_lt_u32_e64 s[12:13], 31, v34
	v_cndmask_b32_e64 v35, v35, v34, s[14:15]
	v_and_b32_e32 v34, 3, v34
	v_cmp_eq_u32_e64 s[14:15], 0, v34
	v_cmp_lt_u32_e64 s[16:17], 1, v34
	v_lshlrev_b32_e32 v34, 2, v35
	v_lshrrev_b32_e32 v35, 4, v0
	v_cmp_gt_u32_e64 s[18:19], 4, v0
	v_cmp_lt_u32_e64 s[20:21], 63, v0
	v_cmp_eq_u32_e64 s[22:23], 0, v0
	v_and_b32_e32 v35, 12, v35
	v_lshlrev_b32_e32 v0, 2, v0
	s_movk_i32 s28, 0x64
	s_branch .LBB88_2
.LBB88_1:                               ;   in Loop: Header=BB88_2 Depth=1
	s_or_b64 exec, exec, s[24:25]
	ds_bpermute_b32 v36, v34, v36
	s_add_i32 s28, s28, -1
	s_cmp_lg_u32 s28, 0
	s_waitcnt lgkmcnt(0)
	v_cndmask_b32_e64 v36, v36, v37, s[10:11]
	v_add_f32_e32 v36, v33, v36
	v_cndmask_b32_e64 v33, v36, v33, s[22:23]
	v_add_f32_e32 v32, v32, v33
	v_add_f32_e32 v30, v30, v32
	;; [unrolled: 1-line block ×10, first 2 shown]
	s_cbranch_scc0 .LBB88_8
.LBB88_2:                               ; =>This Inner Loop Header: Depth=1
	s_waitcnt vmcnt(9)
	v_add_f32_e32 v36, v32, v33
	s_waitcnt vmcnt(8)
	v_add_f32_e32 v36, v30, v36
	;; [unrolled: 2-line block ×10, first 2 shown]
	s_nop 1
	v_mov_b32_dpp v37, v36 row_shr:1 row_mask:0xf bank_mask:0xf
	v_add_f32_e32 v37, v36, v37
	v_cndmask_b32_e32 v36, v37, v36, vcc
	s_nop 1
	v_mov_b32_dpp v37, v36 row_shr:2 row_mask:0xf bank_mask:0xf
	v_add_f32_e32 v37, v36, v37
	v_cndmask_b32_e64 v36, v36, v37, s[0:1]
	s_nop 1
	v_mov_b32_dpp v37, v36 row_shr:4 row_mask:0xf bank_mask:0xf
	v_add_f32_e32 v37, v36, v37
	v_cndmask_b32_e64 v36, v36, v37, s[2:3]
	;; [unrolled: 4-line block ×3, first 2 shown]
	s_nop 1
	v_mov_b32_dpp v37, v36 row_bcast:15 row_mask:0xf bank_mask:0xf
	v_add_f32_e32 v37, v36, v37
	v_cndmask_b32_e64 v36, v37, v36, s[6:7]
	s_nop 1
	v_mov_b32_dpp v37, v36 row_bcast:31 row_mask:0xf bank_mask:0xf
	v_add_f32_e32 v37, v36, v37
	v_cndmask_b32_e64 v36, v36, v37, s[12:13]
	s_and_saveexec_b64 s[24:25], s[8:9]
; %bb.3:                                ;   in Loop: Header=BB88_2 Depth=1
	ds_write_b32 v35, v36
; %bb.4:                                ;   in Loop: Header=BB88_2 Depth=1
	s_or_b64 exec, exec, s[24:25]
	s_waitcnt lgkmcnt(0)
	s_barrier
	s_and_saveexec_b64 s[24:25], s[18:19]
	s_cbranch_execz .LBB88_6
; %bb.5:                                ;   in Loop: Header=BB88_2 Depth=1
	ds_read_b32 v37, v0
	s_waitcnt lgkmcnt(0)
	s_nop 0
	v_mov_b32_dpp v38, v37 row_shr:1 row_mask:0xf bank_mask:0xf
	v_add_f32_e32 v38, v37, v38
	v_cndmask_b32_e64 v37, v38, v37, s[14:15]
	s_nop 1
	v_mov_b32_dpp v38, v37 row_shr:2 row_mask:0xf bank_mask:0xf
	v_add_f32_e32 v38, v37, v38
	v_cndmask_b32_e64 v37, v37, v38, s[16:17]
	ds_write_b32 v0, v37
.LBB88_6:                               ;   in Loop: Header=BB88_2 Depth=1
	s_or_b64 exec, exec, s[24:25]
	s_waitcnt lgkmcnt(0)
	s_barrier
                                        ; implicit-def: $vgpr37
	s_and_saveexec_b64 s[24:25], s[20:21]
	s_cbranch_execz .LBB88_1
; %bb.7:                                ;   in Loop: Header=BB88_2 Depth=1
	v_add_u32_e32 v37, -4, v35
	ds_read_b32 v37, v37
	s_waitcnt lgkmcnt(0)
	v_add_f32_e32 v36, v36, v37
	s_branch .LBB88_1
.LBB88_8:
	v_mov_b32_e32 v34, s27
	v_add_co_u32_e32 v0, vcc, s26, v1
	v_addc_co_u32_e32 v1, vcc, v34, v2, vcc
	global_store_dword v[0:1], v33, off
	v_mov_b32_e32 v1, s27
	v_add_co_u32_e32 v0, vcc, s26, v3
	v_addc_co_u32_e32 v1, vcc, v1, v4, vcc
	global_store_dword v[0:1], v32, off
	;; [unrolled: 4-line block ×11, first 2 shown]
	s_endpgm
	.section	.rodata,"a",@progbits
	.p2align	6, 0x0
	.amdhsa_kernel _Z6kernelI14inclusive_scanILN6hipcub18BlockScanAlgorithmE0EEfLj256ELj11ELj100EEvPKT0_PS4_S4_
		.amdhsa_group_segment_fixed_size 16
		.amdhsa_private_segment_fixed_size 0
		.amdhsa_kernarg_size 280
		.amdhsa_user_sgpr_count 6
		.amdhsa_user_sgpr_private_segment_buffer 1
		.amdhsa_user_sgpr_dispatch_ptr 0
		.amdhsa_user_sgpr_queue_ptr 0
		.amdhsa_user_sgpr_kernarg_segment_ptr 1
		.amdhsa_user_sgpr_dispatch_id 0
		.amdhsa_user_sgpr_flat_scratch_init 0
		.amdhsa_user_sgpr_private_segment_size 0
		.amdhsa_uses_dynamic_stack 0
		.amdhsa_system_sgpr_private_segment_wavefront_offset 0
		.amdhsa_system_sgpr_workgroup_id_x 1
		.amdhsa_system_sgpr_workgroup_id_y 0
		.amdhsa_system_sgpr_workgroup_id_z 0
		.amdhsa_system_sgpr_workgroup_info 0
		.amdhsa_system_vgpr_workitem_id 0
		.amdhsa_next_free_vgpr 44
		.amdhsa_next_free_sgpr 29
		.amdhsa_reserve_vcc 1
		.amdhsa_reserve_flat_scratch 0
		.amdhsa_float_round_mode_32 0
		.amdhsa_float_round_mode_16_64 0
		.amdhsa_float_denorm_mode_32 3
		.amdhsa_float_denorm_mode_16_64 3
		.amdhsa_dx10_clamp 1
		.amdhsa_ieee_mode 1
		.amdhsa_fp16_overflow 0
		.amdhsa_exception_fp_ieee_invalid_op 0
		.amdhsa_exception_fp_denorm_src 0
		.amdhsa_exception_fp_ieee_div_zero 0
		.amdhsa_exception_fp_ieee_overflow 0
		.amdhsa_exception_fp_ieee_underflow 0
		.amdhsa_exception_fp_ieee_inexact 0
		.amdhsa_exception_int_div_zero 0
	.end_amdhsa_kernel
	.section	.text._Z6kernelI14inclusive_scanILN6hipcub18BlockScanAlgorithmE0EEfLj256ELj11ELj100EEvPKT0_PS4_S4_,"axG",@progbits,_Z6kernelI14inclusive_scanILN6hipcub18BlockScanAlgorithmE0EEfLj256ELj11ELj100EEvPKT0_PS4_S4_,comdat
.Lfunc_end88:
	.size	_Z6kernelI14inclusive_scanILN6hipcub18BlockScanAlgorithmE0EEfLj256ELj11ELj100EEvPKT0_PS4_S4_, .Lfunc_end88-_Z6kernelI14inclusive_scanILN6hipcub18BlockScanAlgorithmE0EEfLj256ELj11ELj100EEvPKT0_PS4_S4_
                                        ; -- End function
	.set _Z6kernelI14inclusive_scanILN6hipcub18BlockScanAlgorithmE0EEfLj256ELj11ELj100EEvPKT0_PS4_S4_.num_vgpr, 44
	.set _Z6kernelI14inclusive_scanILN6hipcub18BlockScanAlgorithmE0EEfLj256ELj11ELj100EEvPKT0_PS4_S4_.num_agpr, 0
	.set _Z6kernelI14inclusive_scanILN6hipcub18BlockScanAlgorithmE0EEfLj256ELj11ELj100EEvPKT0_PS4_S4_.numbered_sgpr, 29
	.set _Z6kernelI14inclusive_scanILN6hipcub18BlockScanAlgorithmE0EEfLj256ELj11ELj100EEvPKT0_PS4_S4_.num_named_barrier, 0
	.set _Z6kernelI14inclusive_scanILN6hipcub18BlockScanAlgorithmE0EEfLj256ELj11ELj100EEvPKT0_PS4_S4_.private_seg_size, 0
	.set _Z6kernelI14inclusive_scanILN6hipcub18BlockScanAlgorithmE0EEfLj256ELj11ELj100EEvPKT0_PS4_S4_.uses_vcc, 1
	.set _Z6kernelI14inclusive_scanILN6hipcub18BlockScanAlgorithmE0EEfLj256ELj11ELj100EEvPKT0_PS4_S4_.uses_flat_scratch, 0
	.set _Z6kernelI14inclusive_scanILN6hipcub18BlockScanAlgorithmE0EEfLj256ELj11ELj100EEvPKT0_PS4_S4_.has_dyn_sized_stack, 0
	.set _Z6kernelI14inclusive_scanILN6hipcub18BlockScanAlgorithmE0EEfLj256ELj11ELj100EEvPKT0_PS4_S4_.has_recursion, 0
	.set _Z6kernelI14inclusive_scanILN6hipcub18BlockScanAlgorithmE0EEfLj256ELj11ELj100EEvPKT0_PS4_S4_.has_indirect_call, 0
	.section	.AMDGPU.csdata,"",@progbits
; Kernel info:
; codeLenInByte = 1284
; TotalNumSgprs: 33
; NumVgprs: 44
; ScratchSize: 0
; MemoryBound: 0
; FloatMode: 240
; IeeeMode: 1
; LDSByteSize: 16 bytes/workgroup (compile time only)
; SGPRBlocks: 4
; VGPRBlocks: 10
; NumSGPRsForWavesPerEU: 33
; NumVGPRsForWavesPerEU: 44
; Occupancy: 5
; WaveLimiterHint : 0
; COMPUTE_PGM_RSRC2:SCRATCH_EN: 0
; COMPUTE_PGM_RSRC2:USER_SGPR: 6
; COMPUTE_PGM_RSRC2:TRAP_HANDLER: 0
; COMPUTE_PGM_RSRC2:TGID_X_EN: 1
; COMPUTE_PGM_RSRC2:TGID_Y_EN: 0
; COMPUTE_PGM_RSRC2:TGID_Z_EN: 0
; COMPUTE_PGM_RSRC2:TIDIG_COMP_CNT: 0
	.section	.text._Z6kernelI14inclusive_scanILN6hipcub18BlockScanAlgorithmE0EEfLj256ELj16ELj100EEvPKT0_PS4_S4_,"axG",@progbits,_Z6kernelI14inclusive_scanILN6hipcub18BlockScanAlgorithmE0EEfLj256ELj16ELj100EEvPKT0_PS4_S4_,comdat
	.protected	_Z6kernelI14inclusive_scanILN6hipcub18BlockScanAlgorithmE0EEfLj256ELj16ELj100EEvPKT0_PS4_S4_ ; -- Begin function _Z6kernelI14inclusive_scanILN6hipcub18BlockScanAlgorithmE0EEfLj256ELj16ELj100EEvPKT0_PS4_S4_
	.globl	_Z6kernelI14inclusive_scanILN6hipcub18BlockScanAlgorithmE0EEfLj256ELj16ELj100EEvPKT0_PS4_S4_
	.p2align	8
	.type	_Z6kernelI14inclusive_scanILN6hipcub18BlockScanAlgorithmE0EEfLj256ELj16ELj100EEvPKT0_PS4_S4_,@function
_Z6kernelI14inclusive_scanILN6hipcub18BlockScanAlgorithmE0EEfLj256ELj16ELj100EEvPKT0_PS4_S4_: ; @_Z6kernelI14inclusive_scanILN6hipcub18BlockScanAlgorithmE0EEfLj256ELj16ELj100EEvPKT0_PS4_S4_
; %bb.0:
	s_load_dword s0, s[4:5], 0x24
	s_load_dwordx4 s[24:27], s[4:5], 0x0
	v_mov_b32_e32 v2, 0
	v_cmp_gt_u32_e64 s[12:13], 4, v0
	v_cmp_lt_u32_e64 s[14:15], 63, v0
	s_waitcnt lgkmcnt(0)
	s_and_b32 s0, s0, 0xffff
	s_mul_i32 s6, s6, s0
	v_add_lshl_u32 v1, s6, v0, 4
	v_lshlrev_b64 v[17:18], 2, v[1:2]
	v_mov_b32_e32 v1, s25
	v_add_co_u32_e32 v19, vcc, s24, v17
	v_addc_co_u32_e32 v20, vcc, v1, v18, vcc
	global_load_dwordx4 v[5:8], v[19:20], off
	global_load_dwordx4 v[1:4], v[19:20], off offset:16
	global_load_dwordx4 v[13:16], v[19:20], off offset:32
	;; [unrolled: 1-line block ×3, first 2 shown]
	v_mbcnt_lo_u32_b32 v19, -1, 0
	v_mbcnt_hi_u32_b32 v21, -1, v19
	v_and_b32_e32 v19, 15, v21
	v_cmp_eq_u32_e32 vcc, 0, v19
	v_cmp_lt_u32_e64 s[0:1], 1, v19
	v_cmp_lt_u32_e64 s[2:3], 3, v19
	;; [unrolled: 1-line block ×3, first 2 shown]
	v_and_b32_e32 v19, 16, v21
	v_cmp_eq_u32_e64 s[6:7], 0, v19
	v_or_b32_e32 v19, 63, v0
	v_cmp_eq_u32_e64 s[10:11], v0, v19
	v_subrev_co_u32_e64 v19, s[16:17], 1, v21
	v_and_b32_e32 v20, 64, v21
	v_cmp_lt_i32_e64 s[18:19], v19, v20
	v_lshrrev_b32_e32 v20, 4, v0
	v_cmp_lt_u32_e64 s[8:9], 31, v21
	v_cndmask_b32_e64 v19, v19, v21, s[18:19]
	v_and_b32_e32 v20, 12, v20
	v_and_b32_e32 v21, 3, v21
	v_lshlrev_b32_e32 v19, 2, v19
	v_cmp_eq_u32_e64 s[18:19], 0, v0
	v_lshlrev_b32_e32 v0, 2, v0
	v_cmp_eq_u32_e64 s[20:21], 0, v21
	v_cmp_lt_u32_e64 s[22:23], 1, v21
	v_add_u32_e32 v21, -4, v20
	s_movk_i32 s28, 0x64
	s_branch .LBB89_2
.LBB89_1:                               ;   in Loop: Header=BB89_2 Depth=1
	s_or_b64 exec, exec, s[24:25]
	ds_bpermute_b32 v22, v19, v22
	s_add_i32 s28, s28, -1
	s_cmp_lg_u32 s28, 0
	s_waitcnt lgkmcnt(0)
	v_cndmask_b32_e64 v22, v22, v23, s[16:17]
	v_add_f32_e32 v22, v5, v22
	v_cndmask_b32_e64 v5, v22, v5, s[18:19]
	v_add_f32_e32 v6, v6, v5
	v_add_f32_e32 v7, v7, v6
	;; [unrolled: 1-line block ×15, first 2 shown]
	s_cbranch_scc0 .LBB89_8
.LBB89_2:                               ; =>This Inner Loop Header: Depth=1
	s_waitcnt vmcnt(3)
	v_add_f32_e32 v22, v6, v5
	v_add_f32_e32 v22, v7, v22
	v_add_f32_e32 v22, v8, v22
	s_waitcnt vmcnt(2)
	v_add_f32_e32 v22, v1, v22
	v_add_f32_e32 v22, v2, v22
	v_add_f32_e32 v22, v3, v22
	v_add_f32_e32 v22, v4, v22
	s_waitcnt vmcnt(1)
	v_add_f32_e32 v22, v13, v22
	;; [unrolled: 5-line block ×3, first 2 shown]
	v_add_f32_e32 v22, v10, v22
	v_add_f32_e32 v22, v11, v22
	;; [unrolled: 1-line block ×3, first 2 shown]
	s_nop 1
	v_mov_b32_dpp v23, v22 row_shr:1 row_mask:0xf bank_mask:0xf
	v_add_f32_e32 v23, v22, v23
	v_cndmask_b32_e32 v22, v23, v22, vcc
	s_nop 1
	v_mov_b32_dpp v23, v22 row_shr:2 row_mask:0xf bank_mask:0xf
	v_add_f32_e32 v23, v22, v23
	v_cndmask_b32_e64 v22, v22, v23, s[0:1]
	s_nop 1
	v_mov_b32_dpp v23, v22 row_shr:4 row_mask:0xf bank_mask:0xf
	v_add_f32_e32 v23, v22, v23
	v_cndmask_b32_e64 v22, v22, v23, s[2:3]
	;; [unrolled: 4-line block ×3, first 2 shown]
	s_nop 1
	v_mov_b32_dpp v23, v22 row_bcast:15 row_mask:0xf bank_mask:0xf
	v_add_f32_e32 v23, v22, v23
	v_cndmask_b32_e64 v22, v23, v22, s[6:7]
	s_nop 1
	v_mov_b32_dpp v23, v22 row_bcast:31 row_mask:0xf bank_mask:0xf
	v_add_f32_e32 v23, v22, v23
	v_cndmask_b32_e64 v22, v22, v23, s[8:9]
	s_and_saveexec_b64 s[24:25], s[10:11]
; %bb.3:                                ;   in Loop: Header=BB89_2 Depth=1
	ds_write_b32 v20, v22
; %bb.4:                                ;   in Loop: Header=BB89_2 Depth=1
	s_or_b64 exec, exec, s[24:25]
	s_waitcnt lgkmcnt(0)
	s_barrier
	s_and_saveexec_b64 s[24:25], s[12:13]
	s_cbranch_execz .LBB89_6
; %bb.5:                                ;   in Loop: Header=BB89_2 Depth=1
	ds_read_b32 v23, v0
	s_waitcnt lgkmcnt(0)
	s_nop 0
	v_mov_b32_dpp v24, v23 row_shr:1 row_mask:0xf bank_mask:0xf
	v_add_f32_e32 v24, v23, v24
	v_cndmask_b32_e64 v23, v24, v23, s[20:21]
	s_nop 1
	v_mov_b32_dpp v24, v23 row_shr:2 row_mask:0xf bank_mask:0xf
	v_add_f32_e32 v24, v23, v24
	v_cndmask_b32_e64 v23, v23, v24, s[22:23]
	ds_write_b32 v0, v23
.LBB89_6:                               ;   in Loop: Header=BB89_2 Depth=1
	s_or_b64 exec, exec, s[24:25]
	s_waitcnt lgkmcnt(0)
	s_barrier
                                        ; implicit-def: $vgpr23
	s_and_saveexec_b64 s[24:25], s[14:15]
	s_cbranch_execz .LBB89_1
; %bb.7:                                ;   in Loop: Header=BB89_2 Depth=1
	ds_read_b32 v23, v21
	s_waitcnt lgkmcnt(0)
	v_add_f32_e32 v22, v22, v23
	s_branch .LBB89_1
.LBB89_8:
	v_mov_b32_e32 v0, s27
	v_add_co_u32_e32 v17, vcc, s26, v17
	v_addc_co_u32_e32 v18, vcc, v0, v18, vcc
	global_store_dwordx4 v[17:18], v[5:8], off
	global_store_dwordx4 v[17:18], v[1:4], off offset:16
	global_store_dwordx4 v[17:18], v[13:16], off offset:32
	;; [unrolled: 1-line block ×3, first 2 shown]
	s_endpgm
	.section	.rodata,"a",@progbits
	.p2align	6, 0x0
	.amdhsa_kernel _Z6kernelI14inclusive_scanILN6hipcub18BlockScanAlgorithmE0EEfLj256ELj16ELj100EEvPKT0_PS4_S4_
		.amdhsa_group_segment_fixed_size 16
		.amdhsa_private_segment_fixed_size 0
		.amdhsa_kernarg_size 280
		.amdhsa_user_sgpr_count 6
		.amdhsa_user_sgpr_private_segment_buffer 1
		.amdhsa_user_sgpr_dispatch_ptr 0
		.amdhsa_user_sgpr_queue_ptr 0
		.amdhsa_user_sgpr_kernarg_segment_ptr 1
		.amdhsa_user_sgpr_dispatch_id 0
		.amdhsa_user_sgpr_flat_scratch_init 0
		.amdhsa_user_sgpr_private_segment_size 0
		.amdhsa_uses_dynamic_stack 0
		.amdhsa_system_sgpr_private_segment_wavefront_offset 0
		.amdhsa_system_sgpr_workgroup_id_x 1
		.amdhsa_system_sgpr_workgroup_id_y 0
		.amdhsa_system_sgpr_workgroup_id_z 0
		.amdhsa_system_sgpr_workgroup_info 0
		.amdhsa_system_vgpr_workitem_id 0
		.amdhsa_next_free_vgpr 25
		.amdhsa_next_free_sgpr 29
		.amdhsa_reserve_vcc 1
		.amdhsa_reserve_flat_scratch 0
		.amdhsa_float_round_mode_32 0
		.amdhsa_float_round_mode_16_64 0
		.amdhsa_float_denorm_mode_32 3
		.amdhsa_float_denorm_mode_16_64 3
		.amdhsa_dx10_clamp 1
		.amdhsa_ieee_mode 1
		.amdhsa_fp16_overflow 0
		.amdhsa_exception_fp_ieee_invalid_op 0
		.amdhsa_exception_fp_denorm_src 0
		.amdhsa_exception_fp_ieee_div_zero 0
		.amdhsa_exception_fp_ieee_overflow 0
		.amdhsa_exception_fp_ieee_underflow 0
		.amdhsa_exception_fp_ieee_inexact 0
		.amdhsa_exception_int_div_zero 0
	.end_amdhsa_kernel
	.section	.text._Z6kernelI14inclusive_scanILN6hipcub18BlockScanAlgorithmE0EEfLj256ELj16ELj100EEvPKT0_PS4_S4_,"axG",@progbits,_Z6kernelI14inclusive_scanILN6hipcub18BlockScanAlgorithmE0EEfLj256ELj16ELj100EEvPKT0_PS4_S4_,comdat
.Lfunc_end89:
	.size	_Z6kernelI14inclusive_scanILN6hipcub18BlockScanAlgorithmE0EEfLj256ELj16ELj100EEvPKT0_PS4_S4_, .Lfunc_end89-_Z6kernelI14inclusive_scanILN6hipcub18BlockScanAlgorithmE0EEfLj256ELj16ELj100EEvPKT0_PS4_S4_
                                        ; -- End function
	.set _Z6kernelI14inclusive_scanILN6hipcub18BlockScanAlgorithmE0EEfLj256ELj16ELj100EEvPKT0_PS4_S4_.num_vgpr, 25
	.set _Z6kernelI14inclusive_scanILN6hipcub18BlockScanAlgorithmE0EEfLj256ELj16ELj100EEvPKT0_PS4_S4_.num_agpr, 0
	.set _Z6kernelI14inclusive_scanILN6hipcub18BlockScanAlgorithmE0EEfLj256ELj16ELj100EEvPKT0_PS4_S4_.numbered_sgpr, 29
	.set _Z6kernelI14inclusive_scanILN6hipcub18BlockScanAlgorithmE0EEfLj256ELj16ELj100EEvPKT0_PS4_S4_.num_named_barrier, 0
	.set _Z6kernelI14inclusive_scanILN6hipcub18BlockScanAlgorithmE0EEfLj256ELj16ELj100EEvPKT0_PS4_S4_.private_seg_size, 0
	.set _Z6kernelI14inclusive_scanILN6hipcub18BlockScanAlgorithmE0EEfLj256ELj16ELj100EEvPKT0_PS4_S4_.uses_vcc, 1
	.set _Z6kernelI14inclusive_scanILN6hipcub18BlockScanAlgorithmE0EEfLj256ELj16ELj100EEvPKT0_PS4_S4_.uses_flat_scratch, 0
	.set _Z6kernelI14inclusive_scanILN6hipcub18BlockScanAlgorithmE0EEfLj256ELj16ELj100EEvPKT0_PS4_S4_.has_dyn_sized_stack, 0
	.set _Z6kernelI14inclusive_scanILN6hipcub18BlockScanAlgorithmE0EEfLj256ELj16ELj100EEvPKT0_PS4_S4_.has_recursion, 0
	.set _Z6kernelI14inclusive_scanILN6hipcub18BlockScanAlgorithmE0EEfLj256ELj16ELj100EEvPKT0_PS4_S4_.has_indirect_call, 0
	.section	.AMDGPU.csdata,"",@progbits
; Kernel info:
; codeLenInByte = 788
; TotalNumSgprs: 33
; NumVgprs: 25
; ScratchSize: 0
; MemoryBound: 0
; FloatMode: 240
; IeeeMode: 1
; LDSByteSize: 16 bytes/workgroup (compile time only)
; SGPRBlocks: 4
; VGPRBlocks: 6
; NumSGPRsForWavesPerEU: 33
; NumVGPRsForWavesPerEU: 25
; Occupancy: 9
; WaveLimiterHint : 0
; COMPUTE_PGM_RSRC2:SCRATCH_EN: 0
; COMPUTE_PGM_RSRC2:USER_SGPR: 6
; COMPUTE_PGM_RSRC2:TRAP_HANDLER: 0
; COMPUTE_PGM_RSRC2:TGID_X_EN: 1
; COMPUTE_PGM_RSRC2:TGID_Y_EN: 0
; COMPUTE_PGM_RSRC2:TGID_Z_EN: 0
; COMPUTE_PGM_RSRC2:TIDIG_COMP_CNT: 0
	.section	.text._Z6kernelI14inclusive_scanILN6hipcub18BlockScanAlgorithmE0EEdLj256ELj1ELj100EEvPKT0_PS4_S4_,"axG",@progbits,_Z6kernelI14inclusive_scanILN6hipcub18BlockScanAlgorithmE0EEdLj256ELj1ELj100EEvPKT0_PS4_S4_,comdat
	.protected	_Z6kernelI14inclusive_scanILN6hipcub18BlockScanAlgorithmE0EEdLj256ELj1ELj100EEvPKT0_PS4_S4_ ; -- Begin function _Z6kernelI14inclusive_scanILN6hipcub18BlockScanAlgorithmE0EEdLj256ELj1ELj100EEvPKT0_PS4_S4_
	.globl	_Z6kernelI14inclusive_scanILN6hipcub18BlockScanAlgorithmE0EEdLj256ELj1ELj100EEvPKT0_PS4_S4_
	.p2align	8
	.type	_Z6kernelI14inclusive_scanILN6hipcub18BlockScanAlgorithmE0EEdLj256ELj1ELj100EEvPKT0_PS4_S4_,@function
_Z6kernelI14inclusive_scanILN6hipcub18BlockScanAlgorithmE0EEdLj256ELj1ELj100EEvPKT0_PS4_S4_: ; @_Z6kernelI14inclusive_scanILN6hipcub18BlockScanAlgorithmE0EEdLj256ELj1ELj100EEvPKT0_PS4_S4_
; %bb.0:
	s_load_dword s0, s[4:5], 0x24
	s_load_dwordx4 s[20:23], s[4:5], 0x0
	v_mov_b32_e32 v2, 0
	v_mbcnt_lo_u32_b32 v5, -1, 0
	v_mbcnt_hi_u32_b32 v5, -1, v5
	s_waitcnt lgkmcnt(0)
	s_and_b32 s0, s0, 0xffff
	s_mul_i32 s6, s6, s0
	v_add_u32_e32 v1, s6, v0
	v_lshlrev_b64 v[1:2], 3, v[1:2]
	v_mov_b32_e32 v4, s21
	v_add_co_u32_e32 v3, vcc, s20, v1
	v_addc_co_u32_e32 v4, vcc, v4, v2, vcc
	global_load_dwordx2 v[3:4], v[3:4], off
	v_and_b32_e32 v6, 15, v5
	v_cmp_ne_u32_e32 vcc, 0, v6
	v_cmp_lt_u32_e64 s[0:1], 1, v6
	v_cmp_lt_u32_e64 s[2:3], 3, v6
	;; [unrolled: 1-line block ×3, first 2 shown]
	v_and_b32_e32 v6, 16, v5
	v_cmp_ne_u32_e64 s[6:7], 0, v6
	v_or_b32_e32 v6, 63, v0
	v_cmp_eq_u32_e64 s[10:11], v0, v6
	v_lshrrev_b32_e32 v6, 3, v0
	v_cmp_lt_u32_e64 s[8:9], 31, v5
	v_and_b32_e32 v9, 24, v6
	v_and_b32_e32 v5, 3, v5
	v_cmp_gt_u32_e64 s[12:13], 4, v0
	v_cmp_lt_u32_e64 s[14:15], 63, v0
	v_lshlrev_b32_e32 v0, 3, v0
	v_cmp_ne_u32_e64 s[16:17], 0, v5
	v_cmp_lt_u32_e64 s[18:19], 1, v5
	v_add_u32_e32 v10, -8, v9
	s_movk_i32 s26, 0x64
	s_branch .LBB90_2
.LBB90_1:                               ;   in Loop: Header=BB90_2 Depth=1
	s_or_b64 exec, exec, s[20:21]
	s_add_i32 s26, s26, -1
	s_cmp_lg_u32 s26, 0
	s_cbranch_scc0 .LBB90_20
.LBB90_2:                               ; =>This Inner Loop Header: Depth=1
	s_waitcnt vmcnt(0)
	v_mov_b32_dpp v5, v3 row_shr:1 row_mask:0xf bank_mask:0xf
	v_mov_b32_dpp v6, v4 row_shr:1 row_mask:0xf bank_mask:0xf
	s_and_saveexec_b64 s[20:21], vcc
; %bb.3:                                ;   in Loop: Header=BB90_2 Depth=1
	v_add_f64 v[3:4], v[3:4], v[5:6]
; %bb.4:                                ;   in Loop: Header=BB90_2 Depth=1
	s_or_b64 exec, exec, s[20:21]
	s_nop 0
	v_mov_b32_dpp v5, v3 row_shr:2 row_mask:0xf bank_mask:0xf
	v_mov_b32_dpp v6, v4 row_shr:2 row_mask:0xf bank_mask:0xf
	s_and_saveexec_b64 s[20:21], s[0:1]
; %bb.5:                                ;   in Loop: Header=BB90_2 Depth=1
	v_add_f64 v[3:4], v[3:4], v[5:6]
; %bb.6:                                ;   in Loop: Header=BB90_2 Depth=1
	s_or_b64 exec, exec, s[20:21]
	s_nop 0
	v_mov_b32_dpp v5, v3 row_shr:4 row_mask:0xf bank_mask:0xf
	v_mov_b32_dpp v6, v4 row_shr:4 row_mask:0xf bank_mask:0xf
	s_and_saveexec_b64 s[20:21], s[2:3]
	;; [unrolled: 8-line block ×3, first 2 shown]
; %bb.9:                                ;   in Loop: Header=BB90_2 Depth=1
	v_add_f64 v[3:4], v[3:4], v[5:6]
; %bb.10:                               ;   in Loop: Header=BB90_2 Depth=1
	s_or_b64 exec, exec, s[20:21]
	s_nop 0
	v_mov_b32_dpp v5, v3 row_bcast:15 row_mask:0xf bank_mask:0xf
	v_mov_b32_dpp v6, v4 row_bcast:15 row_mask:0xf bank_mask:0xf
	s_and_saveexec_b64 s[20:21], s[6:7]
; %bb.11:                               ;   in Loop: Header=BB90_2 Depth=1
	v_add_f64 v[3:4], v[3:4], v[5:6]
; %bb.12:                               ;   in Loop: Header=BB90_2 Depth=1
	s_or_b64 exec, exec, s[20:21]
	s_nop 0
	v_mov_b32_dpp v5, v3 row_bcast:31 row_mask:0xf bank_mask:0xf
	v_mov_b32_dpp v6, v4 row_bcast:31 row_mask:0xf bank_mask:0xf
	v_add_f64 v[5:6], v[3:4], v[5:6]
	v_cndmask_b32_e64 v4, v4, v6, s[8:9]
	v_cndmask_b32_e64 v3, v3, v5, s[8:9]
	s_and_saveexec_b64 s[20:21], s[10:11]
; %bb.13:                               ;   in Loop: Header=BB90_2 Depth=1
	ds_write_b64 v9, v[3:4]
; %bb.14:                               ;   in Loop: Header=BB90_2 Depth=1
	s_or_b64 exec, exec, s[20:21]
	s_waitcnt lgkmcnt(0)
	s_barrier
	s_and_saveexec_b64 s[20:21], s[12:13]
	s_cbranch_execz .LBB90_18
; %bb.15:                               ;   in Loop: Header=BB90_2 Depth=1
	ds_read_b64 v[5:6], v0
	s_waitcnt lgkmcnt(0)
	s_nop 0
	v_mov_b32_dpp v7, v5 row_shr:1 row_mask:0xf bank_mask:0xf
	v_mov_b32_dpp v8, v6 row_shr:1 row_mask:0xf bank_mask:0xf
	s_and_saveexec_b64 s[24:25], s[16:17]
; %bb.16:                               ;   in Loop: Header=BB90_2 Depth=1
	v_add_f64 v[5:6], v[5:6], v[7:8]
; %bb.17:                               ;   in Loop: Header=BB90_2 Depth=1
	s_or_b64 exec, exec, s[24:25]
	s_nop 0
	v_mov_b32_dpp v7, v5 row_shr:2 row_mask:0xf bank_mask:0xf
	v_mov_b32_dpp v8, v6 row_shr:2 row_mask:0xf bank_mask:0xf
	v_add_f64 v[7:8], v[5:6], v[7:8]
	v_cndmask_b32_e64 v6, v6, v8, s[18:19]
	v_cndmask_b32_e64 v5, v5, v7, s[18:19]
	ds_write_b64 v0, v[5:6]
.LBB90_18:                              ;   in Loop: Header=BB90_2 Depth=1
	s_or_b64 exec, exec, s[20:21]
	s_waitcnt lgkmcnt(0)
	s_barrier
	s_and_saveexec_b64 s[20:21], s[14:15]
	s_cbranch_execz .LBB90_1
; %bb.19:                               ;   in Loop: Header=BB90_2 Depth=1
	ds_read_b64 v[5:6], v10
	s_waitcnt lgkmcnt(0)
	v_add_f64 v[3:4], v[3:4], v[5:6]
	s_branch .LBB90_1
.LBB90_20:
	v_mov_b32_e32 v5, s23
	v_add_co_u32_e32 v0, vcc, s22, v1
	v_addc_co_u32_e32 v1, vcc, v5, v2, vcc
	global_store_dwordx2 v[0:1], v[3:4], off
	s_endpgm
	.section	.rodata,"a",@progbits
	.p2align	6, 0x0
	.amdhsa_kernel _Z6kernelI14inclusive_scanILN6hipcub18BlockScanAlgorithmE0EEdLj256ELj1ELj100EEvPKT0_PS4_S4_
		.amdhsa_group_segment_fixed_size 32
		.amdhsa_private_segment_fixed_size 0
		.amdhsa_kernarg_size 280
		.amdhsa_user_sgpr_count 6
		.amdhsa_user_sgpr_private_segment_buffer 1
		.amdhsa_user_sgpr_dispatch_ptr 0
		.amdhsa_user_sgpr_queue_ptr 0
		.amdhsa_user_sgpr_kernarg_segment_ptr 1
		.amdhsa_user_sgpr_dispatch_id 0
		.amdhsa_user_sgpr_flat_scratch_init 0
		.amdhsa_user_sgpr_private_segment_size 0
		.amdhsa_uses_dynamic_stack 0
		.amdhsa_system_sgpr_private_segment_wavefront_offset 0
		.amdhsa_system_sgpr_workgroup_id_x 1
		.amdhsa_system_sgpr_workgroup_id_y 0
		.amdhsa_system_sgpr_workgroup_id_z 0
		.amdhsa_system_sgpr_workgroup_info 0
		.amdhsa_system_vgpr_workitem_id 0
		.amdhsa_next_free_vgpr 11
		.amdhsa_next_free_sgpr 27
		.amdhsa_reserve_vcc 1
		.amdhsa_reserve_flat_scratch 0
		.amdhsa_float_round_mode_32 0
		.amdhsa_float_round_mode_16_64 0
		.amdhsa_float_denorm_mode_32 3
		.amdhsa_float_denorm_mode_16_64 3
		.amdhsa_dx10_clamp 1
		.amdhsa_ieee_mode 1
		.amdhsa_fp16_overflow 0
		.amdhsa_exception_fp_ieee_invalid_op 0
		.amdhsa_exception_fp_denorm_src 0
		.amdhsa_exception_fp_ieee_div_zero 0
		.amdhsa_exception_fp_ieee_overflow 0
		.amdhsa_exception_fp_ieee_underflow 0
		.amdhsa_exception_fp_ieee_inexact 0
		.amdhsa_exception_int_div_zero 0
	.end_amdhsa_kernel
	.section	.text._Z6kernelI14inclusive_scanILN6hipcub18BlockScanAlgorithmE0EEdLj256ELj1ELj100EEvPKT0_PS4_S4_,"axG",@progbits,_Z6kernelI14inclusive_scanILN6hipcub18BlockScanAlgorithmE0EEdLj256ELj1ELj100EEvPKT0_PS4_S4_,comdat
.Lfunc_end90:
	.size	_Z6kernelI14inclusive_scanILN6hipcub18BlockScanAlgorithmE0EEdLj256ELj1ELj100EEvPKT0_PS4_S4_, .Lfunc_end90-_Z6kernelI14inclusive_scanILN6hipcub18BlockScanAlgorithmE0EEdLj256ELj1ELj100EEvPKT0_PS4_S4_
                                        ; -- End function
	.set _Z6kernelI14inclusive_scanILN6hipcub18BlockScanAlgorithmE0EEdLj256ELj1ELj100EEvPKT0_PS4_S4_.num_vgpr, 11
	.set _Z6kernelI14inclusive_scanILN6hipcub18BlockScanAlgorithmE0EEdLj256ELj1ELj100EEvPKT0_PS4_S4_.num_agpr, 0
	.set _Z6kernelI14inclusive_scanILN6hipcub18BlockScanAlgorithmE0EEdLj256ELj1ELj100EEvPKT0_PS4_S4_.numbered_sgpr, 27
	.set _Z6kernelI14inclusive_scanILN6hipcub18BlockScanAlgorithmE0EEdLj256ELj1ELj100EEvPKT0_PS4_S4_.num_named_barrier, 0
	.set _Z6kernelI14inclusive_scanILN6hipcub18BlockScanAlgorithmE0EEdLj256ELj1ELj100EEvPKT0_PS4_S4_.private_seg_size, 0
	.set _Z6kernelI14inclusive_scanILN6hipcub18BlockScanAlgorithmE0EEdLj256ELj1ELj100EEvPKT0_PS4_S4_.uses_vcc, 1
	.set _Z6kernelI14inclusive_scanILN6hipcub18BlockScanAlgorithmE0EEdLj256ELj1ELj100EEvPKT0_PS4_S4_.uses_flat_scratch, 0
	.set _Z6kernelI14inclusive_scanILN6hipcub18BlockScanAlgorithmE0EEdLj256ELj1ELj100EEvPKT0_PS4_S4_.has_dyn_sized_stack, 0
	.set _Z6kernelI14inclusive_scanILN6hipcub18BlockScanAlgorithmE0EEdLj256ELj1ELj100EEvPKT0_PS4_S4_.has_recursion, 0
	.set _Z6kernelI14inclusive_scanILN6hipcub18BlockScanAlgorithmE0EEdLj256ELj1ELj100EEvPKT0_PS4_S4_.has_indirect_call, 0
	.section	.AMDGPU.csdata,"",@progbits
; Kernel info:
; codeLenInByte = 648
; TotalNumSgprs: 31
; NumVgprs: 11
; ScratchSize: 0
; MemoryBound: 0
; FloatMode: 240
; IeeeMode: 1
; LDSByteSize: 32 bytes/workgroup (compile time only)
; SGPRBlocks: 3
; VGPRBlocks: 2
; NumSGPRsForWavesPerEU: 31
; NumVGPRsForWavesPerEU: 11
; Occupancy: 10
; WaveLimiterHint : 0
; COMPUTE_PGM_RSRC2:SCRATCH_EN: 0
; COMPUTE_PGM_RSRC2:USER_SGPR: 6
; COMPUTE_PGM_RSRC2:TRAP_HANDLER: 0
; COMPUTE_PGM_RSRC2:TGID_X_EN: 1
; COMPUTE_PGM_RSRC2:TGID_Y_EN: 0
; COMPUTE_PGM_RSRC2:TGID_Z_EN: 0
; COMPUTE_PGM_RSRC2:TIDIG_COMP_CNT: 0
	.section	.text._Z6kernelI14inclusive_scanILN6hipcub18BlockScanAlgorithmE0EEdLj256ELj3ELj100EEvPKT0_PS4_S4_,"axG",@progbits,_Z6kernelI14inclusive_scanILN6hipcub18BlockScanAlgorithmE0EEdLj256ELj3ELj100EEvPKT0_PS4_S4_,comdat
	.protected	_Z6kernelI14inclusive_scanILN6hipcub18BlockScanAlgorithmE0EEdLj256ELj3ELj100EEvPKT0_PS4_S4_ ; -- Begin function _Z6kernelI14inclusive_scanILN6hipcub18BlockScanAlgorithmE0EEdLj256ELj3ELj100EEvPKT0_PS4_S4_
	.globl	_Z6kernelI14inclusive_scanILN6hipcub18BlockScanAlgorithmE0EEdLj256ELj3ELj100EEvPKT0_PS4_S4_
	.p2align	8
	.type	_Z6kernelI14inclusive_scanILN6hipcub18BlockScanAlgorithmE0EEdLj256ELj3ELj100EEvPKT0_PS4_S4_,@function
_Z6kernelI14inclusive_scanILN6hipcub18BlockScanAlgorithmE0EEdLj256ELj3ELj100EEvPKT0_PS4_S4_: ; @_Z6kernelI14inclusive_scanILN6hipcub18BlockScanAlgorithmE0EEdLj256ELj3ELj100EEvPKT0_PS4_S4_
; %bb.0:
	s_load_dword s0, s[4:5], 0x24
	s_load_dwordx4 s[24:27], s[4:5], 0x0
	v_mov_b32_e32 v6, 0
	v_mov_b32_e32 v4, v6
	v_cmp_gt_u32_e64 s[12:13], 4, v0
	s_waitcnt lgkmcnt(0)
	s_and_b32 s0, s0, 0xffff
	s_mul_i32 s6, s6, s0
	v_add_u32_e32 v1, s6, v0
	v_lshl_add_u32 v5, v1, 1, v1
	v_lshlrev_b64 v[1:2], 3, v[5:6]
	v_mov_b32_e32 v3, s25
	v_add_co_u32_e32 v13, vcc, s24, v1
	v_addc_co_u32_e32 v14, vcc, v3, v2, vcc
	v_add_u32_e32 v3, 1, v5
	v_lshlrev_b64 v[3:4], 3, v[3:4]
	v_add_u32_e32 v5, 2, v5
	v_mov_b32_e32 v7, s25
	v_add_co_u32_e32 v15, vcc, s24, v3
	v_lshlrev_b64 v[5:6], 3, v[5:6]
	v_addc_co_u32_e32 v16, vcc, v7, v4, vcc
	v_add_co_u32_e32 v17, vcc, s24, v5
	v_addc_co_u32_e32 v18, vcc, v7, v6, vcc
	global_load_dwordx2 v[7:8], v[13:14], off
	global_load_dwordx2 v[9:10], v[15:16], off
	;; [unrolled: 1-line block ×3, first 2 shown]
	v_mbcnt_lo_u32_b32 v13, -1, 0
	v_mbcnt_hi_u32_b32 v13, -1, v13
	v_and_b32_e32 v14, 15, v13
	v_cmp_ne_u32_e32 vcc, 0, v14
	v_cmp_lt_u32_e64 s[0:1], 1, v14
	v_cmp_lt_u32_e64 s[2:3], 3, v14
	;; [unrolled: 1-line block ×3, first 2 shown]
	v_and_b32_e32 v14, 16, v13
	v_cmp_ne_u32_e64 s[6:7], 0, v14
	v_or_b32_e32 v14, 63, v0
	v_cmp_eq_u32_e64 s[10:11], v0, v14
	v_subrev_co_u32_e64 v14, s[16:17], 1, v13
	v_and_b32_e32 v15, 64, v13
	v_cmp_lt_i32_e64 s[18:19], v14, v15
	v_cndmask_b32_e64 v14, v14, v13, s[18:19]
	v_lshlrev_b32_e32 v23, 2, v14
	v_lshrrev_b32_e32 v14, 3, v0
	v_cmp_lt_u32_e64 s[8:9], 31, v13
	v_and_b32_e32 v24, 24, v14
	v_and_b32_e32 v13, 3, v13
	v_cmp_lt_u32_e64 s[14:15], 63, v0
	v_cmp_ne_u32_e64 s[18:19], 0, v0
	v_lshlrev_b32_e32 v0, 3, v0
	v_cmp_ne_u32_e64 s[20:21], 0, v13
	v_cmp_lt_u32_e64 s[22:23], 1, v13
	v_add_u32_e32 v25, -8, v24
	s_movk_i32 s30, 0x64
.LBB91_1:                               ; =>This Inner Loop Header: Depth=1
	s_waitcnt vmcnt(1)
	v_add_f64 v[15:16], v[7:8], v[9:10]
	s_waitcnt vmcnt(0)
	v_add_f64 v[13:14], v[11:12], v[15:16]
	s_waitcnt lgkmcnt(0)
	v_mov_b32_e32 v18, v14
	v_mov_b32_dpp v21, v13 row_shr:1 row_mask:0xf bank_mask:0xf
	v_mov_b32_dpp v22, v14 row_shr:1 row_mask:0xf bank_mask:0xf
	v_mov_b32_e32 v17, v13
	v_mov_b32_e32 v20, v14
	;; [unrolled: 1-line block ×3, first 2 shown]
	s_and_saveexec_b64 s[24:25], vcc
	s_cbranch_execz .LBB91_3
; %bb.2:                                ;   in Loop: Header=BB91_1 Depth=1
	v_add_f64 v[17:18], v[13:14], v[21:22]
	v_mov_b32_e32 v20, v18
	v_mov_b32_e32 v19, v17
.LBB91_3:                               ;   in Loop: Header=BB91_1 Depth=1
	s_or_b64 exec, exec, s[24:25]
	s_nop 0
	v_mov_b32_dpp v21, v19 row_shr:2 row_mask:0xf bank_mask:0xf
	v_mov_b32_dpp v22, v20 row_shr:2 row_mask:0xf bank_mask:0xf
	s_and_saveexec_b64 s[24:25], s[0:1]
	s_cbranch_execz .LBB91_5
; %bb.4:                                ;   in Loop: Header=BB91_1 Depth=1
	v_add_f64 v[19:20], v[17:18], v[21:22]
	v_mov_b32_e32 v17, v19
	v_mov_b32_e32 v18, v20
.LBB91_5:                               ;   in Loop: Header=BB91_1 Depth=1
	s_or_b64 exec, exec, s[24:25]
	v_mov_b32_dpp v21, v19 row_shr:4 row_mask:0xf bank_mask:0xf
	v_mov_b32_dpp v22, v20 row_shr:4 row_mask:0xf bank_mask:0xf
	s_and_saveexec_b64 s[24:25], s[2:3]
	s_cbranch_execz .LBB91_7
; %bb.6:                                ;   in Loop: Header=BB91_1 Depth=1
	v_add_f64 v[19:20], v[17:18], v[21:22]
	v_mov_b32_e32 v17, v19
	v_mov_b32_e32 v18, v20
.LBB91_7:                               ;   in Loop: Header=BB91_1 Depth=1
	s_or_b64 exec, exec, s[24:25]
	;; [unrolled: 10-line block ×3, first 2 shown]
	v_mov_b32_dpp v21, v19 row_bcast:15 row_mask:0xf bank_mask:0xf
	v_mov_b32_dpp v22, v20 row_bcast:15 row_mask:0xf bank_mask:0xf
	s_and_saveexec_b64 s[24:25], s[6:7]
	s_cbranch_execz .LBB91_11
; %bb.10:                               ;   in Loop: Header=BB91_1 Depth=1
	v_add_f64 v[17:18], v[17:18], v[21:22]
	v_mov_b32_e32 v20, v18
	v_mov_b32_e32 v19, v17
.LBB91_11:                              ;   in Loop: Header=BB91_1 Depth=1
	s_or_b64 exec, exec, s[24:25]
	s_nop 0
	v_mov_b32_dpp v19, v19 row_bcast:31 row_mask:0xf bank_mask:0xf
	v_mov_b32_dpp v20, v20 row_bcast:31 row_mask:0xf bank_mask:0xf
	v_add_f64 v[19:20], v[17:18], v[19:20]
	v_cndmask_b32_e64 v18, v18, v20, s[8:9]
	v_cndmask_b32_e64 v17, v17, v19, s[8:9]
	s_and_saveexec_b64 s[24:25], s[10:11]
; %bb.12:                               ;   in Loop: Header=BB91_1 Depth=1
	ds_write_b64 v24, v[17:18]
; %bb.13:                               ;   in Loop: Header=BB91_1 Depth=1
	s_or_b64 exec, exec, s[24:25]
	s_waitcnt lgkmcnt(0)
	s_barrier
	s_and_saveexec_b64 s[24:25], s[12:13]
	s_cbranch_execz .LBB91_17
; %bb.14:                               ;   in Loop: Header=BB91_1 Depth=1
	ds_read_b64 v[19:20], v0
	s_waitcnt lgkmcnt(0)
	s_nop 0
	v_mov_b32_dpp v21, v19 row_shr:1 row_mask:0xf bank_mask:0xf
	v_mov_b32_dpp v22, v20 row_shr:1 row_mask:0xf bank_mask:0xf
	s_and_saveexec_b64 s[28:29], s[20:21]
; %bb.15:                               ;   in Loop: Header=BB91_1 Depth=1
	v_add_f64 v[19:20], v[19:20], v[21:22]
; %bb.16:                               ;   in Loop: Header=BB91_1 Depth=1
	s_or_b64 exec, exec, s[28:29]
	s_nop 0
	v_mov_b32_dpp v21, v19 row_shr:2 row_mask:0xf bank_mask:0xf
	v_mov_b32_dpp v22, v20 row_shr:2 row_mask:0xf bank_mask:0xf
	v_add_f64 v[21:22], v[19:20], v[21:22]
	v_cndmask_b32_e64 v20, v20, v22, s[22:23]
	v_cndmask_b32_e64 v19, v19, v21, s[22:23]
	ds_write_b64 v0, v[19:20]
.LBB91_17:                              ;   in Loop: Header=BB91_1 Depth=1
	s_or_b64 exec, exec, s[24:25]
	s_waitcnt lgkmcnt(0)
	s_barrier
                                        ; implicit-def: $vgpr19_vgpr20
	s_and_saveexec_b64 s[24:25], s[14:15]
	s_cbranch_execz .LBB91_19
; %bb.18:                               ;   in Loop: Header=BB91_1 Depth=1
	ds_read_b64 v[19:20], v25
	s_waitcnt lgkmcnt(0)
	v_add_f64 v[17:18], v[17:18], v[19:20]
.LBB91_19:                              ;   in Loop: Header=BB91_1 Depth=1
	s_or_b64 exec, exec, s[24:25]
	ds_bpermute_b32 v17, v23, v17
	ds_bpermute_b32 v18, v23, v18
	s_and_saveexec_b64 s[24:25], s[18:19]
	s_cbranch_execz .LBB91_21
; %bb.20:                               ;   in Loop: Header=BB91_1 Depth=1
	s_waitcnt lgkmcnt(0)
	v_cndmask_b32_e64 v14, v18, v20, s[16:17]
	v_cndmask_b32_e64 v13, v17, v19, s[16:17]
	v_add_f64 v[7:8], v[7:8], v[13:14]
	v_add_f64 v[15:16], v[9:10], v[7:8]
	v_add_f64 v[13:14], v[11:12], v[15:16]
.LBB91_21:                              ;   in Loop: Header=BB91_1 Depth=1
	s_or_b64 exec, exec, s[24:25]
	s_add_i32 s30, s30, -1
	s_cmp_lg_u32 s30, 0
	s_cbranch_scc0 .LBB91_23
; %bb.22:                               ;   in Loop: Header=BB91_1 Depth=1
	v_mov_b32_e32 v9, v15
	v_mov_b32_e32 v11, v13
	;; [unrolled: 1-line block ×4, first 2 shown]
	s_branch .LBB91_1
.LBB91_23:
	v_mov_b32_e32 v9, s27
	v_add_co_u32_e32 v0, vcc, s26, v1
	v_addc_co_u32_e32 v1, vcc, v9, v2, vcc
	global_store_dwordx2 v[0:1], v[7:8], off
	v_mov_b32_e32 v1, s27
	v_add_co_u32_e32 v0, vcc, s26, v3
	v_addc_co_u32_e32 v1, vcc, v1, v4, vcc
	global_store_dwordx2 v[0:1], v[15:16], off
	;; [unrolled: 4-line block ×3, first 2 shown]
	s_endpgm
	.section	.rodata,"a",@progbits
	.p2align	6, 0x0
	.amdhsa_kernel _Z6kernelI14inclusive_scanILN6hipcub18BlockScanAlgorithmE0EEdLj256ELj3ELj100EEvPKT0_PS4_S4_
		.amdhsa_group_segment_fixed_size 32
		.amdhsa_private_segment_fixed_size 0
		.amdhsa_kernarg_size 280
		.amdhsa_user_sgpr_count 6
		.amdhsa_user_sgpr_private_segment_buffer 1
		.amdhsa_user_sgpr_dispatch_ptr 0
		.amdhsa_user_sgpr_queue_ptr 0
		.amdhsa_user_sgpr_kernarg_segment_ptr 1
		.amdhsa_user_sgpr_dispatch_id 0
		.amdhsa_user_sgpr_flat_scratch_init 0
		.amdhsa_user_sgpr_private_segment_size 0
		.amdhsa_uses_dynamic_stack 0
		.amdhsa_system_sgpr_private_segment_wavefront_offset 0
		.amdhsa_system_sgpr_workgroup_id_x 1
		.amdhsa_system_sgpr_workgroup_id_y 0
		.amdhsa_system_sgpr_workgroup_id_z 0
		.amdhsa_system_sgpr_workgroup_info 0
		.amdhsa_system_vgpr_workitem_id 0
		.amdhsa_next_free_vgpr 26
		.amdhsa_next_free_sgpr 31
		.amdhsa_reserve_vcc 1
		.amdhsa_reserve_flat_scratch 0
		.amdhsa_float_round_mode_32 0
		.amdhsa_float_round_mode_16_64 0
		.amdhsa_float_denorm_mode_32 3
		.amdhsa_float_denorm_mode_16_64 3
		.amdhsa_dx10_clamp 1
		.amdhsa_ieee_mode 1
		.amdhsa_fp16_overflow 0
		.amdhsa_exception_fp_ieee_invalid_op 0
		.amdhsa_exception_fp_denorm_src 0
		.amdhsa_exception_fp_ieee_div_zero 0
		.amdhsa_exception_fp_ieee_overflow 0
		.amdhsa_exception_fp_ieee_underflow 0
		.amdhsa_exception_fp_ieee_inexact 0
		.amdhsa_exception_int_div_zero 0
	.end_amdhsa_kernel
	.section	.text._Z6kernelI14inclusive_scanILN6hipcub18BlockScanAlgorithmE0EEdLj256ELj3ELj100EEvPKT0_PS4_S4_,"axG",@progbits,_Z6kernelI14inclusive_scanILN6hipcub18BlockScanAlgorithmE0EEdLj256ELj3ELj100EEvPKT0_PS4_S4_,comdat
.Lfunc_end91:
	.size	_Z6kernelI14inclusive_scanILN6hipcub18BlockScanAlgorithmE0EEdLj256ELj3ELj100EEvPKT0_PS4_S4_, .Lfunc_end91-_Z6kernelI14inclusive_scanILN6hipcub18BlockScanAlgorithmE0EEdLj256ELj3ELj100EEvPKT0_PS4_S4_
                                        ; -- End function
	.set _Z6kernelI14inclusive_scanILN6hipcub18BlockScanAlgorithmE0EEdLj256ELj3ELj100EEvPKT0_PS4_S4_.num_vgpr, 26
	.set _Z6kernelI14inclusive_scanILN6hipcub18BlockScanAlgorithmE0EEdLj256ELj3ELj100EEvPKT0_PS4_S4_.num_agpr, 0
	.set _Z6kernelI14inclusive_scanILN6hipcub18BlockScanAlgorithmE0EEdLj256ELj3ELj100EEvPKT0_PS4_S4_.numbered_sgpr, 31
	.set _Z6kernelI14inclusive_scanILN6hipcub18BlockScanAlgorithmE0EEdLj256ELj3ELj100EEvPKT0_PS4_S4_.num_named_barrier, 0
	.set _Z6kernelI14inclusive_scanILN6hipcub18BlockScanAlgorithmE0EEdLj256ELj3ELj100EEvPKT0_PS4_S4_.private_seg_size, 0
	.set _Z6kernelI14inclusive_scanILN6hipcub18BlockScanAlgorithmE0EEdLj256ELj3ELj100EEvPKT0_PS4_S4_.uses_vcc, 1
	.set _Z6kernelI14inclusive_scanILN6hipcub18BlockScanAlgorithmE0EEdLj256ELj3ELj100EEvPKT0_PS4_S4_.uses_flat_scratch, 0
	.set _Z6kernelI14inclusive_scanILN6hipcub18BlockScanAlgorithmE0EEdLj256ELj3ELj100EEvPKT0_PS4_S4_.has_dyn_sized_stack, 0
	.set _Z6kernelI14inclusive_scanILN6hipcub18BlockScanAlgorithmE0EEdLj256ELj3ELj100EEvPKT0_PS4_S4_.has_recursion, 0
	.set _Z6kernelI14inclusive_scanILN6hipcub18BlockScanAlgorithmE0EEdLj256ELj3ELj100EEvPKT0_PS4_S4_.has_indirect_call, 0
	.section	.AMDGPU.csdata,"",@progbits
; Kernel info:
; codeLenInByte = 972
; TotalNumSgprs: 35
; NumVgprs: 26
; ScratchSize: 0
; MemoryBound: 0
; FloatMode: 240
; IeeeMode: 1
; LDSByteSize: 32 bytes/workgroup (compile time only)
; SGPRBlocks: 4
; VGPRBlocks: 6
; NumSGPRsForWavesPerEU: 35
; NumVGPRsForWavesPerEU: 26
; Occupancy: 9
; WaveLimiterHint : 0
; COMPUTE_PGM_RSRC2:SCRATCH_EN: 0
; COMPUTE_PGM_RSRC2:USER_SGPR: 6
; COMPUTE_PGM_RSRC2:TRAP_HANDLER: 0
; COMPUTE_PGM_RSRC2:TGID_X_EN: 1
; COMPUTE_PGM_RSRC2:TGID_Y_EN: 0
; COMPUTE_PGM_RSRC2:TGID_Z_EN: 0
; COMPUTE_PGM_RSRC2:TIDIG_COMP_CNT: 0
	.section	.text._Z6kernelI14inclusive_scanILN6hipcub18BlockScanAlgorithmE0EEdLj256ELj4ELj100EEvPKT0_PS4_S4_,"axG",@progbits,_Z6kernelI14inclusive_scanILN6hipcub18BlockScanAlgorithmE0EEdLj256ELj4ELj100EEvPKT0_PS4_S4_,comdat
	.protected	_Z6kernelI14inclusive_scanILN6hipcub18BlockScanAlgorithmE0EEdLj256ELj4ELj100EEvPKT0_PS4_S4_ ; -- Begin function _Z6kernelI14inclusive_scanILN6hipcub18BlockScanAlgorithmE0EEdLj256ELj4ELj100EEvPKT0_PS4_S4_
	.globl	_Z6kernelI14inclusive_scanILN6hipcub18BlockScanAlgorithmE0EEdLj256ELj4ELj100EEvPKT0_PS4_S4_
	.p2align	8
	.type	_Z6kernelI14inclusive_scanILN6hipcub18BlockScanAlgorithmE0EEdLj256ELj4ELj100EEvPKT0_PS4_S4_,@function
_Z6kernelI14inclusive_scanILN6hipcub18BlockScanAlgorithmE0EEdLj256ELj4ELj100EEvPKT0_PS4_S4_: ; @_Z6kernelI14inclusive_scanILN6hipcub18BlockScanAlgorithmE0EEdLj256ELj4ELj100EEvPKT0_PS4_S4_
; %bb.0:
	s_load_dword s0, s[4:5], 0x24
	s_load_dwordx4 s[24:27], s[4:5], 0x0
	v_mov_b32_e32 v2, 0
	v_cmp_gt_u32_e64 s[12:13], 4, v0
	v_cmp_lt_u32_e64 s[14:15], 63, v0
	s_waitcnt lgkmcnt(0)
	s_and_b32 s0, s0, 0xffff
	s_mul_i32 s6, s6, s0
	v_add_lshl_u32 v1, s6, v0, 2
	v_lshlrev_b64 v[13:14], 3, v[1:2]
	v_mov_b32_e32 v1, s25
	v_add_co_u32_e32 v9, vcc, s24, v13
	v_addc_co_u32_e32 v10, vcc, v1, v14, vcc
	global_load_dwordx4 v[5:8], v[9:10], off offset:16
	global_load_dwordx4 v[1:4], v[9:10], off
	v_mbcnt_lo_u32_b32 v9, -1, 0
	v_mbcnt_hi_u32_b32 v9, -1, v9
	v_and_b32_e32 v10, 15, v9
	v_cmp_ne_u32_e32 vcc, 0, v10
	v_cmp_lt_u32_e64 s[0:1], 1, v10
	v_cmp_lt_u32_e64 s[2:3], 3, v10
	;; [unrolled: 1-line block ×3, first 2 shown]
	v_and_b32_e32 v10, 16, v9
	v_cmp_ne_u32_e64 s[6:7], 0, v10
	v_or_b32_e32 v10, 63, v0
	v_cmp_eq_u32_e64 s[10:11], v0, v10
	v_subrev_co_u32_e64 v10, s[16:17], 1, v9
	v_and_b32_e32 v11, 64, v9
	v_cmp_lt_i32_e64 s[18:19], v10, v11
	v_cndmask_b32_e64 v10, v10, v9, s[18:19]
	v_lshlrev_b32_e32 v23, 2, v10
	v_lshrrev_b32_e32 v10, 3, v0
	v_cmp_lt_u32_e64 s[8:9], 31, v9
	v_and_b32_e32 v24, 24, v10
	v_and_b32_e32 v9, 3, v9
	v_cmp_ne_u32_e64 s[18:19], 0, v0
	v_lshlrev_b32_e32 v0, 3, v0
	v_cmp_ne_u32_e64 s[20:21], 0, v9
	v_cmp_lt_u32_e64 s[22:23], 1, v9
	v_add_u32_e32 v25, -8, v24
	s_movk_i32 s30, 0x64
.LBB92_1:                               ; =>This Inner Loop Header: Depth=1
	s_waitcnt vmcnt(0)
	v_add_f64 v[15:16], v[1:2], v[3:4]
	v_add_f64 v[9:10], v[5:6], v[15:16]
	;; [unrolled: 1-line block ×3, first 2 shown]
	s_waitcnt lgkmcnt(0)
	v_mov_b32_e32 v18, v12
	v_mov_b32_dpp v21, v11 row_shr:1 row_mask:0xf bank_mask:0xf
	v_mov_b32_dpp v22, v12 row_shr:1 row_mask:0xf bank_mask:0xf
	v_mov_b32_e32 v17, v11
	v_mov_b32_e32 v20, v12
	;; [unrolled: 1-line block ×3, first 2 shown]
	s_and_saveexec_b64 s[24:25], vcc
	s_cbranch_execz .LBB92_3
; %bb.2:                                ;   in Loop: Header=BB92_1 Depth=1
	v_add_f64 v[17:18], v[11:12], v[21:22]
	v_mov_b32_e32 v20, v18
	v_mov_b32_e32 v19, v17
.LBB92_3:                               ;   in Loop: Header=BB92_1 Depth=1
	s_or_b64 exec, exec, s[24:25]
	s_nop 0
	v_mov_b32_dpp v21, v19 row_shr:2 row_mask:0xf bank_mask:0xf
	v_mov_b32_dpp v22, v20 row_shr:2 row_mask:0xf bank_mask:0xf
	s_and_saveexec_b64 s[24:25], s[0:1]
	s_cbranch_execz .LBB92_5
; %bb.4:                                ;   in Loop: Header=BB92_1 Depth=1
	v_add_f64 v[19:20], v[17:18], v[21:22]
	v_mov_b32_e32 v17, v19
	v_mov_b32_e32 v18, v20
.LBB92_5:                               ;   in Loop: Header=BB92_1 Depth=1
	s_or_b64 exec, exec, s[24:25]
	v_mov_b32_dpp v21, v19 row_shr:4 row_mask:0xf bank_mask:0xf
	v_mov_b32_dpp v22, v20 row_shr:4 row_mask:0xf bank_mask:0xf
	s_and_saveexec_b64 s[24:25], s[2:3]
	s_cbranch_execz .LBB92_7
; %bb.6:                                ;   in Loop: Header=BB92_1 Depth=1
	v_add_f64 v[19:20], v[17:18], v[21:22]
	v_mov_b32_e32 v17, v19
	v_mov_b32_e32 v18, v20
.LBB92_7:                               ;   in Loop: Header=BB92_1 Depth=1
	s_or_b64 exec, exec, s[24:25]
	;; [unrolled: 10-line block ×3, first 2 shown]
	v_mov_b32_dpp v21, v19 row_bcast:15 row_mask:0xf bank_mask:0xf
	v_mov_b32_dpp v22, v20 row_bcast:15 row_mask:0xf bank_mask:0xf
	s_and_saveexec_b64 s[24:25], s[6:7]
	s_cbranch_execz .LBB92_11
; %bb.10:                               ;   in Loop: Header=BB92_1 Depth=1
	v_add_f64 v[17:18], v[17:18], v[21:22]
	v_mov_b32_e32 v20, v18
	v_mov_b32_e32 v19, v17
.LBB92_11:                              ;   in Loop: Header=BB92_1 Depth=1
	s_or_b64 exec, exec, s[24:25]
	s_nop 0
	v_mov_b32_dpp v19, v19 row_bcast:31 row_mask:0xf bank_mask:0xf
	v_mov_b32_dpp v20, v20 row_bcast:31 row_mask:0xf bank_mask:0xf
	v_add_f64 v[19:20], v[17:18], v[19:20]
	v_cndmask_b32_e64 v18, v18, v20, s[8:9]
	v_cndmask_b32_e64 v17, v17, v19, s[8:9]
	s_and_saveexec_b64 s[24:25], s[10:11]
; %bb.12:                               ;   in Loop: Header=BB92_1 Depth=1
	ds_write_b64 v24, v[17:18]
; %bb.13:                               ;   in Loop: Header=BB92_1 Depth=1
	s_or_b64 exec, exec, s[24:25]
	s_waitcnt lgkmcnt(0)
	s_barrier
	s_and_saveexec_b64 s[24:25], s[12:13]
	s_cbranch_execz .LBB92_17
; %bb.14:                               ;   in Loop: Header=BB92_1 Depth=1
	ds_read_b64 v[19:20], v0
	s_waitcnt lgkmcnt(0)
	s_nop 0
	v_mov_b32_dpp v21, v19 row_shr:1 row_mask:0xf bank_mask:0xf
	v_mov_b32_dpp v22, v20 row_shr:1 row_mask:0xf bank_mask:0xf
	s_and_saveexec_b64 s[28:29], s[20:21]
; %bb.15:                               ;   in Loop: Header=BB92_1 Depth=1
	v_add_f64 v[19:20], v[19:20], v[21:22]
; %bb.16:                               ;   in Loop: Header=BB92_1 Depth=1
	s_or_b64 exec, exec, s[28:29]
	s_nop 0
	v_mov_b32_dpp v21, v19 row_shr:2 row_mask:0xf bank_mask:0xf
	v_mov_b32_dpp v22, v20 row_shr:2 row_mask:0xf bank_mask:0xf
	v_add_f64 v[21:22], v[19:20], v[21:22]
	v_cndmask_b32_e64 v20, v20, v22, s[22:23]
	v_cndmask_b32_e64 v19, v19, v21, s[22:23]
	ds_write_b64 v0, v[19:20]
.LBB92_17:                              ;   in Loop: Header=BB92_1 Depth=1
	s_or_b64 exec, exec, s[24:25]
	s_waitcnt lgkmcnt(0)
	s_barrier
                                        ; implicit-def: $vgpr19_vgpr20
	s_and_saveexec_b64 s[24:25], s[14:15]
	s_cbranch_execz .LBB92_19
; %bb.18:                               ;   in Loop: Header=BB92_1 Depth=1
	ds_read_b64 v[19:20], v25
	s_waitcnt lgkmcnt(0)
	v_add_f64 v[17:18], v[17:18], v[19:20]
.LBB92_19:                              ;   in Loop: Header=BB92_1 Depth=1
	s_or_b64 exec, exec, s[24:25]
	ds_bpermute_b32 v17, v23, v17
	ds_bpermute_b32 v18, v23, v18
	s_and_saveexec_b64 s[24:25], s[18:19]
	s_cbranch_execz .LBB92_21
; %bb.20:                               ;   in Loop: Header=BB92_1 Depth=1
	s_waitcnt lgkmcnt(0)
	v_cndmask_b32_e64 v10, v18, v20, s[16:17]
	v_cndmask_b32_e64 v9, v17, v19, s[16:17]
	v_add_f64 v[1:2], v[1:2], v[9:10]
	v_add_f64 v[15:16], v[3:4], v[1:2]
	;; [unrolled: 1-line block ×4, first 2 shown]
.LBB92_21:                              ;   in Loop: Header=BB92_1 Depth=1
	s_or_b64 exec, exec, s[24:25]
	s_add_i32 s30, s30, -1
	s_cmp_lg_u32 s30, 0
	s_cbranch_scc0 .LBB92_23
; %bb.22:                               ;   in Loop: Header=BB92_1 Depth=1
	v_mov_b32_e32 v3, v15
	v_mov_b32_e32 v5, v9
	;; [unrolled: 1-line block ×6, first 2 shown]
	s_branch .LBB92_1
.LBB92_23:
	v_mov_b32_e32 v0, s27
	v_add_co_u32_e32 v5, vcc, s26, v13
	v_addc_co_u32_e32 v6, vcc, v0, v14, vcc
	v_mov_b32_e32 v3, v15
	v_mov_b32_e32 v4, v16
	global_store_dwordx4 v[5:6], v[1:4], off
	global_store_dwordx4 v[5:6], v[9:12], off offset:16
	s_endpgm
	.section	.rodata,"a",@progbits
	.p2align	6, 0x0
	.amdhsa_kernel _Z6kernelI14inclusive_scanILN6hipcub18BlockScanAlgorithmE0EEdLj256ELj4ELj100EEvPKT0_PS4_S4_
		.amdhsa_group_segment_fixed_size 32
		.amdhsa_private_segment_fixed_size 0
		.amdhsa_kernarg_size 280
		.amdhsa_user_sgpr_count 6
		.amdhsa_user_sgpr_private_segment_buffer 1
		.amdhsa_user_sgpr_dispatch_ptr 0
		.amdhsa_user_sgpr_queue_ptr 0
		.amdhsa_user_sgpr_kernarg_segment_ptr 1
		.amdhsa_user_sgpr_dispatch_id 0
		.amdhsa_user_sgpr_flat_scratch_init 0
		.amdhsa_user_sgpr_private_segment_size 0
		.amdhsa_uses_dynamic_stack 0
		.amdhsa_system_sgpr_private_segment_wavefront_offset 0
		.amdhsa_system_sgpr_workgroup_id_x 1
		.amdhsa_system_sgpr_workgroup_id_y 0
		.amdhsa_system_sgpr_workgroup_id_z 0
		.amdhsa_system_sgpr_workgroup_info 0
		.amdhsa_system_vgpr_workitem_id 0
		.amdhsa_next_free_vgpr 26
		.amdhsa_next_free_sgpr 31
		.amdhsa_reserve_vcc 1
		.amdhsa_reserve_flat_scratch 0
		.amdhsa_float_round_mode_32 0
		.amdhsa_float_round_mode_16_64 0
		.amdhsa_float_denorm_mode_32 3
		.amdhsa_float_denorm_mode_16_64 3
		.amdhsa_dx10_clamp 1
		.amdhsa_ieee_mode 1
		.amdhsa_fp16_overflow 0
		.amdhsa_exception_fp_ieee_invalid_op 0
		.amdhsa_exception_fp_denorm_src 0
		.amdhsa_exception_fp_ieee_div_zero 0
		.amdhsa_exception_fp_ieee_overflow 0
		.amdhsa_exception_fp_ieee_underflow 0
		.amdhsa_exception_fp_ieee_inexact 0
		.amdhsa_exception_int_div_zero 0
	.end_amdhsa_kernel
	.section	.text._Z6kernelI14inclusive_scanILN6hipcub18BlockScanAlgorithmE0EEdLj256ELj4ELj100EEvPKT0_PS4_S4_,"axG",@progbits,_Z6kernelI14inclusive_scanILN6hipcub18BlockScanAlgorithmE0EEdLj256ELj4ELj100EEvPKT0_PS4_S4_,comdat
.Lfunc_end92:
	.size	_Z6kernelI14inclusive_scanILN6hipcub18BlockScanAlgorithmE0EEdLj256ELj4ELj100EEvPKT0_PS4_S4_, .Lfunc_end92-_Z6kernelI14inclusive_scanILN6hipcub18BlockScanAlgorithmE0EEdLj256ELj4ELj100EEvPKT0_PS4_S4_
                                        ; -- End function
	.set _Z6kernelI14inclusive_scanILN6hipcub18BlockScanAlgorithmE0EEdLj256ELj4ELj100EEvPKT0_PS4_S4_.num_vgpr, 26
	.set _Z6kernelI14inclusive_scanILN6hipcub18BlockScanAlgorithmE0EEdLj256ELj4ELj100EEvPKT0_PS4_S4_.num_agpr, 0
	.set _Z6kernelI14inclusive_scanILN6hipcub18BlockScanAlgorithmE0EEdLj256ELj4ELj100EEvPKT0_PS4_S4_.numbered_sgpr, 31
	.set _Z6kernelI14inclusive_scanILN6hipcub18BlockScanAlgorithmE0EEdLj256ELj4ELj100EEvPKT0_PS4_S4_.num_named_barrier, 0
	.set _Z6kernelI14inclusive_scanILN6hipcub18BlockScanAlgorithmE0EEdLj256ELj4ELj100EEvPKT0_PS4_S4_.private_seg_size, 0
	.set _Z6kernelI14inclusive_scanILN6hipcub18BlockScanAlgorithmE0EEdLj256ELj4ELj100EEvPKT0_PS4_S4_.uses_vcc, 1
	.set _Z6kernelI14inclusive_scanILN6hipcub18BlockScanAlgorithmE0EEdLj256ELj4ELj100EEvPKT0_PS4_S4_.uses_flat_scratch, 0
	.set _Z6kernelI14inclusive_scanILN6hipcub18BlockScanAlgorithmE0EEdLj256ELj4ELj100EEvPKT0_PS4_S4_.has_dyn_sized_stack, 0
	.set _Z6kernelI14inclusive_scanILN6hipcub18BlockScanAlgorithmE0EEdLj256ELj4ELj100EEvPKT0_PS4_S4_.has_recursion, 0
	.set _Z6kernelI14inclusive_scanILN6hipcub18BlockScanAlgorithmE0EEdLj256ELj4ELj100EEvPKT0_PS4_S4_.has_indirect_call, 0
	.section	.AMDGPU.csdata,"",@progbits
; Kernel info:
; codeLenInByte = 908
; TotalNumSgprs: 35
; NumVgprs: 26
; ScratchSize: 0
; MemoryBound: 0
; FloatMode: 240
; IeeeMode: 1
; LDSByteSize: 32 bytes/workgroup (compile time only)
; SGPRBlocks: 4
; VGPRBlocks: 6
; NumSGPRsForWavesPerEU: 35
; NumVGPRsForWavesPerEU: 26
; Occupancy: 9
; WaveLimiterHint : 0
; COMPUTE_PGM_RSRC2:SCRATCH_EN: 0
; COMPUTE_PGM_RSRC2:USER_SGPR: 6
; COMPUTE_PGM_RSRC2:TRAP_HANDLER: 0
; COMPUTE_PGM_RSRC2:TGID_X_EN: 1
; COMPUTE_PGM_RSRC2:TGID_Y_EN: 0
; COMPUTE_PGM_RSRC2:TGID_Z_EN: 0
; COMPUTE_PGM_RSRC2:TIDIG_COMP_CNT: 0
	.section	.text._Z6kernelI14inclusive_scanILN6hipcub18BlockScanAlgorithmE0EEdLj256ELj8ELj100EEvPKT0_PS4_S4_,"axG",@progbits,_Z6kernelI14inclusive_scanILN6hipcub18BlockScanAlgorithmE0EEdLj256ELj8ELj100EEvPKT0_PS4_S4_,comdat
	.protected	_Z6kernelI14inclusive_scanILN6hipcub18BlockScanAlgorithmE0EEdLj256ELj8ELj100EEvPKT0_PS4_S4_ ; -- Begin function _Z6kernelI14inclusive_scanILN6hipcub18BlockScanAlgorithmE0EEdLj256ELj8ELj100EEvPKT0_PS4_S4_
	.globl	_Z6kernelI14inclusive_scanILN6hipcub18BlockScanAlgorithmE0EEdLj256ELj8ELj100EEvPKT0_PS4_S4_
	.p2align	8
	.type	_Z6kernelI14inclusive_scanILN6hipcub18BlockScanAlgorithmE0EEdLj256ELj8ELj100EEvPKT0_PS4_S4_,@function
_Z6kernelI14inclusive_scanILN6hipcub18BlockScanAlgorithmE0EEdLj256ELj8ELj100EEvPKT0_PS4_S4_: ; @_Z6kernelI14inclusive_scanILN6hipcub18BlockScanAlgorithmE0EEdLj256ELj8ELj100EEvPKT0_PS4_S4_
; %bb.0:
	s_load_dword s0, s[4:5], 0x24
	s_load_dwordx4 s[24:27], s[4:5], 0x0
	v_mov_b32_e32 v2, 0
	v_cmp_gt_u32_e64 s[12:13], 4, v0
	v_cmp_lt_u32_e64 s[14:15], 63, v0
	s_waitcnt lgkmcnt(0)
	s_and_b32 s0, s0, 0xffff
	s_mul_i32 s6, s6, s0
	v_add_lshl_u32 v1, s6, v0, 3
	v_lshlrev_b64 v[29:30], 3, v[1:2]
	v_mov_b32_e32 v1, s25
	v_add_co_u32_e32 v17, vcc, s24, v29
	v_addc_co_u32_e32 v18, vcc, v1, v30, vcc
	global_load_dwordx4 v[1:4], v[17:18], off offset:48
	global_load_dwordx4 v[5:8], v[17:18], off offset:32
	;; [unrolled: 1-line block ×3, first 2 shown]
	global_load_dwordx4 v[9:12], v[17:18], off
	v_mbcnt_lo_u32_b32 v17, -1, 0
	v_mbcnt_hi_u32_b32 v17, -1, v17
	v_and_b32_e32 v18, 15, v17
	v_cmp_ne_u32_e32 vcc, 0, v18
	v_cmp_lt_u32_e64 s[0:1], 1, v18
	v_cmp_lt_u32_e64 s[2:3], 3, v18
	;; [unrolled: 1-line block ×3, first 2 shown]
	v_and_b32_e32 v18, 16, v17
	v_cmp_ne_u32_e64 s[6:7], 0, v18
	v_or_b32_e32 v18, 63, v0
	v_cmp_eq_u32_e64 s[10:11], v0, v18
	v_subrev_co_u32_e64 v18, s[16:17], 1, v17
	v_and_b32_e32 v19, 64, v17
	v_cmp_lt_i32_e64 s[18:19], v18, v19
	v_cndmask_b32_e64 v18, v18, v17, s[18:19]
	v_lshlrev_b32_e32 v39, 2, v18
	v_lshrrev_b32_e32 v18, 3, v0
	v_cmp_lt_u32_e64 s[8:9], 31, v17
	v_and_b32_e32 v40, 24, v18
	v_and_b32_e32 v17, 3, v17
	v_cmp_ne_u32_e64 s[18:19], 0, v0
	v_lshlrev_b32_e32 v0, 3, v0
	v_cmp_ne_u32_e64 s[20:21], 0, v17
	v_cmp_lt_u32_e64 s[22:23], 1, v17
	v_add_u32_e32 v41, -8, v40
	s_movk_i32 s30, 0x64
.LBB93_1:                               ; =>This Inner Loop Header: Depth=1
	s_waitcnt vmcnt(0)
	v_add_f64 v[31:32], v[11:12], v[9:10]
	v_add_f64 v[17:18], v[13:14], v[31:32]
	;; [unrolled: 1-line block ×7, first 2 shown]
	s_waitcnt lgkmcnt(0)
	v_mov_b32_e32 v34, v28
	v_mov_b32_dpp v37, v27 row_shr:1 row_mask:0xf bank_mask:0xf
	v_mov_b32_dpp v38, v28 row_shr:1 row_mask:0xf bank_mask:0xf
	v_mov_b32_e32 v36, v28
	v_mov_b32_e32 v35, v27
	;; [unrolled: 1-line block ×3, first 2 shown]
	s_and_saveexec_b64 s[24:25], vcc
	s_cbranch_execz .LBB93_3
; %bb.2:                                ;   in Loop: Header=BB93_1 Depth=1
	v_add_f64 v[33:34], v[27:28], v[37:38]
	v_mov_b32_e32 v36, v34
	v_mov_b32_e32 v35, v33
.LBB93_3:                               ;   in Loop: Header=BB93_1 Depth=1
	s_or_b64 exec, exec, s[24:25]
	s_nop 0
	v_mov_b32_dpp v37, v35 row_shr:2 row_mask:0xf bank_mask:0xf
	v_mov_b32_dpp v38, v36 row_shr:2 row_mask:0xf bank_mask:0xf
	s_and_saveexec_b64 s[24:25], s[0:1]
	s_cbranch_execz .LBB93_5
; %bb.4:                                ;   in Loop: Header=BB93_1 Depth=1
	v_add_f64 v[35:36], v[33:34], v[37:38]
	v_mov_b32_e32 v33, v35
	v_mov_b32_e32 v34, v36
.LBB93_5:                               ;   in Loop: Header=BB93_1 Depth=1
	s_or_b64 exec, exec, s[24:25]
	v_mov_b32_dpp v37, v35 row_shr:4 row_mask:0xf bank_mask:0xf
	v_mov_b32_dpp v38, v36 row_shr:4 row_mask:0xf bank_mask:0xf
	s_and_saveexec_b64 s[24:25], s[2:3]
	s_cbranch_execz .LBB93_7
; %bb.6:                                ;   in Loop: Header=BB93_1 Depth=1
	v_add_f64 v[35:36], v[33:34], v[37:38]
	v_mov_b32_e32 v33, v35
	v_mov_b32_e32 v34, v36
.LBB93_7:                               ;   in Loop: Header=BB93_1 Depth=1
	s_or_b64 exec, exec, s[24:25]
	;; [unrolled: 10-line block ×3, first 2 shown]
	v_mov_b32_dpp v37, v35 row_bcast:15 row_mask:0xf bank_mask:0xf
	v_mov_b32_dpp v38, v36 row_bcast:15 row_mask:0xf bank_mask:0xf
	s_and_saveexec_b64 s[24:25], s[6:7]
	s_cbranch_execz .LBB93_11
; %bb.10:                               ;   in Loop: Header=BB93_1 Depth=1
	v_add_f64 v[33:34], v[33:34], v[37:38]
	v_mov_b32_e32 v36, v34
	v_mov_b32_e32 v35, v33
.LBB93_11:                              ;   in Loop: Header=BB93_1 Depth=1
	s_or_b64 exec, exec, s[24:25]
	s_nop 0
	v_mov_b32_dpp v35, v35 row_bcast:31 row_mask:0xf bank_mask:0xf
	v_mov_b32_dpp v36, v36 row_bcast:31 row_mask:0xf bank_mask:0xf
	v_add_f64 v[35:36], v[33:34], v[35:36]
	v_cndmask_b32_e64 v34, v34, v36, s[8:9]
	v_cndmask_b32_e64 v33, v33, v35, s[8:9]
	s_and_saveexec_b64 s[24:25], s[10:11]
; %bb.12:                               ;   in Loop: Header=BB93_1 Depth=1
	ds_write_b64 v40, v[33:34]
; %bb.13:                               ;   in Loop: Header=BB93_1 Depth=1
	s_or_b64 exec, exec, s[24:25]
	s_waitcnt lgkmcnt(0)
	s_barrier
	s_and_saveexec_b64 s[24:25], s[12:13]
	s_cbranch_execz .LBB93_17
; %bb.14:                               ;   in Loop: Header=BB93_1 Depth=1
	ds_read_b64 v[35:36], v0
	s_waitcnt lgkmcnt(0)
	s_nop 0
	v_mov_b32_dpp v37, v35 row_shr:1 row_mask:0xf bank_mask:0xf
	v_mov_b32_dpp v38, v36 row_shr:1 row_mask:0xf bank_mask:0xf
	s_and_saveexec_b64 s[28:29], s[20:21]
; %bb.15:                               ;   in Loop: Header=BB93_1 Depth=1
	v_add_f64 v[35:36], v[35:36], v[37:38]
; %bb.16:                               ;   in Loop: Header=BB93_1 Depth=1
	s_or_b64 exec, exec, s[28:29]
	s_nop 0
	v_mov_b32_dpp v37, v35 row_shr:2 row_mask:0xf bank_mask:0xf
	v_mov_b32_dpp v38, v36 row_shr:2 row_mask:0xf bank_mask:0xf
	v_add_f64 v[37:38], v[35:36], v[37:38]
	v_cndmask_b32_e64 v36, v36, v38, s[22:23]
	v_cndmask_b32_e64 v35, v35, v37, s[22:23]
	ds_write_b64 v0, v[35:36]
.LBB93_17:                              ;   in Loop: Header=BB93_1 Depth=1
	s_or_b64 exec, exec, s[24:25]
	s_waitcnt lgkmcnt(0)
	s_barrier
                                        ; implicit-def: $vgpr35_vgpr36
	s_and_saveexec_b64 s[24:25], s[14:15]
	s_cbranch_execz .LBB93_19
; %bb.18:                               ;   in Loop: Header=BB93_1 Depth=1
	ds_read_b64 v[35:36], v41
	s_waitcnt lgkmcnt(0)
	v_add_f64 v[33:34], v[33:34], v[35:36]
.LBB93_19:                              ;   in Loop: Header=BB93_1 Depth=1
	s_or_b64 exec, exec, s[24:25]
	ds_bpermute_b32 v33, v39, v33
	ds_bpermute_b32 v34, v39, v34
	s_and_saveexec_b64 s[24:25], s[18:19]
	s_cbranch_execz .LBB93_21
; %bb.20:                               ;   in Loop: Header=BB93_1 Depth=1
	s_waitcnt lgkmcnt(0)
	v_cndmask_b32_e64 v18, v34, v36, s[16:17]
	v_cndmask_b32_e64 v17, v33, v35, s[16:17]
	v_add_f64 v[9:10], v[9:10], v[17:18]
	v_add_f64 v[31:32], v[11:12], v[9:10]
	;; [unrolled: 1-line block ×8, first 2 shown]
.LBB93_21:                              ;   in Loop: Header=BB93_1 Depth=1
	s_or_b64 exec, exec, s[24:25]
	s_add_i32 s30, s30, -1
	s_cmp_lg_u32 s30, 0
	s_cbranch_scc0 .LBB93_23
; %bb.22:                               ;   in Loop: Header=BB93_1 Depth=1
	v_mov_b32_e32 v3, v27
	v_mov_b32_e32 v1, v25
	;; [unrolled: 1-line block ×14, first 2 shown]
	s_branch .LBB93_1
.LBB93_23:
	v_mov_b32_e32 v1, s27
	v_add_co_u32_e32 v0, vcc, s26, v29
	v_addc_co_u32_e32 v1, vcc, v1, v30, vcc
	v_mov_b32_e32 v11, v31
	v_mov_b32_e32 v12, v32
	global_store_dwordx4 v[0:1], v[9:12], off
	global_store_dwordx4 v[0:1], v[17:20], off offset:16
	global_store_dwordx4 v[0:1], v[21:24], off offset:32
	global_store_dwordx4 v[0:1], v[25:28], off offset:48
	s_endpgm
	.section	.rodata,"a",@progbits
	.p2align	6, 0x0
	.amdhsa_kernel _Z6kernelI14inclusive_scanILN6hipcub18BlockScanAlgorithmE0EEdLj256ELj8ELj100EEvPKT0_PS4_S4_
		.amdhsa_group_segment_fixed_size 32
		.amdhsa_private_segment_fixed_size 0
		.amdhsa_kernarg_size 280
		.amdhsa_user_sgpr_count 6
		.amdhsa_user_sgpr_private_segment_buffer 1
		.amdhsa_user_sgpr_dispatch_ptr 0
		.amdhsa_user_sgpr_queue_ptr 0
		.amdhsa_user_sgpr_kernarg_segment_ptr 1
		.amdhsa_user_sgpr_dispatch_id 0
		.amdhsa_user_sgpr_flat_scratch_init 0
		.amdhsa_user_sgpr_private_segment_size 0
		.amdhsa_uses_dynamic_stack 0
		.amdhsa_system_sgpr_private_segment_wavefront_offset 0
		.amdhsa_system_sgpr_workgroup_id_x 1
		.amdhsa_system_sgpr_workgroup_id_y 0
		.amdhsa_system_sgpr_workgroup_id_z 0
		.amdhsa_system_sgpr_workgroup_info 0
		.amdhsa_system_vgpr_workitem_id 0
		.amdhsa_next_free_vgpr 42
		.amdhsa_next_free_sgpr 31
		.amdhsa_reserve_vcc 1
		.amdhsa_reserve_flat_scratch 0
		.amdhsa_float_round_mode_32 0
		.amdhsa_float_round_mode_16_64 0
		.amdhsa_float_denorm_mode_32 3
		.amdhsa_float_denorm_mode_16_64 3
		.amdhsa_dx10_clamp 1
		.amdhsa_ieee_mode 1
		.amdhsa_fp16_overflow 0
		.amdhsa_exception_fp_ieee_invalid_op 0
		.amdhsa_exception_fp_denorm_src 0
		.amdhsa_exception_fp_ieee_div_zero 0
		.amdhsa_exception_fp_ieee_overflow 0
		.amdhsa_exception_fp_ieee_underflow 0
		.amdhsa_exception_fp_ieee_inexact 0
		.amdhsa_exception_int_div_zero 0
	.end_amdhsa_kernel
	.section	.text._Z6kernelI14inclusive_scanILN6hipcub18BlockScanAlgorithmE0EEdLj256ELj8ELj100EEvPKT0_PS4_S4_,"axG",@progbits,_Z6kernelI14inclusive_scanILN6hipcub18BlockScanAlgorithmE0EEdLj256ELj8ELj100EEvPKT0_PS4_S4_,comdat
.Lfunc_end93:
	.size	_Z6kernelI14inclusive_scanILN6hipcub18BlockScanAlgorithmE0EEdLj256ELj8ELj100EEvPKT0_PS4_S4_, .Lfunc_end93-_Z6kernelI14inclusive_scanILN6hipcub18BlockScanAlgorithmE0EEdLj256ELj8ELj100EEvPKT0_PS4_S4_
                                        ; -- End function
	.set _Z6kernelI14inclusive_scanILN6hipcub18BlockScanAlgorithmE0EEdLj256ELj8ELj100EEvPKT0_PS4_S4_.num_vgpr, 42
	.set _Z6kernelI14inclusive_scanILN6hipcub18BlockScanAlgorithmE0EEdLj256ELj8ELj100EEvPKT0_PS4_S4_.num_agpr, 0
	.set _Z6kernelI14inclusive_scanILN6hipcub18BlockScanAlgorithmE0EEdLj256ELj8ELj100EEvPKT0_PS4_S4_.numbered_sgpr, 31
	.set _Z6kernelI14inclusive_scanILN6hipcub18BlockScanAlgorithmE0EEdLj256ELj8ELj100EEvPKT0_PS4_S4_.num_named_barrier, 0
	.set _Z6kernelI14inclusive_scanILN6hipcub18BlockScanAlgorithmE0EEdLj256ELj8ELj100EEvPKT0_PS4_S4_.private_seg_size, 0
	.set _Z6kernelI14inclusive_scanILN6hipcub18BlockScanAlgorithmE0EEdLj256ELj8ELj100EEvPKT0_PS4_S4_.uses_vcc, 1
	.set _Z6kernelI14inclusive_scanILN6hipcub18BlockScanAlgorithmE0EEdLj256ELj8ELj100EEvPKT0_PS4_S4_.uses_flat_scratch, 0
	.set _Z6kernelI14inclusive_scanILN6hipcub18BlockScanAlgorithmE0EEdLj256ELj8ELj100EEvPKT0_PS4_S4_.has_dyn_sized_stack, 0
	.set _Z6kernelI14inclusive_scanILN6hipcub18BlockScanAlgorithmE0EEdLj256ELj8ELj100EEvPKT0_PS4_S4_.has_recursion, 0
	.set _Z6kernelI14inclusive_scanILN6hipcub18BlockScanAlgorithmE0EEdLj256ELj8ELj100EEvPKT0_PS4_S4_.has_indirect_call, 0
	.section	.AMDGPU.csdata,"",@progbits
; Kernel info:
; codeLenInByte = 1036
; TotalNumSgprs: 35
; NumVgprs: 42
; ScratchSize: 0
; MemoryBound: 0
; FloatMode: 240
; IeeeMode: 1
; LDSByteSize: 32 bytes/workgroup (compile time only)
; SGPRBlocks: 4
; VGPRBlocks: 10
; NumSGPRsForWavesPerEU: 35
; NumVGPRsForWavesPerEU: 42
; Occupancy: 5
; WaveLimiterHint : 0
; COMPUTE_PGM_RSRC2:SCRATCH_EN: 0
; COMPUTE_PGM_RSRC2:USER_SGPR: 6
; COMPUTE_PGM_RSRC2:TRAP_HANDLER: 0
; COMPUTE_PGM_RSRC2:TGID_X_EN: 1
; COMPUTE_PGM_RSRC2:TGID_Y_EN: 0
; COMPUTE_PGM_RSRC2:TGID_Z_EN: 0
; COMPUTE_PGM_RSRC2:TIDIG_COMP_CNT: 0
	.section	.text._Z6kernelI14inclusive_scanILN6hipcub18BlockScanAlgorithmE0EEdLj256ELj11ELj100EEvPKT0_PS4_S4_,"axG",@progbits,_Z6kernelI14inclusive_scanILN6hipcub18BlockScanAlgorithmE0EEdLj256ELj11ELj100EEvPKT0_PS4_S4_,comdat
	.protected	_Z6kernelI14inclusive_scanILN6hipcub18BlockScanAlgorithmE0EEdLj256ELj11ELj100EEvPKT0_PS4_S4_ ; -- Begin function _Z6kernelI14inclusive_scanILN6hipcub18BlockScanAlgorithmE0EEdLj256ELj11ELj100EEvPKT0_PS4_S4_
	.globl	_Z6kernelI14inclusive_scanILN6hipcub18BlockScanAlgorithmE0EEdLj256ELj11ELj100EEvPKT0_PS4_S4_
	.p2align	8
	.type	_Z6kernelI14inclusive_scanILN6hipcub18BlockScanAlgorithmE0EEdLj256ELj11ELj100EEvPKT0_PS4_S4_,@function
_Z6kernelI14inclusive_scanILN6hipcub18BlockScanAlgorithmE0EEdLj256ELj11ELj100EEvPKT0_PS4_S4_: ; @_Z6kernelI14inclusive_scanILN6hipcub18BlockScanAlgorithmE0EEdLj256ELj11ELj100EEvPKT0_PS4_S4_
; %bb.0:
	s_load_dword s0, s[4:5], 0x24
	s_load_dwordx4 s[24:27], s[4:5], 0x0
	v_mov_b32_e32 v22, 0
	v_mov_b32_e32 v4, v22
	v_mov_b32_e32 v6, v22
	s_waitcnt lgkmcnt(0)
	s_and_b32 s0, s0, 0xffff
	s_mul_i32 s6, s6, s0
	v_add_u32_e32 v1, s6, v0
	v_mul_lo_u32 v21, v1, 11
	v_mov_b32_e32 v3, s25
	v_mov_b32_e32 v5, s25
	;; [unrolled: 1-line block ×3, first 2 shown]
	v_lshlrev_b64 v[1:2], 3, v[21:22]
	v_mov_b32_e32 v8, v22
	v_add_co_u32_e32 v25, vcc, s24, v1
	v_addc_co_u32_e32 v26, vcc, v3, v2, vcc
	v_add_u32_e32 v3, 1, v21
	v_lshlrev_b64 v[3:4], 3, v[3:4]
	v_mov_b32_e32 v9, s25
	v_add_co_u32_e32 v27, vcc, s24, v3
	v_addc_co_u32_e32 v28, vcc, v5, v4, vcc
	v_add_u32_e32 v5, 2, v21
	;; [unrolled: 5-line block ×6, first 2 shown]
	v_mov_b32_e32 v14, v22
	v_lshlrev_b64 v[13:14], 3, v[13:14]
	v_mov_b32_e32 v15, s25
	v_add_co_u32_e32 v57, vcc, s24, v13
	v_addc_co_u32_e32 v58, vcc, v15, v14, vcc
	v_add_u32_e32 v15, 7, v21
	v_mov_b32_e32 v16, v22
	v_lshlrev_b64 v[15:16], 3, v[15:16]
	v_mov_b32_e32 v17, s25
	v_add_co_u32_e32 v59, vcc, s24, v15
	v_addc_co_u32_e32 v60, vcc, v17, v16, vcc
	v_add_u32_e32 v17, 8, v21
	;; [unrolled: 6-line block ×3, first 2 shown]
	v_mov_b32_e32 v20, v22
	v_lshlrev_b64 v[19:20], 3, v[19:20]
	v_add_u32_e32 v21, 10, v21
	v_mov_b32_e32 v23, s25
	v_add_co_u32_e32 v63, vcc, s24, v19
	v_lshlrev_b64 v[21:22], 3, v[21:22]
	v_addc_co_u32_e32 v64, vcc, v23, v20, vcc
	v_add_co_u32_e32 v65, vcc, s24, v21
	v_addc_co_u32_e32 v66, vcc, v23, v22, vcc
	global_load_dwordx2 v[23:24], v[25:26], off
	global_load_dwordx2 v[51:52], v[27:28], off
	;; [unrolled: 1-line block ×11, first 2 shown]
	v_mbcnt_lo_u32_b32 v25, -1, 0
	v_mbcnt_hi_u32_b32 v25, -1, v25
	v_and_b32_e32 v26, 15, v25
	v_cmp_ne_u32_e32 vcc, 0, v26
	v_cmp_lt_u32_e64 s[0:1], 1, v26
	v_cmp_lt_u32_e64 s[2:3], 3, v26
	;; [unrolled: 1-line block ×3, first 2 shown]
	v_and_b32_e32 v26, 16, v25
	v_cmp_ne_u32_e64 s[6:7], 0, v26
	v_or_b32_e32 v26, 63, v0
	v_cmp_eq_u32_e64 s[8:9], v0, v26
	v_subrev_co_u32_e64 v26, s[10:11], 1, v25
	v_and_b32_e32 v27, 64, v25
	v_cmp_lt_i32_e64 s[14:15], v26, v27
	v_cmp_lt_u32_e64 s[12:13], 31, v25
	v_cndmask_b32_e64 v26, v26, v25, s[14:15]
	v_and_b32_e32 v25, 3, v25
	v_cmp_ne_u32_e64 s[14:15], 0, v25
	v_cmp_lt_u32_e64 s[16:17], 1, v25
	v_lshrrev_b32_e32 v25, 3, v0
	v_and_b32_e32 v72, 24, v25
	v_cmp_gt_u32_e64 s[18:19], 4, v0
	v_cmp_lt_u32_e64 s[20:21], 63, v0
	v_lshlrev_b32_e32 v71, 2, v26
	v_cmp_ne_u32_e64 s[22:23], 0, v0
	v_lshlrev_b32_e32 v0, 3, v0
	s_movk_i32 s30, 0x64
	v_add_u32_e32 v73, -8, v72
.LBB94_1:                               ; =>This Inner Loop Header: Depth=1
	s_waitcnt vmcnt(9)
	v_add_f64 v[63:64], v[51:52], v[23:24]
	s_waitcnt vmcnt(8)
	v_add_f64 v[61:62], v[49:50], v[63:64]
	;; [unrolled: 2-line block ×10, first 2 shown]
	s_waitcnt lgkmcnt(0)
	v_mov_b32_e32 v66, v26
	v_mov_b32_dpp v69, v25 row_shr:1 row_mask:0xf bank_mask:0xf
	v_mov_b32_dpp v70, v26 row_shr:1 row_mask:0xf bank_mask:0xf
	v_mov_b32_e32 v68, v26
	v_mov_b32_e32 v67, v25
	;; [unrolled: 1-line block ×3, first 2 shown]
	s_and_saveexec_b64 s[24:25], vcc
	s_cbranch_execz .LBB94_3
; %bb.2:                                ;   in Loop: Header=BB94_1 Depth=1
	v_add_f64 v[65:66], v[25:26], v[69:70]
	v_mov_b32_e32 v68, v66
	v_mov_b32_e32 v67, v65
.LBB94_3:                               ;   in Loop: Header=BB94_1 Depth=1
	s_or_b64 exec, exec, s[24:25]
	s_nop 0
	v_mov_b32_dpp v69, v67 row_shr:2 row_mask:0xf bank_mask:0xf
	v_mov_b32_dpp v70, v68 row_shr:2 row_mask:0xf bank_mask:0xf
	s_and_saveexec_b64 s[24:25], s[0:1]
	s_cbranch_execz .LBB94_5
; %bb.4:                                ;   in Loop: Header=BB94_1 Depth=1
	v_add_f64 v[67:68], v[65:66], v[69:70]
	v_mov_b32_e32 v65, v67
	v_mov_b32_e32 v66, v68
.LBB94_5:                               ;   in Loop: Header=BB94_1 Depth=1
	s_or_b64 exec, exec, s[24:25]
	v_mov_b32_dpp v69, v67 row_shr:4 row_mask:0xf bank_mask:0xf
	v_mov_b32_dpp v70, v68 row_shr:4 row_mask:0xf bank_mask:0xf
	s_and_saveexec_b64 s[24:25], s[2:3]
	s_cbranch_execz .LBB94_7
; %bb.6:                                ;   in Loop: Header=BB94_1 Depth=1
	v_add_f64 v[67:68], v[65:66], v[69:70]
	v_mov_b32_e32 v65, v67
	v_mov_b32_e32 v66, v68
.LBB94_7:                               ;   in Loop: Header=BB94_1 Depth=1
	s_or_b64 exec, exec, s[24:25]
	;; [unrolled: 10-line block ×3, first 2 shown]
	v_mov_b32_dpp v69, v67 row_bcast:15 row_mask:0xf bank_mask:0xf
	v_mov_b32_dpp v70, v68 row_bcast:15 row_mask:0xf bank_mask:0xf
	s_and_saveexec_b64 s[24:25], s[6:7]
	s_cbranch_execz .LBB94_11
; %bb.10:                               ;   in Loop: Header=BB94_1 Depth=1
	v_add_f64 v[65:66], v[65:66], v[69:70]
	v_mov_b32_e32 v68, v66
	v_mov_b32_e32 v67, v65
.LBB94_11:                              ;   in Loop: Header=BB94_1 Depth=1
	s_or_b64 exec, exec, s[24:25]
	s_nop 0
	v_mov_b32_dpp v67, v67 row_bcast:31 row_mask:0xf bank_mask:0xf
	v_mov_b32_dpp v68, v68 row_bcast:31 row_mask:0xf bank_mask:0xf
	v_add_f64 v[67:68], v[65:66], v[67:68]
	v_cndmask_b32_e64 v66, v66, v68, s[12:13]
	v_cndmask_b32_e64 v65, v65, v67, s[12:13]
	s_and_saveexec_b64 s[24:25], s[8:9]
; %bb.12:                               ;   in Loop: Header=BB94_1 Depth=1
	ds_write_b64 v72, v[65:66]
; %bb.13:                               ;   in Loop: Header=BB94_1 Depth=1
	s_or_b64 exec, exec, s[24:25]
	s_waitcnt lgkmcnt(0)
	s_barrier
	s_and_saveexec_b64 s[24:25], s[18:19]
	s_cbranch_execz .LBB94_17
; %bb.14:                               ;   in Loop: Header=BB94_1 Depth=1
	ds_read_b64 v[67:68], v0
	s_waitcnt lgkmcnt(0)
	s_nop 0
	v_mov_b32_dpp v69, v67 row_shr:1 row_mask:0xf bank_mask:0xf
	v_mov_b32_dpp v70, v68 row_shr:1 row_mask:0xf bank_mask:0xf
	s_and_saveexec_b64 s[28:29], s[14:15]
; %bb.15:                               ;   in Loop: Header=BB94_1 Depth=1
	v_add_f64 v[67:68], v[67:68], v[69:70]
; %bb.16:                               ;   in Loop: Header=BB94_1 Depth=1
	s_or_b64 exec, exec, s[28:29]
	s_nop 0
	v_mov_b32_dpp v69, v67 row_shr:2 row_mask:0xf bank_mask:0xf
	v_mov_b32_dpp v70, v68 row_shr:2 row_mask:0xf bank_mask:0xf
	v_add_f64 v[69:70], v[67:68], v[69:70]
	v_cndmask_b32_e64 v68, v68, v70, s[16:17]
	v_cndmask_b32_e64 v67, v67, v69, s[16:17]
	ds_write_b64 v0, v[67:68]
.LBB94_17:                              ;   in Loop: Header=BB94_1 Depth=1
	s_or_b64 exec, exec, s[24:25]
	s_waitcnt lgkmcnt(0)
	s_barrier
                                        ; implicit-def: $vgpr67_vgpr68
	s_and_saveexec_b64 s[24:25], s[20:21]
	s_cbranch_execz .LBB94_19
; %bb.18:                               ;   in Loop: Header=BB94_1 Depth=1
	ds_read_b64 v[67:68], v73
	s_waitcnt lgkmcnt(0)
	v_add_f64 v[65:66], v[65:66], v[67:68]
.LBB94_19:                              ;   in Loop: Header=BB94_1 Depth=1
	s_or_b64 exec, exec, s[24:25]
	ds_bpermute_b32 v65, v71, v65
	ds_bpermute_b32 v66, v71, v66
	s_and_saveexec_b64 s[24:25], s[22:23]
	s_cbranch_execz .LBB94_21
; %bb.20:                               ;   in Loop: Header=BB94_1 Depth=1
	s_waitcnt lgkmcnt(0)
	v_cndmask_b32_e64 v26, v66, v68, s[10:11]
	v_cndmask_b32_e64 v25, v65, v67, s[10:11]
	v_add_f64 v[23:24], v[23:24], v[25:26]
	v_add_f64 v[63:64], v[51:52], v[23:24]
	;; [unrolled: 1-line block ×11, first 2 shown]
.LBB94_21:                              ;   in Loop: Header=BB94_1 Depth=1
	s_or_b64 exec, exec, s[24:25]
	s_add_i32 s30, s30, -1
	s_cmp_lg_u32 s30, 0
	s_cbranch_scc0 .LBB94_23
; %bb.22:                               ;   in Loop: Header=BB94_1 Depth=1
	v_mov_b32_e32 v30, v26
	v_mov_b32_e32 v32, v28
	;; [unrolled: 1-line block ×20, first 2 shown]
	s_branch .LBB94_1
.LBB94_23:
	v_mov_b32_e32 v29, s27
	v_add_co_u32_e32 v0, vcc, s26, v1
	v_addc_co_u32_e32 v1, vcc, v29, v2, vcc
	global_store_dwordx2 v[0:1], v[23:24], off
	v_mov_b32_e32 v1, s27
	v_add_co_u32_e32 v0, vcc, s26, v3
	v_addc_co_u32_e32 v1, vcc, v1, v4, vcc
	global_store_dwordx2 v[0:1], v[63:64], off
	;; [unrolled: 4-line block ×11, first 2 shown]
	s_endpgm
	.section	.rodata,"a",@progbits
	.p2align	6, 0x0
	.amdhsa_kernel _Z6kernelI14inclusive_scanILN6hipcub18BlockScanAlgorithmE0EEdLj256ELj11ELj100EEvPKT0_PS4_S4_
		.amdhsa_group_segment_fixed_size 32
		.amdhsa_private_segment_fixed_size 0
		.amdhsa_kernarg_size 280
		.amdhsa_user_sgpr_count 6
		.amdhsa_user_sgpr_private_segment_buffer 1
		.amdhsa_user_sgpr_dispatch_ptr 0
		.amdhsa_user_sgpr_queue_ptr 0
		.amdhsa_user_sgpr_kernarg_segment_ptr 1
		.amdhsa_user_sgpr_dispatch_id 0
		.amdhsa_user_sgpr_flat_scratch_init 0
		.amdhsa_user_sgpr_private_segment_size 0
		.amdhsa_uses_dynamic_stack 0
		.amdhsa_system_sgpr_private_segment_wavefront_offset 0
		.amdhsa_system_sgpr_workgroup_id_x 1
		.amdhsa_system_sgpr_workgroup_id_y 0
		.amdhsa_system_sgpr_workgroup_id_z 0
		.amdhsa_system_sgpr_workgroup_info 0
		.amdhsa_system_vgpr_workitem_id 0
		.amdhsa_next_free_vgpr 74
		.amdhsa_next_free_sgpr 31
		.amdhsa_reserve_vcc 1
		.amdhsa_reserve_flat_scratch 0
		.amdhsa_float_round_mode_32 0
		.amdhsa_float_round_mode_16_64 0
		.amdhsa_float_denorm_mode_32 3
		.amdhsa_float_denorm_mode_16_64 3
		.amdhsa_dx10_clamp 1
		.amdhsa_ieee_mode 1
		.amdhsa_fp16_overflow 0
		.amdhsa_exception_fp_ieee_invalid_op 0
		.amdhsa_exception_fp_denorm_src 0
		.amdhsa_exception_fp_ieee_div_zero 0
		.amdhsa_exception_fp_ieee_overflow 0
		.amdhsa_exception_fp_ieee_underflow 0
		.amdhsa_exception_fp_ieee_inexact 0
		.amdhsa_exception_int_div_zero 0
	.end_amdhsa_kernel
	.section	.text._Z6kernelI14inclusive_scanILN6hipcub18BlockScanAlgorithmE0EEdLj256ELj11ELj100EEvPKT0_PS4_S4_,"axG",@progbits,_Z6kernelI14inclusive_scanILN6hipcub18BlockScanAlgorithmE0EEdLj256ELj11ELj100EEvPKT0_PS4_S4_,comdat
.Lfunc_end94:
	.size	_Z6kernelI14inclusive_scanILN6hipcub18BlockScanAlgorithmE0EEdLj256ELj11ELj100EEvPKT0_PS4_S4_, .Lfunc_end94-_Z6kernelI14inclusive_scanILN6hipcub18BlockScanAlgorithmE0EEdLj256ELj11ELj100EEvPKT0_PS4_S4_
                                        ; -- End function
	.set _Z6kernelI14inclusive_scanILN6hipcub18BlockScanAlgorithmE0EEdLj256ELj11ELj100EEvPKT0_PS4_S4_.num_vgpr, 74
	.set _Z6kernelI14inclusive_scanILN6hipcub18BlockScanAlgorithmE0EEdLj256ELj11ELj100EEvPKT0_PS4_S4_.num_agpr, 0
	.set _Z6kernelI14inclusive_scanILN6hipcub18BlockScanAlgorithmE0EEdLj256ELj11ELj100EEvPKT0_PS4_S4_.numbered_sgpr, 31
	.set _Z6kernelI14inclusive_scanILN6hipcub18BlockScanAlgorithmE0EEdLj256ELj11ELj100EEvPKT0_PS4_S4_.num_named_barrier, 0
	.set _Z6kernelI14inclusive_scanILN6hipcub18BlockScanAlgorithmE0EEdLj256ELj11ELj100EEvPKT0_PS4_S4_.private_seg_size, 0
	.set _Z6kernelI14inclusive_scanILN6hipcub18BlockScanAlgorithmE0EEdLj256ELj11ELj100EEvPKT0_PS4_S4_.uses_vcc, 1
	.set _Z6kernelI14inclusive_scanILN6hipcub18BlockScanAlgorithmE0EEdLj256ELj11ELj100EEvPKT0_PS4_S4_.uses_flat_scratch, 0
	.set _Z6kernelI14inclusive_scanILN6hipcub18BlockScanAlgorithmE0EEdLj256ELj11ELj100EEvPKT0_PS4_S4_.has_dyn_sized_stack, 0
	.set _Z6kernelI14inclusive_scanILN6hipcub18BlockScanAlgorithmE0EEdLj256ELj11ELj100EEvPKT0_PS4_S4_.has_recursion, 0
	.set _Z6kernelI14inclusive_scanILN6hipcub18BlockScanAlgorithmE0EEdLj256ELj11ELj100EEvPKT0_PS4_S4_.has_indirect_call, 0
	.section	.AMDGPU.csdata,"",@progbits
; Kernel info:
; codeLenInByte = 1644
; TotalNumSgprs: 35
; NumVgprs: 74
; ScratchSize: 0
; MemoryBound: 0
; FloatMode: 240
; IeeeMode: 1
; LDSByteSize: 32 bytes/workgroup (compile time only)
; SGPRBlocks: 4
; VGPRBlocks: 18
; NumSGPRsForWavesPerEU: 35
; NumVGPRsForWavesPerEU: 74
; Occupancy: 3
; WaveLimiterHint : 0
; COMPUTE_PGM_RSRC2:SCRATCH_EN: 0
; COMPUTE_PGM_RSRC2:USER_SGPR: 6
; COMPUTE_PGM_RSRC2:TRAP_HANDLER: 0
; COMPUTE_PGM_RSRC2:TGID_X_EN: 1
; COMPUTE_PGM_RSRC2:TGID_Y_EN: 0
; COMPUTE_PGM_RSRC2:TGID_Z_EN: 0
; COMPUTE_PGM_RSRC2:TIDIG_COMP_CNT: 0
	.section	.text._Z6kernelI14inclusive_scanILN6hipcub18BlockScanAlgorithmE0EEdLj256ELj16ELj100EEvPKT0_PS4_S4_,"axG",@progbits,_Z6kernelI14inclusive_scanILN6hipcub18BlockScanAlgorithmE0EEdLj256ELj16ELj100EEvPKT0_PS4_S4_,comdat
	.protected	_Z6kernelI14inclusive_scanILN6hipcub18BlockScanAlgorithmE0EEdLj256ELj16ELj100EEvPKT0_PS4_S4_ ; -- Begin function _Z6kernelI14inclusive_scanILN6hipcub18BlockScanAlgorithmE0EEdLj256ELj16ELj100EEvPKT0_PS4_S4_
	.globl	_Z6kernelI14inclusive_scanILN6hipcub18BlockScanAlgorithmE0EEdLj256ELj16ELj100EEvPKT0_PS4_S4_
	.p2align	8
	.type	_Z6kernelI14inclusive_scanILN6hipcub18BlockScanAlgorithmE0EEdLj256ELj16ELj100EEvPKT0_PS4_S4_,@function
_Z6kernelI14inclusive_scanILN6hipcub18BlockScanAlgorithmE0EEdLj256ELj16ELj100EEvPKT0_PS4_S4_: ; @_Z6kernelI14inclusive_scanILN6hipcub18BlockScanAlgorithmE0EEdLj256ELj16ELj100EEvPKT0_PS4_S4_
; %bb.0:
	s_load_dword s0, s[4:5], 0x24
	s_load_dwordx4 s[24:27], s[4:5], 0x0
	v_mov_b32_e32 v2, 0
	v_cmp_gt_u32_e64 s[12:13], 4, v0
	v_cmp_lt_u32_e64 s[14:15], 63, v0
	s_waitcnt lgkmcnt(0)
	s_and_b32 s0, s0, 0xffff
	s_mul_i32 s6, s6, s0
	v_add_lshl_u32 v1, s6, v0, 4
	v_lshlrev_b64 v[61:62], 3, v[1:2]
	v_mov_b32_e32 v1, s25
	v_add_co_u32_e32 v33, vcc, s24, v61
	v_addc_co_u32_e32 v34, vcc, v1, v62, vcc
	global_load_dwordx4 v[1:4], v[33:34], off offset:48
	global_load_dwordx4 v[5:8], v[33:34], off offset:32
	global_load_dwordx4 v[29:32], v[33:34], off offset:16
	global_load_dwordx4 v[9:12], v[33:34], off
	global_load_dwordx4 v[13:16], v[33:34], off offset:112
	global_load_dwordx4 v[17:20], v[33:34], off offset:96
	;; [unrolled: 1-line block ×4, first 2 shown]
	v_mbcnt_lo_u32_b32 v33, -1, 0
	v_mbcnt_hi_u32_b32 v33, -1, v33
	v_and_b32_e32 v34, 15, v33
	v_cmp_ne_u32_e32 vcc, 0, v34
	v_cmp_lt_u32_e64 s[0:1], 1, v34
	v_cmp_lt_u32_e64 s[2:3], 3, v34
	;; [unrolled: 1-line block ×3, first 2 shown]
	v_and_b32_e32 v34, 16, v33
	v_cmp_ne_u32_e64 s[6:7], 0, v34
	v_or_b32_e32 v34, 63, v0
	v_cmp_eq_u32_e64 s[10:11], v0, v34
	v_subrev_co_u32_e64 v34, s[16:17], 1, v33
	v_and_b32_e32 v35, 64, v33
	v_cmp_lt_i32_e64 s[18:19], v34, v35
	v_cndmask_b32_e64 v34, v34, v33, s[18:19]
	v_lshlrev_b32_e32 v71, 2, v34
	v_lshrrev_b32_e32 v34, 3, v0
	v_cmp_lt_u32_e64 s[8:9], 31, v33
	v_and_b32_e32 v72, 24, v34
	v_and_b32_e32 v33, 3, v33
	v_cmp_ne_u32_e64 s[18:19], 0, v0
	v_lshlrev_b32_e32 v0, 3, v0
	v_cmp_ne_u32_e64 s[20:21], 0, v33
	v_cmp_lt_u32_e64 s[22:23], 1, v33
	v_add_u32_e32 v73, -8, v72
	s_movk_i32 s30, 0x64
.LBB95_1:                               ; =>This Inner Loop Header: Depth=1
	s_waitcnt vmcnt(4)
	v_add_f64 v[63:64], v[11:12], v[9:10]
	v_add_f64 v[33:34], v[29:30], v[63:64]
	;; [unrolled: 1-line block ×7, first 2 shown]
	s_waitcnt vmcnt(0)
	v_add_f64 v[45:46], v[25:26], v[43:44]
	v_add_f64 v[47:48], v[27:28], v[45:46]
	;; [unrolled: 1-line block ×8, first 2 shown]
	s_waitcnt lgkmcnt(0)
	v_mov_b32_e32 v66, v60
	v_mov_b32_dpp v69, v59 row_shr:1 row_mask:0xf bank_mask:0xf
	v_mov_b32_dpp v70, v60 row_shr:1 row_mask:0xf bank_mask:0xf
	v_mov_b32_e32 v68, v60
	v_mov_b32_e32 v67, v59
	;; [unrolled: 1-line block ×3, first 2 shown]
	s_and_saveexec_b64 s[24:25], vcc
	s_cbranch_execz .LBB95_3
; %bb.2:                                ;   in Loop: Header=BB95_1 Depth=1
	v_add_f64 v[65:66], v[59:60], v[69:70]
	v_mov_b32_e32 v68, v66
	v_mov_b32_e32 v67, v65
.LBB95_3:                               ;   in Loop: Header=BB95_1 Depth=1
	s_or_b64 exec, exec, s[24:25]
	s_nop 0
	v_mov_b32_dpp v69, v67 row_shr:2 row_mask:0xf bank_mask:0xf
	v_mov_b32_dpp v70, v68 row_shr:2 row_mask:0xf bank_mask:0xf
	s_and_saveexec_b64 s[24:25], s[0:1]
	s_cbranch_execz .LBB95_5
; %bb.4:                                ;   in Loop: Header=BB95_1 Depth=1
	v_add_f64 v[67:68], v[65:66], v[69:70]
	v_mov_b32_e32 v65, v67
	v_mov_b32_e32 v66, v68
.LBB95_5:                               ;   in Loop: Header=BB95_1 Depth=1
	s_or_b64 exec, exec, s[24:25]
	v_mov_b32_dpp v69, v67 row_shr:4 row_mask:0xf bank_mask:0xf
	v_mov_b32_dpp v70, v68 row_shr:4 row_mask:0xf bank_mask:0xf
	s_and_saveexec_b64 s[24:25], s[2:3]
	s_cbranch_execz .LBB95_7
; %bb.6:                                ;   in Loop: Header=BB95_1 Depth=1
	v_add_f64 v[67:68], v[65:66], v[69:70]
	v_mov_b32_e32 v65, v67
	v_mov_b32_e32 v66, v68
.LBB95_7:                               ;   in Loop: Header=BB95_1 Depth=1
	s_or_b64 exec, exec, s[24:25]
	;; [unrolled: 10-line block ×3, first 2 shown]
	v_mov_b32_dpp v69, v67 row_bcast:15 row_mask:0xf bank_mask:0xf
	v_mov_b32_dpp v70, v68 row_bcast:15 row_mask:0xf bank_mask:0xf
	s_and_saveexec_b64 s[24:25], s[6:7]
	s_cbranch_execz .LBB95_11
; %bb.10:                               ;   in Loop: Header=BB95_1 Depth=1
	v_add_f64 v[65:66], v[65:66], v[69:70]
	v_mov_b32_e32 v68, v66
	v_mov_b32_e32 v67, v65
.LBB95_11:                              ;   in Loop: Header=BB95_1 Depth=1
	s_or_b64 exec, exec, s[24:25]
	s_nop 0
	v_mov_b32_dpp v67, v67 row_bcast:31 row_mask:0xf bank_mask:0xf
	v_mov_b32_dpp v68, v68 row_bcast:31 row_mask:0xf bank_mask:0xf
	v_add_f64 v[67:68], v[65:66], v[67:68]
	v_cndmask_b32_e64 v66, v66, v68, s[8:9]
	v_cndmask_b32_e64 v65, v65, v67, s[8:9]
	s_and_saveexec_b64 s[24:25], s[10:11]
; %bb.12:                               ;   in Loop: Header=BB95_1 Depth=1
	ds_write_b64 v72, v[65:66]
; %bb.13:                               ;   in Loop: Header=BB95_1 Depth=1
	s_or_b64 exec, exec, s[24:25]
	s_waitcnt lgkmcnt(0)
	s_barrier
	s_and_saveexec_b64 s[24:25], s[12:13]
	s_cbranch_execz .LBB95_17
; %bb.14:                               ;   in Loop: Header=BB95_1 Depth=1
	ds_read_b64 v[67:68], v0
	s_waitcnt lgkmcnt(0)
	s_nop 0
	v_mov_b32_dpp v69, v67 row_shr:1 row_mask:0xf bank_mask:0xf
	v_mov_b32_dpp v70, v68 row_shr:1 row_mask:0xf bank_mask:0xf
	s_and_saveexec_b64 s[28:29], s[20:21]
; %bb.15:                               ;   in Loop: Header=BB95_1 Depth=1
	v_add_f64 v[67:68], v[67:68], v[69:70]
; %bb.16:                               ;   in Loop: Header=BB95_1 Depth=1
	s_or_b64 exec, exec, s[28:29]
	s_nop 0
	v_mov_b32_dpp v69, v67 row_shr:2 row_mask:0xf bank_mask:0xf
	v_mov_b32_dpp v70, v68 row_shr:2 row_mask:0xf bank_mask:0xf
	v_add_f64 v[69:70], v[67:68], v[69:70]
	v_cndmask_b32_e64 v68, v68, v70, s[22:23]
	v_cndmask_b32_e64 v67, v67, v69, s[22:23]
	ds_write_b64 v0, v[67:68]
.LBB95_17:                              ;   in Loop: Header=BB95_1 Depth=1
	s_or_b64 exec, exec, s[24:25]
	s_waitcnt lgkmcnt(0)
	s_barrier
                                        ; implicit-def: $vgpr67_vgpr68
	s_and_saveexec_b64 s[24:25], s[14:15]
	s_cbranch_execz .LBB95_19
; %bb.18:                               ;   in Loop: Header=BB95_1 Depth=1
	ds_read_b64 v[67:68], v73
	s_waitcnt lgkmcnt(0)
	v_add_f64 v[65:66], v[65:66], v[67:68]
.LBB95_19:                              ;   in Loop: Header=BB95_1 Depth=1
	s_or_b64 exec, exec, s[24:25]
	ds_bpermute_b32 v65, v71, v65
	ds_bpermute_b32 v66, v71, v66
	s_and_saveexec_b64 s[24:25], s[18:19]
	s_cbranch_execz .LBB95_21
; %bb.20:                               ;   in Loop: Header=BB95_1 Depth=1
	s_waitcnt lgkmcnt(0)
	v_cndmask_b32_e64 v34, v66, v68, s[16:17]
	v_cndmask_b32_e64 v33, v65, v67, s[16:17]
	v_add_f64 v[9:10], v[9:10], v[33:34]
	v_add_f64 v[63:64], v[11:12], v[9:10]
	;; [unrolled: 1-line block ×16, first 2 shown]
.LBB95_21:                              ;   in Loop: Header=BB95_1 Depth=1
	s_or_b64 exec, exec, s[24:25]
	s_add_i32 s30, s30, -1
	s_cmp_lg_u32 s30, 0
	s_cbranch_scc0 .LBB95_23
; %bb.22:                               ;   in Loop: Header=BB95_1 Depth=1
	v_mov_b32_e32 v15, v59
	v_mov_b32_e32 v13, v57
	;; [unrolled: 1-line block ×30, first 2 shown]
	s_branch .LBB95_1
.LBB95_23:
	v_mov_b32_e32 v1, s27
	v_add_co_u32_e32 v0, vcc, s26, v61
	v_addc_co_u32_e32 v1, vcc, v1, v62, vcc
	v_mov_b32_e32 v11, v63
	v_mov_b32_e32 v12, v64
	global_store_dwordx4 v[0:1], v[9:12], off
	global_store_dwordx4 v[0:1], v[33:36], off offset:16
	global_store_dwordx4 v[0:1], v[37:40], off offset:32
	;; [unrolled: 1-line block ×7, first 2 shown]
	s_endpgm
	.section	.rodata,"a",@progbits
	.p2align	6, 0x0
	.amdhsa_kernel _Z6kernelI14inclusive_scanILN6hipcub18BlockScanAlgorithmE0EEdLj256ELj16ELj100EEvPKT0_PS4_S4_
		.amdhsa_group_segment_fixed_size 32
		.amdhsa_private_segment_fixed_size 0
		.amdhsa_kernarg_size 280
		.amdhsa_user_sgpr_count 6
		.amdhsa_user_sgpr_private_segment_buffer 1
		.amdhsa_user_sgpr_dispatch_ptr 0
		.amdhsa_user_sgpr_queue_ptr 0
		.amdhsa_user_sgpr_kernarg_segment_ptr 1
		.amdhsa_user_sgpr_dispatch_id 0
		.amdhsa_user_sgpr_flat_scratch_init 0
		.amdhsa_user_sgpr_private_segment_size 0
		.amdhsa_uses_dynamic_stack 0
		.amdhsa_system_sgpr_private_segment_wavefront_offset 0
		.amdhsa_system_sgpr_workgroup_id_x 1
		.amdhsa_system_sgpr_workgroup_id_y 0
		.amdhsa_system_sgpr_workgroup_id_z 0
		.amdhsa_system_sgpr_workgroup_info 0
		.amdhsa_system_vgpr_workitem_id 0
		.amdhsa_next_free_vgpr 74
		.amdhsa_next_free_sgpr 31
		.amdhsa_reserve_vcc 1
		.amdhsa_reserve_flat_scratch 0
		.amdhsa_float_round_mode_32 0
		.amdhsa_float_round_mode_16_64 0
		.amdhsa_float_denorm_mode_32 3
		.amdhsa_float_denorm_mode_16_64 3
		.amdhsa_dx10_clamp 1
		.amdhsa_ieee_mode 1
		.amdhsa_fp16_overflow 0
		.amdhsa_exception_fp_ieee_invalid_op 0
		.amdhsa_exception_fp_denorm_src 0
		.amdhsa_exception_fp_ieee_div_zero 0
		.amdhsa_exception_fp_ieee_overflow 0
		.amdhsa_exception_fp_ieee_underflow 0
		.amdhsa_exception_fp_ieee_inexact 0
		.amdhsa_exception_int_div_zero 0
	.end_amdhsa_kernel
	.section	.text._Z6kernelI14inclusive_scanILN6hipcub18BlockScanAlgorithmE0EEdLj256ELj16ELj100EEvPKT0_PS4_S4_,"axG",@progbits,_Z6kernelI14inclusive_scanILN6hipcub18BlockScanAlgorithmE0EEdLj256ELj16ELj100EEvPKT0_PS4_S4_,comdat
.Lfunc_end95:
	.size	_Z6kernelI14inclusive_scanILN6hipcub18BlockScanAlgorithmE0EEdLj256ELj16ELj100EEvPKT0_PS4_S4_, .Lfunc_end95-_Z6kernelI14inclusive_scanILN6hipcub18BlockScanAlgorithmE0EEdLj256ELj16ELj100EEvPKT0_PS4_S4_
                                        ; -- End function
	.set _Z6kernelI14inclusive_scanILN6hipcub18BlockScanAlgorithmE0EEdLj256ELj16ELj100EEvPKT0_PS4_S4_.num_vgpr, 74
	.set _Z6kernelI14inclusive_scanILN6hipcub18BlockScanAlgorithmE0EEdLj256ELj16ELj100EEvPKT0_PS4_S4_.num_agpr, 0
	.set _Z6kernelI14inclusive_scanILN6hipcub18BlockScanAlgorithmE0EEdLj256ELj16ELj100EEvPKT0_PS4_S4_.numbered_sgpr, 31
	.set _Z6kernelI14inclusive_scanILN6hipcub18BlockScanAlgorithmE0EEdLj256ELj16ELj100EEvPKT0_PS4_S4_.num_named_barrier, 0
	.set _Z6kernelI14inclusive_scanILN6hipcub18BlockScanAlgorithmE0EEdLj256ELj16ELj100EEvPKT0_PS4_S4_.private_seg_size, 0
	.set _Z6kernelI14inclusive_scanILN6hipcub18BlockScanAlgorithmE0EEdLj256ELj16ELj100EEvPKT0_PS4_S4_.uses_vcc, 1
	.set _Z6kernelI14inclusive_scanILN6hipcub18BlockScanAlgorithmE0EEdLj256ELj16ELj100EEvPKT0_PS4_S4_.uses_flat_scratch, 0
	.set _Z6kernelI14inclusive_scanILN6hipcub18BlockScanAlgorithmE0EEdLj256ELj16ELj100EEvPKT0_PS4_S4_.has_dyn_sized_stack, 0
	.set _Z6kernelI14inclusive_scanILN6hipcub18BlockScanAlgorithmE0EEdLj256ELj16ELj100EEvPKT0_PS4_S4_.has_recursion, 0
	.set _Z6kernelI14inclusive_scanILN6hipcub18BlockScanAlgorithmE0EEdLj256ELj16ELj100EEvPKT0_PS4_S4_.has_indirect_call, 0
	.section	.AMDGPU.csdata,"",@progbits
; Kernel info:
; codeLenInByte = 1296
; TotalNumSgprs: 35
; NumVgprs: 74
; ScratchSize: 0
; MemoryBound: 0
; FloatMode: 240
; IeeeMode: 1
; LDSByteSize: 32 bytes/workgroup (compile time only)
; SGPRBlocks: 4
; VGPRBlocks: 18
; NumSGPRsForWavesPerEU: 35
; NumVGPRsForWavesPerEU: 74
; Occupancy: 3
; WaveLimiterHint : 0
; COMPUTE_PGM_RSRC2:SCRATCH_EN: 0
; COMPUTE_PGM_RSRC2:USER_SGPR: 6
; COMPUTE_PGM_RSRC2:TRAP_HANDLER: 0
; COMPUTE_PGM_RSRC2:TGID_X_EN: 1
; COMPUTE_PGM_RSRC2:TGID_Y_EN: 0
; COMPUTE_PGM_RSRC2:TGID_Z_EN: 0
; COMPUTE_PGM_RSRC2:TIDIG_COMP_CNT: 0
	.section	.text._Z6kernelI14inclusive_scanILN6hipcub18BlockScanAlgorithmE0EEhLj256ELj1ELj100EEvPKT0_PS4_S4_,"axG",@progbits,_Z6kernelI14inclusive_scanILN6hipcub18BlockScanAlgorithmE0EEhLj256ELj1ELj100EEvPKT0_PS4_S4_,comdat
	.protected	_Z6kernelI14inclusive_scanILN6hipcub18BlockScanAlgorithmE0EEhLj256ELj1ELj100EEvPKT0_PS4_S4_ ; -- Begin function _Z6kernelI14inclusive_scanILN6hipcub18BlockScanAlgorithmE0EEhLj256ELj1ELj100EEvPKT0_PS4_S4_
	.globl	_Z6kernelI14inclusive_scanILN6hipcub18BlockScanAlgorithmE0EEhLj256ELj1ELj100EEvPKT0_PS4_S4_
	.p2align	8
	.type	_Z6kernelI14inclusive_scanILN6hipcub18BlockScanAlgorithmE0EEhLj256ELj1ELj100EEvPKT0_PS4_S4_,@function
_Z6kernelI14inclusive_scanILN6hipcub18BlockScanAlgorithmE0EEhLj256ELj1ELj100EEvPKT0_PS4_S4_: ; @_Z6kernelI14inclusive_scanILN6hipcub18BlockScanAlgorithmE0EEhLj256ELj1ELj100EEvPKT0_PS4_S4_
; %bb.0:
	s_load_dword s0, s[4:5], 0x24
	s_load_dwordx4 s[20:23], s[4:5], 0x0
	v_mbcnt_lo_u32_b32 v2, -1, 0
	v_mbcnt_hi_u32_b32 v4, -1, v2
	v_and_b32_e32 v2, 15, v4
	s_waitcnt lgkmcnt(0)
	s_and_b32 s0, s0, 0xffff
	s_mul_i32 s6, s6, s0
	v_add_u32_e32 v1, s6, v0
	global_load_ubyte v3, v1, s[20:21]
	v_cmp_eq_u32_e32 vcc, 0, v2
	v_cmp_lt_u32_e64 s[0:1], 1, v2
	v_cmp_lt_u32_e64 s[2:3], 3, v2
	;; [unrolled: 1-line block ×3, first 2 shown]
	v_and_b32_e32 v2, 16, v4
	v_cmp_eq_u32_e64 s[6:7], 0, v2
	v_cmp_lt_u32_e64 s[8:9], 31, v4
	v_lshrrev_b32_e32 v2, 6, v0
	v_or_b32_e32 v5, 63, v0
	v_and_b32_e32 v4, 3, v4
	v_cmp_eq_u32_e64 s[10:11], v0, v5
	v_cmp_gt_u32_e64 s[12:13], 4, v0
	v_cmp_lt_u32_e64 s[14:15], 63, v0
	v_cmp_eq_u32_e64 s[16:17], 0, v4
	v_cmp_lt_u32_e64 s[18:19], 1, v4
	v_add_u32_e32 v4, -1, v2
	s_movk_i32 s24, 0x64
	s_branch .LBB96_2
.LBB96_1:                               ;   in Loop: Header=BB96_2 Depth=1
	s_or_b64 exec, exec, s[20:21]
	s_add_i32 s24, s24, -1
	s_cmp_lg_u32 s24, 0
	s_cbranch_scc0 .LBB96_8
.LBB96_2:                               ; =>This Inner Loop Header: Depth=1
	s_waitcnt vmcnt(0)
	v_and_b32_e32 v5, 0xff, v3
	s_nop 1
	v_mov_b32_dpp v5, v5 row_shr:1 row_mask:0xf bank_mask:0xf
	v_cndmask_b32_e64 v5, v5, 0, vcc
	v_add_u16_e32 v3, v5, v3
	v_and_b32_e32 v5, 0xff, v3
	s_nop 1
	v_mov_b32_dpp v5, v5 row_shr:2 row_mask:0xf bank_mask:0xf
	v_cndmask_b32_e64 v5, 0, v5, s[0:1]
	v_add_u16_e32 v3, v3, v5
	v_and_b32_e32 v5, 0xff, v3
	s_nop 1
	v_mov_b32_dpp v5, v5 row_shr:4 row_mask:0xf bank_mask:0xf
	v_cndmask_b32_e64 v5, 0, v5, s[2:3]
	;; [unrolled: 5-line block ×3, first 2 shown]
	v_add_u16_e32 v3, v3, v5
	v_and_b32_e32 v5, 0xff, v3
	s_nop 1
	v_mov_b32_dpp v5, v5 row_bcast:15 row_mask:0xf bank_mask:0xf
	v_cndmask_b32_e64 v5, v5, 0, s[6:7]
	v_add_u16_e32 v3, v3, v5
	v_and_b32_e32 v5, 0xff, v3
	s_nop 1
	v_mov_b32_dpp v5, v5 row_bcast:31 row_mask:0xf bank_mask:0xf
	v_cndmask_b32_e64 v5, 0, v5, s[8:9]
	v_add_u16_e32 v3, v3, v5
	s_and_saveexec_b64 s[20:21], s[10:11]
; %bb.3:                                ;   in Loop: Header=BB96_2 Depth=1
	ds_write_b8 v2, v3
; %bb.4:                                ;   in Loop: Header=BB96_2 Depth=1
	s_or_b64 exec, exec, s[20:21]
	s_waitcnt lgkmcnt(0)
	s_barrier
	s_and_saveexec_b64 s[20:21], s[12:13]
	s_cbranch_execz .LBB96_6
; %bb.5:                                ;   in Loop: Header=BB96_2 Depth=1
	ds_read_u8 v5, v0
	s_waitcnt lgkmcnt(0)
	v_and_b32_e32 v6, 0xff, v5
	s_nop 1
	v_mov_b32_dpp v6, v6 row_shr:1 row_mask:0xf bank_mask:0xf
	v_cndmask_b32_e64 v6, v6, 0, s[16:17]
	v_add_u16_e32 v5, v6, v5
	v_and_b32_e32 v6, 0xff, v5
	s_nop 1
	v_mov_b32_dpp v6, v6 row_shr:2 row_mask:0xf bank_mask:0xf
	v_cndmask_b32_e64 v6, 0, v6, s[18:19]
	v_add_u16_e32 v5, v5, v6
	ds_write_b8 v0, v5
.LBB96_6:                               ;   in Loop: Header=BB96_2 Depth=1
	s_or_b64 exec, exec, s[20:21]
	s_waitcnt lgkmcnt(0)
	s_barrier
	s_and_saveexec_b64 s[20:21], s[14:15]
	s_cbranch_execz .LBB96_1
; %bb.7:                                ;   in Loop: Header=BB96_2 Depth=1
	ds_read_u8 v5, v4
	s_waitcnt lgkmcnt(0)
	v_add_u16_e32 v3, v5, v3
	s_branch .LBB96_1
.LBB96_8:
	v_mov_b32_e32 v2, s23
	v_add_co_u32_e32 v0, vcc, s22, v1
	v_addc_co_u32_e32 v1, vcc, 0, v2, vcc
	global_store_byte v[0:1], v3, off
	s_endpgm
	.section	.rodata,"a",@progbits
	.p2align	6, 0x0
	.amdhsa_kernel _Z6kernelI14inclusive_scanILN6hipcub18BlockScanAlgorithmE0EEhLj256ELj1ELj100EEvPKT0_PS4_S4_
		.amdhsa_group_segment_fixed_size 4
		.amdhsa_private_segment_fixed_size 0
		.amdhsa_kernarg_size 280
		.amdhsa_user_sgpr_count 6
		.amdhsa_user_sgpr_private_segment_buffer 1
		.amdhsa_user_sgpr_dispatch_ptr 0
		.amdhsa_user_sgpr_queue_ptr 0
		.amdhsa_user_sgpr_kernarg_segment_ptr 1
		.amdhsa_user_sgpr_dispatch_id 0
		.amdhsa_user_sgpr_flat_scratch_init 0
		.amdhsa_user_sgpr_private_segment_size 0
		.amdhsa_uses_dynamic_stack 0
		.amdhsa_system_sgpr_private_segment_wavefront_offset 0
		.amdhsa_system_sgpr_workgroup_id_x 1
		.amdhsa_system_sgpr_workgroup_id_y 0
		.amdhsa_system_sgpr_workgroup_id_z 0
		.amdhsa_system_sgpr_workgroup_info 0
		.amdhsa_system_vgpr_workitem_id 0
		.amdhsa_next_free_vgpr 7
		.amdhsa_next_free_sgpr 25
		.amdhsa_reserve_vcc 1
		.amdhsa_reserve_flat_scratch 0
		.amdhsa_float_round_mode_32 0
		.amdhsa_float_round_mode_16_64 0
		.amdhsa_float_denorm_mode_32 3
		.amdhsa_float_denorm_mode_16_64 3
		.amdhsa_dx10_clamp 1
		.amdhsa_ieee_mode 1
		.amdhsa_fp16_overflow 0
		.amdhsa_exception_fp_ieee_invalid_op 0
		.amdhsa_exception_fp_denorm_src 0
		.amdhsa_exception_fp_ieee_div_zero 0
		.amdhsa_exception_fp_ieee_overflow 0
		.amdhsa_exception_fp_ieee_underflow 0
		.amdhsa_exception_fp_ieee_inexact 0
		.amdhsa_exception_int_div_zero 0
	.end_amdhsa_kernel
	.section	.text._Z6kernelI14inclusive_scanILN6hipcub18BlockScanAlgorithmE0EEhLj256ELj1ELj100EEvPKT0_PS4_S4_,"axG",@progbits,_Z6kernelI14inclusive_scanILN6hipcub18BlockScanAlgorithmE0EEhLj256ELj1ELj100EEvPKT0_PS4_S4_,comdat
.Lfunc_end96:
	.size	_Z6kernelI14inclusive_scanILN6hipcub18BlockScanAlgorithmE0EEhLj256ELj1ELj100EEvPKT0_PS4_S4_, .Lfunc_end96-_Z6kernelI14inclusive_scanILN6hipcub18BlockScanAlgorithmE0EEhLj256ELj1ELj100EEvPKT0_PS4_S4_
                                        ; -- End function
	.set _Z6kernelI14inclusive_scanILN6hipcub18BlockScanAlgorithmE0EEhLj256ELj1ELj100EEvPKT0_PS4_S4_.num_vgpr, 7
	.set _Z6kernelI14inclusive_scanILN6hipcub18BlockScanAlgorithmE0EEhLj256ELj1ELj100EEvPKT0_PS4_S4_.num_agpr, 0
	.set _Z6kernelI14inclusive_scanILN6hipcub18BlockScanAlgorithmE0EEhLj256ELj1ELj100EEvPKT0_PS4_S4_.numbered_sgpr, 25
	.set _Z6kernelI14inclusive_scanILN6hipcub18BlockScanAlgorithmE0EEhLj256ELj1ELj100EEvPKT0_PS4_S4_.num_named_barrier, 0
	.set _Z6kernelI14inclusive_scanILN6hipcub18BlockScanAlgorithmE0EEhLj256ELj1ELj100EEvPKT0_PS4_S4_.private_seg_size, 0
	.set _Z6kernelI14inclusive_scanILN6hipcub18BlockScanAlgorithmE0EEhLj256ELj1ELj100EEvPKT0_PS4_S4_.uses_vcc, 1
	.set _Z6kernelI14inclusive_scanILN6hipcub18BlockScanAlgorithmE0EEhLj256ELj1ELj100EEvPKT0_PS4_S4_.uses_flat_scratch, 0
	.set _Z6kernelI14inclusive_scanILN6hipcub18BlockScanAlgorithmE0EEhLj256ELj1ELj100EEvPKT0_PS4_S4_.has_dyn_sized_stack, 0
	.set _Z6kernelI14inclusive_scanILN6hipcub18BlockScanAlgorithmE0EEhLj256ELj1ELj100EEvPKT0_PS4_S4_.has_recursion, 0
	.set _Z6kernelI14inclusive_scanILN6hipcub18BlockScanAlgorithmE0EEhLj256ELj1ELj100EEvPKT0_PS4_S4_.has_indirect_call, 0
	.section	.AMDGPU.csdata,"",@progbits
; Kernel info:
; codeLenInByte = 568
; TotalNumSgprs: 29
; NumVgprs: 7
; ScratchSize: 0
; MemoryBound: 0
; FloatMode: 240
; IeeeMode: 1
; LDSByteSize: 4 bytes/workgroup (compile time only)
; SGPRBlocks: 3
; VGPRBlocks: 1
; NumSGPRsForWavesPerEU: 29
; NumVGPRsForWavesPerEU: 7
; Occupancy: 10
; WaveLimiterHint : 0
; COMPUTE_PGM_RSRC2:SCRATCH_EN: 0
; COMPUTE_PGM_RSRC2:USER_SGPR: 6
; COMPUTE_PGM_RSRC2:TRAP_HANDLER: 0
; COMPUTE_PGM_RSRC2:TGID_X_EN: 1
; COMPUTE_PGM_RSRC2:TGID_Y_EN: 0
; COMPUTE_PGM_RSRC2:TGID_Z_EN: 0
; COMPUTE_PGM_RSRC2:TIDIG_COMP_CNT: 0
	.section	.text._Z6kernelI14inclusive_scanILN6hipcub18BlockScanAlgorithmE0EEhLj256ELj3ELj100EEvPKT0_PS4_S4_,"axG",@progbits,_Z6kernelI14inclusive_scanILN6hipcub18BlockScanAlgorithmE0EEhLj256ELj3ELj100EEvPKT0_PS4_S4_,comdat
	.protected	_Z6kernelI14inclusive_scanILN6hipcub18BlockScanAlgorithmE0EEhLj256ELj3ELj100EEvPKT0_PS4_S4_ ; -- Begin function _Z6kernelI14inclusive_scanILN6hipcub18BlockScanAlgorithmE0EEhLj256ELj3ELj100EEvPKT0_PS4_S4_
	.globl	_Z6kernelI14inclusive_scanILN6hipcub18BlockScanAlgorithmE0EEhLj256ELj3ELj100EEvPKT0_PS4_S4_
	.p2align	8
	.type	_Z6kernelI14inclusive_scanILN6hipcub18BlockScanAlgorithmE0EEhLj256ELj3ELj100EEvPKT0_PS4_S4_,@function
_Z6kernelI14inclusive_scanILN6hipcub18BlockScanAlgorithmE0EEhLj256ELj3ELj100EEvPKT0_PS4_S4_: ; @_Z6kernelI14inclusive_scanILN6hipcub18BlockScanAlgorithmE0EEhLj256ELj3ELj100EEvPKT0_PS4_S4_
; %bb.0:
	s_load_dword s0, s[4:5], 0x24
	s_load_dwordx4 s[24:27], s[4:5], 0x0
	v_mbcnt_lo_u32_b32 v7, -1, 0
	v_mbcnt_hi_u32_b32 v9, -1, v7
	v_or_b32_e32 v8, 63, v0
	s_waitcnt lgkmcnt(0)
	s_and_b32 s0, s0, 0xffff
	s_mul_i32 s6, s6, s0
	v_add_u32_e32 v1, s6, v0
	v_lshl_add_u32 v5, v1, 1, v1
	v_add_u32_e32 v3, 1, v5
	v_add_u32_e32 v2, 2, v5
	global_load_ubyte v6, v5, s[24:25]
	global_load_ubyte v1, v2, s[24:25]
	;; [unrolled: 1-line block ×3, first 2 shown]
	v_and_b32_e32 v7, 15, v9
	v_cmp_eq_u32_e64 s[10:11], v0, v8
	v_subrev_co_u32_e64 v8, s[16:17], 1, v9
	v_and_b32_e32 v10, 64, v9
	v_cmp_eq_u32_e32 vcc, 0, v7
	v_cmp_lt_u32_e64 s[0:1], 1, v7
	v_cmp_lt_u32_e64 s[2:3], 3, v7
	;; [unrolled: 1-line block ×3, first 2 shown]
	v_and_b32_e32 v7, 16, v9
	v_cmp_lt_i32_e64 s[18:19], v8, v10
	v_cmp_eq_u32_e64 s[6:7], 0, v7
	v_cmp_lt_u32_e64 s[8:9], 31, v9
	v_lshrrev_b32_e32 v7, 6, v0
	v_cndmask_b32_e64 v8, v8, v9, s[18:19]
	v_and_b32_e32 v9, 3, v9
	v_cmp_gt_u32_e64 s[12:13], 4, v0
	v_cmp_lt_u32_e64 s[14:15], 63, v0
	v_lshlrev_b32_e32 v8, 2, v8
	v_cmp_eq_u32_e64 s[18:19], 0, v0
	v_cmp_eq_u32_e64 s[20:21], 0, v9
	v_cmp_lt_u32_e64 s[22:23], 1, v9
	v_add_u32_e32 v9, -1, v7
	s_movk_i32 s28, 0x64
	s_branch .LBB97_2
.LBB97_1:                               ;   in Loop: Header=BB97_2 Depth=1
	s_or_b64 exec, exec, s[24:25]
	v_and_b32_e32 v10, 0xff, v10
	ds_bpermute_b32 v10, v8, v10
	s_add_i32 s28, s28, -1
	s_cmp_lg_u32 s28, 0
	s_waitcnt lgkmcnt(0)
	v_cndmask_b32_e64 v10, v10, v11, s[16:17]
	v_cndmask_b32_e64 v10, v10, 0, s[18:19]
	v_add_u16_e32 v6, v10, v6
	v_add_u16_e32 v4, v6, v4
	;; [unrolled: 1-line block ×3, first 2 shown]
	s_cbranch_scc0 .LBB97_8
.LBB97_2:                               ; =>This Inner Loop Header: Depth=1
	s_waitcnt vmcnt(0)
	v_add_u16_e32 v10, v4, v6
	v_add_u16_e32 v10, v10, v1
	v_and_b32_e32 v11, 0xff, v10
	s_nop 1
	v_mov_b32_dpp v11, v11 row_shr:1 row_mask:0xf bank_mask:0xf
	v_cndmask_b32_e64 v11, v11, 0, vcc
	v_add_u16_e32 v10, v11, v10
	v_and_b32_e32 v11, 0xff, v10
	s_nop 1
	v_mov_b32_dpp v11, v11 row_shr:2 row_mask:0xf bank_mask:0xf
	v_cndmask_b32_e64 v11, 0, v11, s[0:1]
	v_add_u16_e32 v10, v10, v11
	v_and_b32_e32 v11, 0xff, v10
	s_nop 1
	v_mov_b32_dpp v11, v11 row_shr:4 row_mask:0xf bank_mask:0xf
	v_cndmask_b32_e64 v11, 0, v11, s[2:3]
	v_add_u16_e32 v10, v10, v11
	v_and_b32_e32 v11, 0xff, v10
	s_nop 1
	v_mov_b32_dpp v11, v11 row_shr:8 row_mask:0xf bank_mask:0xf
	v_cndmask_b32_e64 v11, 0, v11, s[4:5]
	v_add_u16_e32 v10, v10, v11
	v_and_b32_e32 v11, 0xff, v10
	s_nop 1
	v_mov_b32_dpp v11, v11 row_bcast:15 row_mask:0xf bank_mask:0xf
	v_cndmask_b32_e64 v11, v11, 0, s[6:7]
	v_add_u16_e32 v10, v10, v11
	v_and_b32_e32 v11, 0xff, v10
	s_nop 1
	v_mov_b32_dpp v11, v11 row_bcast:31 row_mask:0xf bank_mask:0xf
	v_cndmask_b32_e64 v11, 0, v11, s[8:9]
	v_add_u16_e32 v10, v10, v11
	s_and_saveexec_b64 s[24:25], s[10:11]
; %bb.3:                                ;   in Loop: Header=BB97_2 Depth=1
	ds_write_b8 v7, v10
; %bb.4:                                ;   in Loop: Header=BB97_2 Depth=1
	s_or_b64 exec, exec, s[24:25]
	s_waitcnt lgkmcnt(0)
	s_barrier
	s_and_saveexec_b64 s[24:25], s[12:13]
	s_cbranch_execz .LBB97_6
; %bb.5:                                ;   in Loop: Header=BB97_2 Depth=1
	ds_read_u8 v11, v0
	s_waitcnt lgkmcnt(0)
	v_and_b32_e32 v12, 0xff, v11
	s_nop 1
	v_mov_b32_dpp v12, v12 row_shr:1 row_mask:0xf bank_mask:0xf
	v_cndmask_b32_e64 v12, v12, 0, s[20:21]
	v_add_u16_e32 v11, v12, v11
	v_and_b32_e32 v12, 0xff, v11
	s_nop 1
	v_mov_b32_dpp v12, v12 row_shr:2 row_mask:0xf bank_mask:0xf
	v_cndmask_b32_e64 v12, 0, v12, s[22:23]
	v_add_u16_e32 v11, v11, v12
	ds_write_b8 v0, v11
.LBB97_6:                               ;   in Loop: Header=BB97_2 Depth=1
	s_or_b64 exec, exec, s[24:25]
	s_waitcnt lgkmcnt(0)
	s_barrier
                                        ; implicit-def: $vgpr11
	s_and_saveexec_b64 s[24:25], s[14:15]
	s_cbranch_execz .LBB97_1
; %bb.7:                                ;   in Loop: Header=BB97_2 Depth=1
	ds_read_u8 v11, v9
	s_waitcnt lgkmcnt(0)
	v_add_u16_e32 v10, v11, v10
	s_branch .LBB97_1
.LBB97_8:
	v_mov_b32_e32 v0, s27
	v_add_co_u32_e32 v7, vcc, s26, v5
	v_addc_co_u32_e32 v8, vcc, 0, v0, vcc
	v_add_co_u32_e32 v5, vcc, s26, v3
	global_store_byte v[7:8], v6, off
	v_addc_co_u32_e32 v6, vcc, 0, v0, vcc
	v_add_co_u32_e32 v2, vcc, s26, v2
	v_addc_co_u32_e32 v3, vcc, 0, v0, vcc
	global_store_byte v[5:6], v4, off
	global_store_byte v[2:3], v1, off
	s_endpgm
	.section	.rodata,"a",@progbits
	.p2align	6, 0x0
	.amdhsa_kernel _Z6kernelI14inclusive_scanILN6hipcub18BlockScanAlgorithmE0EEhLj256ELj3ELj100EEvPKT0_PS4_S4_
		.amdhsa_group_segment_fixed_size 4
		.amdhsa_private_segment_fixed_size 0
		.amdhsa_kernarg_size 280
		.amdhsa_user_sgpr_count 6
		.amdhsa_user_sgpr_private_segment_buffer 1
		.amdhsa_user_sgpr_dispatch_ptr 0
		.amdhsa_user_sgpr_queue_ptr 0
		.amdhsa_user_sgpr_kernarg_segment_ptr 1
		.amdhsa_user_sgpr_dispatch_id 0
		.amdhsa_user_sgpr_flat_scratch_init 0
		.amdhsa_user_sgpr_private_segment_size 0
		.amdhsa_uses_dynamic_stack 0
		.amdhsa_system_sgpr_private_segment_wavefront_offset 0
		.amdhsa_system_sgpr_workgroup_id_x 1
		.amdhsa_system_sgpr_workgroup_id_y 0
		.amdhsa_system_sgpr_workgroup_id_z 0
		.amdhsa_system_sgpr_workgroup_info 0
		.amdhsa_system_vgpr_workitem_id 0
		.amdhsa_next_free_vgpr 13
		.amdhsa_next_free_sgpr 29
		.amdhsa_reserve_vcc 1
		.amdhsa_reserve_flat_scratch 0
		.amdhsa_float_round_mode_32 0
		.amdhsa_float_round_mode_16_64 0
		.amdhsa_float_denorm_mode_32 3
		.amdhsa_float_denorm_mode_16_64 3
		.amdhsa_dx10_clamp 1
		.amdhsa_ieee_mode 1
		.amdhsa_fp16_overflow 0
		.amdhsa_exception_fp_ieee_invalid_op 0
		.amdhsa_exception_fp_denorm_src 0
		.amdhsa_exception_fp_ieee_div_zero 0
		.amdhsa_exception_fp_ieee_overflow 0
		.amdhsa_exception_fp_ieee_underflow 0
		.amdhsa_exception_fp_ieee_inexact 0
		.amdhsa_exception_int_div_zero 0
	.end_amdhsa_kernel
	.section	.text._Z6kernelI14inclusive_scanILN6hipcub18BlockScanAlgorithmE0EEhLj256ELj3ELj100EEvPKT0_PS4_S4_,"axG",@progbits,_Z6kernelI14inclusive_scanILN6hipcub18BlockScanAlgorithmE0EEhLj256ELj3ELj100EEvPKT0_PS4_S4_,comdat
.Lfunc_end97:
	.size	_Z6kernelI14inclusive_scanILN6hipcub18BlockScanAlgorithmE0EEhLj256ELj3ELj100EEvPKT0_PS4_S4_, .Lfunc_end97-_Z6kernelI14inclusive_scanILN6hipcub18BlockScanAlgorithmE0EEhLj256ELj3ELj100EEvPKT0_PS4_S4_
                                        ; -- End function
	.set _Z6kernelI14inclusive_scanILN6hipcub18BlockScanAlgorithmE0EEhLj256ELj3ELj100EEvPKT0_PS4_S4_.num_vgpr, 13
	.set _Z6kernelI14inclusive_scanILN6hipcub18BlockScanAlgorithmE0EEhLj256ELj3ELj100EEvPKT0_PS4_S4_.num_agpr, 0
	.set _Z6kernelI14inclusive_scanILN6hipcub18BlockScanAlgorithmE0EEhLj256ELj3ELj100EEvPKT0_PS4_S4_.numbered_sgpr, 29
	.set _Z6kernelI14inclusive_scanILN6hipcub18BlockScanAlgorithmE0EEhLj256ELj3ELj100EEvPKT0_PS4_S4_.num_named_barrier, 0
	.set _Z6kernelI14inclusive_scanILN6hipcub18BlockScanAlgorithmE0EEhLj256ELj3ELj100EEvPKT0_PS4_S4_.private_seg_size, 0
	.set _Z6kernelI14inclusive_scanILN6hipcub18BlockScanAlgorithmE0EEhLj256ELj3ELj100EEvPKT0_PS4_S4_.uses_vcc, 1
	.set _Z6kernelI14inclusive_scanILN6hipcub18BlockScanAlgorithmE0EEhLj256ELj3ELj100EEvPKT0_PS4_S4_.uses_flat_scratch, 0
	.set _Z6kernelI14inclusive_scanILN6hipcub18BlockScanAlgorithmE0EEhLj256ELj3ELj100EEvPKT0_PS4_S4_.has_dyn_sized_stack, 0
	.set _Z6kernelI14inclusive_scanILN6hipcub18BlockScanAlgorithmE0EEhLj256ELj3ELj100EEvPKT0_PS4_S4_.has_recursion, 0
	.set _Z6kernelI14inclusive_scanILN6hipcub18BlockScanAlgorithmE0EEhLj256ELj3ELj100EEvPKT0_PS4_S4_.has_indirect_call, 0
	.section	.AMDGPU.csdata,"",@progbits
; Kernel info:
; codeLenInByte = 728
; TotalNumSgprs: 33
; NumVgprs: 13
; ScratchSize: 0
; MemoryBound: 0
; FloatMode: 240
; IeeeMode: 1
; LDSByteSize: 4 bytes/workgroup (compile time only)
; SGPRBlocks: 4
; VGPRBlocks: 3
; NumSGPRsForWavesPerEU: 33
; NumVGPRsForWavesPerEU: 13
; Occupancy: 10
; WaveLimiterHint : 0
; COMPUTE_PGM_RSRC2:SCRATCH_EN: 0
; COMPUTE_PGM_RSRC2:USER_SGPR: 6
; COMPUTE_PGM_RSRC2:TRAP_HANDLER: 0
; COMPUTE_PGM_RSRC2:TGID_X_EN: 1
; COMPUTE_PGM_RSRC2:TGID_Y_EN: 0
; COMPUTE_PGM_RSRC2:TGID_Z_EN: 0
; COMPUTE_PGM_RSRC2:TIDIG_COMP_CNT: 0
	.section	.text._Z6kernelI14inclusive_scanILN6hipcub18BlockScanAlgorithmE0EEhLj256ELj4ELj100EEvPKT0_PS4_S4_,"axG",@progbits,_Z6kernelI14inclusive_scanILN6hipcub18BlockScanAlgorithmE0EEhLj256ELj4ELj100EEvPKT0_PS4_S4_,comdat
	.protected	_Z6kernelI14inclusive_scanILN6hipcub18BlockScanAlgorithmE0EEhLj256ELj4ELj100EEvPKT0_PS4_S4_ ; -- Begin function _Z6kernelI14inclusive_scanILN6hipcub18BlockScanAlgorithmE0EEhLj256ELj4ELj100EEvPKT0_PS4_S4_
	.globl	_Z6kernelI14inclusive_scanILN6hipcub18BlockScanAlgorithmE0EEhLj256ELj4ELj100EEvPKT0_PS4_S4_
	.p2align	8
	.type	_Z6kernelI14inclusive_scanILN6hipcub18BlockScanAlgorithmE0EEhLj256ELj4ELj100EEvPKT0_PS4_S4_,@function
_Z6kernelI14inclusive_scanILN6hipcub18BlockScanAlgorithmE0EEhLj256ELj4ELj100EEvPKT0_PS4_S4_: ; @_Z6kernelI14inclusive_scanILN6hipcub18BlockScanAlgorithmE0EEhLj256ELj4ELj100EEvPKT0_PS4_S4_
; %bb.0:
	s_load_dword s0, s[4:5], 0x24
	s_load_dwordx4 s[24:27], s[4:5], 0x0
	v_mbcnt_lo_u32_b32 v3, -1, 0
	v_mbcnt_hi_u32_b32 v5, -1, v3
	v_subrev_co_u32_e64 v8, s[8:9], 1, v5
	s_waitcnt lgkmcnt(0)
	s_and_b32 s0, s0, 0xffff
	s_mul_i32 s6, s6, s0
	v_add_lshl_u32 v1, s6, v0, 2
	global_load_dword v2, v1, s[24:25]
	v_and_b32_e32 v9, 64, v5
	v_cmp_lt_i32_e64 s[20:21], v8, v9
	v_lshrrev_b32_e32 v3, 6, v0
	v_or_b32_e32 v4, 63, v0
	v_and_b32_e32 v6, 15, v5
	v_and_b32_e32 v7, 16, v5
	v_cmp_lt_u32_e64 s[4:5], 31, v5
	v_and_b32_e32 v10, 3, v5
	v_cndmask_b32_e64 v5, v8, v5, s[20:21]
	v_cmp_gt_u32_e32 vcc, 4, v0
	v_cmp_lt_u32_e64 s[0:1], 63, v0
	v_cmp_eq_u32_e64 s[2:3], 0, v0
	v_cmp_eq_u32_e64 s[6:7], v0, v4
	v_add_u32_e32 v4, -1, v3
	v_cmp_eq_u32_e64 s[10:11], 0, v6
	v_cmp_lt_u32_e64 s[12:13], 1, v6
	v_cmp_lt_u32_e64 s[14:15], 3, v6
	;; [unrolled: 1-line block ×3, first 2 shown]
	v_cmp_eq_u32_e64 s[18:19], 0, v7
	v_cmp_eq_u32_e64 s[20:21], 0, v10
	v_cmp_lt_u32_e64 s[22:23], 1, v10
	v_lshlrev_b32_e32 v7, 2, v5
	s_movk_i32 s28, 0x64
	s_waitcnt vmcnt(0)
	v_lshrrev_b32_e32 v6, 24, v2
	v_lshrrev_b32_e32 v5, 16, v2
	;; [unrolled: 1-line block ×3, first 2 shown]
	s_branch .LBB98_2
.LBB98_1:                               ;   in Loop: Header=BB98_2 Depth=1
	s_or_b64 exec, exec, s[24:25]
	v_and_b32_e32 v9, 0xff, v9
	ds_bpermute_b32 v9, v7, v9
	s_add_i32 s28, s28, -1
	s_cmp_lg_u32 s28, 0
	s_waitcnt lgkmcnt(0)
	v_cndmask_b32_e64 v9, v9, v10, s[8:9]
	v_cndmask_b32_e64 v9, v9, 0, s[2:3]
	v_add_u16_e32 v2, v9, v2
	v_add_u16_e32 v8, v2, v8
	;; [unrolled: 1-line block ×4, first 2 shown]
	s_cbranch_scc0 .LBB98_8
.LBB98_2:                               ; =>This Inner Loop Header: Depth=1
	v_add_u16_e32 v9, v8, v2
	v_add_u16_e32 v9, v9, v5
	;; [unrolled: 1-line block ×3, first 2 shown]
	v_and_b32_e32 v10, 0xff, v9
	s_nop 1
	v_mov_b32_dpp v10, v10 row_shr:1 row_mask:0xf bank_mask:0xf
	v_cndmask_b32_e64 v10, v10, 0, s[10:11]
	v_add_u16_e32 v9, v9, v10
	v_and_b32_e32 v10, 0xff, v9
	s_nop 1
	v_mov_b32_dpp v10, v10 row_shr:2 row_mask:0xf bank_mask:0xf
	v_cndmask_b32_e64 v10, 0, v10, s[12:13]
	v_add_u16_e32 v9, v9, v10
	;; [unrolled: 5-line block ×4, first 2 shown]
	v_and_b32_e32 v10, 0xff, v9
	s_nop 1
	v_mov_b32_dpp v10, v10 row_bcast:15 row_mask:0xf bank_mask:0xf
	v_cndmask_b32_e64 v10, v10, 0, s[18:19]
	v_add_u16_e32 v9, v9, v10
	v_and_b32_e32 v10, 0xff, v9
	s_nop 1
	v_mov_b32_dpp v10, v10 row_bcast:31 row_mask:0xf bank_mask:0xf
	v_cndmask_b32_e64 v10, 0, v10, s[4:5]
	v_add_u16_e32 v9, v9, v10
	s_and_saveexec_b64 s[24:25], s[6:7]
; %bb.3:                                ;   in Loop: Header=BB98_2 Depth=1
	ds_write_b8 v3, v9
; %bb.4:                                ;   in Loop: Header=BB98_2 Depth=1
	s_or_b64 exec, exec, s[24:25]
	s_waitcnt lgkmcnt(0)
	s_barrier
	s_and_saveexec_b64 s[24:25], vcc
	s_cbranch_execz .LBB98_6
; %bb.5:                                ;   in Loop: Header=BB98_2 Depth=1
	ds_read_u8 v10, v0
	s_waitcnt lgkmcnt(0)
	v_and_b32_e32 v11, 0xff, v10
	s_nop 1
	v_mov_b32_dpp v11, v11 row_shr:1 row_mask:0xf bank_mask:0xf
	v_cndmask_b32_e64 v11, v11, 0, s[20:21]
	v_add_u16_e32 v10, v11, v10
	v_and_b32_e32 v11, 0xff, v10
	s_nop 1
	v_mov_b32_dpp v11, v11 row_shr:2 row_mask:0xf bank_mask:0xf
	v_cndmask_b32_e64 v11, 0, v11, s[22:23]
	v_add_u16_e32 v10, v10, v11
	ds_write_b8 v0, v10
.LBB98_6:                               ;   in Loop: Header=BB98_2 Depth=1
	s_or_b64 exec, exec, s[24:25]
	s_waitcnt lgkmcnt(0)
	s_barrier
                                        ; implicit-def: $vgpr10
	s_and_saveexec_b64 s[24:25], s[0:1]
	s_cbranch_execz .LBB98_1
; %bb.7:                                ;   in Loop: Header=BB98_2 Depth=1
	ds_read_u8 v10, v4
	s_waitcnt lgkmcnt(0)
	v_add_u16_e32 v9, v10, v9
	s_branch .LBB98_1
.LBB98_8:
	v_lshlrev_b16_e32 v0, 8, v8
	v_or_b32_sdwa v0, v2, v0 dst_sel:DWORD dst_unused:UNUSED_PAD src0_sel:BYTE_0 src1_sel:DWORD
	v_lshlrev_b16_e32 v2, 8, v6
	v_or_b32_sdwa v2, v5, v2 dst_sel:WORD_1 dst_unused:UNUSED_PAD src0_sel:BYTE_0 src1_sel:DWORD
	v_or_b32_sdwa v2, v0, v2 dst_sel:DWORD dst_unused:UNUSED_PAD src0_sel:WORD_0 src1_sel:DWORD
	v_mov_b32_e32 v3, s27
	v_add_co_u32_e32 v0, vcc, s26, v1
	v_addc_co_u32_e32 v1, vcc, 0, v3, vcc
	global_store_dword v[0:1], v2, off
	s_endpgm
	.section	.rodata,"a",@progbits
	.p2align	6, 0x0
	.amdhsa_kernel _Z6kernelI14inclusive_scanILN6hipcub18BlockScanAlgorithmE0EEhLj256ELj4ELj100EEvPKT0_PS4_S4_
		.amdhsa_group_segment_fixed_size 4
		.amdhsa_private_segment_fixed_size 0
		.amdhsa_kernarg_size 280
		.amdhsa_user_sgpr_count 6
		.amdhsa_user_sgpr_private_segment_buffer 1
		.amdhsa_user_sgpr_dispatch_ptr 0
		.amdhsa_user_sgpr_queue_ptr 0
		.amdhsa_user_sgpr_kernarg_segment_ptr 1
		.amdhsa_user_sgpr_dispatch_id 0
		.amdhsa_user_sgpr_flat_scratch_init 0
		.amdhsa_user_sgpr_private_segment_size 0
		.amdhsa_uses_dynamic_stack 0
		.amdhsa_system_sgpr_private_segment_wavefront_offset 0
		.amdhsa_system_sgpr_workgroup_id_x 1
		.amdhsa_system_sgpr_workgroup_id_y 0
		.amdhsa_system_sgpr_workgroup_id_z 0
		.amdhsa_system_sgpr_workgroup_info 0
		.amdhsa_system_vgpr_workitem_id 0
		.amdhsa_next_free_vgpr 12
		.amdhsa_next_free_sgpr 29
		.amdhsa_reserve_vcc 1
		.amdhsa_reserve_flat_scratch 0
		.amdhsa_float_round_mode_32 0
		.amdhsa_float_round_mode_16_64 0
		.amdhsa_float_denorm_mode_32 3
		.amdhsa_float_denorm_mode_16_64 3
		.amdhsa_dx10_clamp 1
		.amdhsa_ieee_mode 1
		.amdhsa_fp16_overflow 0
		.amdhsa_exception_fp_ieee_invalid_op 0
		.amdhsa_exception_fp_denorm_src 0
		.amdhsa_exception_fp_ieee_div_zero 0
		.amdhsa_exception_fp_ieee_overflow 0
		.amdhsa_exception_fp_ieee_underflow 0
		.amdhsa_exception_fp_ieee_inexact 0
		.amdhsa_exception_int_div_zero 0
	.end_amdhsa_kernel
	.section	.text._Z6kernelI14inclusive_scanILN6hipcub18BlockScanAlgorithmE0EEhLj256ELj4ELj100EEvPKT0_PS4_S4_,"axG",@progbits,_Z6kernelI14inclusive_scanILN6hipcub18BlockScanAlgorithmE0EEhLj256ELj4ELj100EEvPKT0_PS4_S4_,comdat
.Lfunc_end98:
	.size	_Z6kernelI14inclusive_scanILN6hipcub18BlockScanAlgorithmE0EEhLj256ELj4ELj100EEvPKT0_PS4_S4_, .Lfunc_end98-_Z6kernelI14inclusive_scanILN6hipcub18BlockScanAlgorithmE0EEhLj256ELj4ELj100EEvPKT0_PS4_S4_
                                        ; -- End function
	.set _Z6kernelI14inclusive_scanILN6hipcub18BlockScanAlgorithmE0EEhLj256ELj4ELj100EEvPKT0_PS4_S4_.num_vgpr, 12
	.set _Z6kernelI14inclusive_scanILN6hipcub18BlockScanAlgorithmE0EEhLj256ELj4ELj100EEvPKT0_PS4_S4_.num_agpr, 0
	.set _Z6kernelI14inclusive_scanILN6hipcub18BlockScanAlgorithmE0EEhLj256ELj4ELj100EEvPKT0_PS4_S4_.numbered_sgpr, 29
	.set _Z6kernelI14inclusive_scanILN6hipcub18BlockScanAlgorithmE0EEhLj256ELj4ELj100EEvPKT0_PS4_S4_.num_named_barrier, 0
	.set _Z6kernelI14inclusive_scanILN6hipcub18BlockScanAlgorithmE0EEhLj256ELj4ELj100EEvPKT0_PS4_S4_.private_seg_size, 0
	.set _Z6kernelI14inclusive_scanILN6hipcub18BlockScanAlgorithmE0EEhLj256ELj4ELj100EEvPKT0_PS4_S4_.uses_vcc, 1
	.set _Z6kernelI14inclusive_scanILN6hipcub18BlockScanAlgorithmE0EEhLj256ELj4ELj100EEvPKT0_PS4_S4_.uses_flat_scratch, 0
	.set _Z6kernelI14inclusive_scanILN6hipcub18BlockScanAlgorithmE0EEhLj256ELj4ELj100EEvPKT0_PS4_S4_.has_dyn_sized_stack, 0
	.set _Z6kernelI14inclusive_scanILN6hipcub18BlockScanAlgorithmE0EEhLj256ELj4ELj100EEvPKT0_PS4_S4_.has_recursion, 0
	.set _Z6kernelI14inclusive_scanILN6hipcub18BlockScanAlgorithmE0EEhLj256ELj4ELj100EEvPKT0_PS4_S4_.has_indirect_call, 0
	.section	.AMDGPU.csdata,"",@progbits
; Kernel info:
; codeLenInByte = 720
; TotalNumSgprs: 33
; NumVgprs: 12
; ScratchSize: 0
; MemoryBound: 0
; FloatMode: 240
; IeeeMode: 1
; LDSByteSize: 4 bytes/workgroup (compile time only)
; SGPRBlocks: 4
; VGPRBlocks: 2
; NumSGPRsForWavesPerEU: 33
; NumVGPRsForWavesPerEU: 12
; Occupancy: 10
; WaveLimiterHint : 0
; COMPUTE_PGM_RSRC2:SCRATCH_EN: 0
; COMPUTE_PGM_RSRC2:USER_SGPR: 6
; COMPUTE_PGM_RSRC2:TRAP_HANDLER: 0
; COMPUTE_PGM_RSRC2:TGID_X_EN: 1
; COMPUTE_PGM_RSRC2:TGID_Y_EN: 0
; COMPUTE_PGM_RSRC2:TGID_Z_EN: 0
; COMPUTE_PGM_RSRC2:TIDIG_COMP_CNT: 0
	.section	.text._Z6kernelI14inclusive_scanILN6hipcub18BlockScanAlgorithmE0EEhLj256ELj8ELj100EEvPKT0_PS4_S4_,"axG",@progbits,_Z6kernelI14inclusive_scanILN6hipcub18BlockScanAlgorithmE0EEhLj256ELj8ELj100EEvPKT0_PS4_S4_,comdat
	.protected	_Z6kernelI14inclusive_scanILN6hipcub18BlockScanAlgorithmE0EEhLj256ELj8ELj100EEvPKT0_PS4_S4_ ; -- Begin function _Z6kernelI14inclusive_scanILN6hipcub18BlockScanAlgorithmE0EEhLj256ELj8ELj100EEvPKT0_PS4_S4_
	.globl	_Z6kernelI14inclusive_scanILN6hipcub18BlockScanAlgorithmE0EEhLj256ELj8ELj100EEvPKT0_PS4_S4_
	.p2align	8
	.type	_Z6kernelI14inclusive_scanILN6hipcub18BlockScanAlgorithmE0EEhLj256ELj8ELj100EEvPKT0_PS4_S4_,@function
_Z6kernelI14inclusive_scanILN6hipcub18BlockScanAlgorithmE0EEhLj256ELj8ELj100EEvPKT0_PS4_S4_: ; @_Z6kernelI14inclusive_scanILN6hipcub18BlockScanAlgorithmE0EEhLj256ELj8ELj100EEvPKT0_PS4_S4_
; %bb.0:
	s_load_dword s0, s[4:5], 0x24
	s_load_dwordx4 s[24:27], s[4:5], 0x0
	v_mbcnt_lo_u32_b32 v4, -1, 0
	v_mbcnt_hi_u32_b32 v6, -1, v4
	v_or_b32_e32 v5, 63, v0
	s_waitcnt lgkmcnt(0)
	s_and_b32 s0, s0, 0xffff
	s_mul_i32 s6, s6, s0
	v_add_lshl_u32 v3, s6, v0, 3
	global_load_dwordx2 v[1:2], v3, s[24:25]
	v_and_b32_e32 v4, 15, v6
	v_cmp_eq_u32_e64 s[10:11], v0, v5
	v_subrev_co_u32_e64 v5, s[16:17], 1, v6
	v_and_b32_e32 v7, 64, v6
	v_cmp_eq_u32_e32 vcc, 0, v4
	v_cmp_lt_u32_e64 s[0:1], 1, v4
	v_cmp_lt_u32_e64 s[2:3], 3, v4
	;; [unrolled: 1-line block ×3, first 2 shown]
	v_and_b32_e32 v4, 16, v6
	v_cmp_lt_i32_e64 s[18:19], v5, v7
	v_cmp_eq_u32_e64 s[6:7], 0, v4
	v_cmp_lt_u32_e64 s[8:9], 31, v6
	v_lshrrev_b32_e32 v4, 6, v0
	v_cndmask_b32_e64 v5, v5, v6, s[18:19]
	v_and_b32_e32 v6, 3, v6
	v_cmp_gt_u32_e64 s[12:13], 4, v0
	v_cmp_lt_u32_e64 s[14:15], 63, v0
	v_lshlrev_b32_e32 v5, 2, v5
	v_cmp_eq_u32_e64 s[18:19], 0, v0
	v_cmp_eq_u32_e64 s[20:21], 0, v6
	v_cmp_lt_u32_e64 s[22:23], 1, v6
	v_add_u32_e32 v6, -1, v4
	s_movk_i32 s28, 0x64
	s_branch .LBB99_2
.LBB99_1:                               ;   in Loop: Header=BB99_2 Depth=1
	s_or_b64 exec, exec, s[24:25]
	v_and_b32_e32 v9, 0xff, v9
	ds_bpermute_b32 v9, v5, v9
	s_add_i32 s28, s28, -1
	s_cmp_lg_u32 s28, 0
	s_waitcnt lgkmcnt(0)
	v_cndmask_b32_e64 v9, v9, v10, s[16:17]
	v_cndmask_b32_e64 v9, v9, 0, s[18:19]
	v_add_u16_e32 v9, v9, v1
	v_add_u16_e32 v8, v9, v8
	v_add_u16_sdwa v10, v8, v1 dst_sel:DWORD dst_unused:UNUSED_PAD src0_sel:DWORD src1_sel:WORD_1
	v_lshlrev_b16_e32 v12, 8, v8
	v_add_u16_sdwa v11, v10, v1 dst_sel:DWORD dst_unused:UNUSED_PAD src0_sel:DWORD src1_sel:BYTE_3
	v_or_b32_sdwa v1, v9, v12 dst_sel:DWORD dst_unused:UNUSED_PAD src0_sel:BYTE_0 src1_sel:DWORD
	v_add_u16_e32 v12, v11, v2
	v_lshlrev_b16_e32 v13, 8, v11
	v_add_u16_e32 v7, v12, v7
	v_or_b32_sdwa v15, v10, v13 dst_sel:WORD_1 dst_unused:UNUSED_PAD src0_sel:BYTE_0 src1_sel:DWORD
	v_add_u16_sdwa v13, v7, v2 dst_sel:DWORD dst_unused:UNUSED_PAD src0_sel:DWORD src1_sel:WORD_1
	v_add_u16_sdwa v14, v13, v2 dst_sel:DWORD dst_unused:UNUSED_PAD src0_sel:DWORD src1_sel:BYTE_3
	v_or_b32_sdwa v1, v1, v15 dst_sel:DWORD dst_unused:UNUSED_PAD src0_sel:WORD_0 src1_sel:DWORD
	v_lshlrev_b16_e32 v2, 8, v7
	v_lshlrev_b16_e32 v15, 8, v14
	v_or_b32_sdwa v2, v12, v2 dst_sel:DWORD dst_unused:UNUSED_PAD src0_sel:BYTE_0 src1_sel:DWORD
	v_or_b32_sdwa v15, v13, v15 dst_sel:WORD_1 dst_unused:UNUSED_PAD src0_sel:BYTE_0 src1_sel:DWORD
	v_or_b32_sdwa v2, v2, v15 dst_sel:DWORD dst_unused:UNUSED_PAD src0_sel:WORD_0 src1_sel:DWORD
	s_cbranch_scc0 .LBB99_8
.LBB99_2:                               ; =>This Inner Loop Header: Depth=1
	s_waitcnt vmcnt(0)
	v_lshrrev_b32_e32 v8, 8, v1
	v_add_u16_e32 v9, v8, v1
	v_add_u16_sdwa v9, v9, v1 dst_sel:DWORD dst_unused:UNUSED_PAD src0_sel:DWORD src1_sel:WORD_1
	v_add_u16_sdwa v9, v9, v1 dst_sel:DWORD dst_unused:UNUSED_PAD src0_sel:DWORD src1_sel:BYTE_3
	v_lshrrev_b32_e32 v7, 8, v2
	v_add_u16_e32 v9, v9, v2
	v_add_u16_e32 v9, v9, v7
	v_add_u16_sdwa v9, v9, v2 dst_sel:DWORD dst_unused:UNUSED_PAD src0_sel:DWORD src1_sel:WORD_1
	v_add_u16_sdwa v9, v9, v2 dst_sel:DWORD dst_unused:UNUSED_PAD src0_sel:DWORD src1_sel:BYTE_3
	v_and_b32_e32 v10, 0xff, v9
	s_nop 1
	v_mov_b32_dpp v10, v10 row_shr:1 row_mask:0xf bank_mask:0xf
	v_cndmask_b32_e64 v10, v10, 0, vcc
	v_add_u16_e32 v9, v9, v10
	v_and_b32_e32 v10, 0xff, v9
	s_nop 1
	v_mov_b32_dpp v10, v10 row_shr:2 row_mask:0xf bank_mask:0xf
	v_cndmask_b32_e64 v10, 0, v10, s[0:1]
	v_add_u16_e32 v9, v9, v10
	v_and_b32_e32 v10, 0xff, v9
	s_nop 1
	v_mov_b32_dpp v10, v10 row_shr:4 row_mask:0xf bank_mask:0xf
	v_cndmask_b32_e64 v10, 0, v10, s[2:3]
	;; [unrolled: 5-line block ×3, first 2 shown]
	v_add_u16_e32 v9, v9, v10
	v_and_b32_e32 v10, 0xff, v9
	s_nop 1
	v_mov_b32_dpp v10, v10 row_bcast:15 row_mask:0xf bank_mask:0xf
	v_cndmask_b32_e64 v10, v10, 0, s[6:7]
	v_add_u16_e32 v9, v9, v10
	v_and_b32_e32 v10, 0xff, v9
	s_nop 1
	v_mov_b32_dpp v10, v10 row_bcast:31 row_mask:0xf bank_mask:0xf
	v_cndmask_b32_e64 v10, 0, v10, s[8:9]
	v_add_u16_e32 v9, v9, v10
	s_and_saveexec_b64 s[24:25], s[10:11]
; %bb.3:                                ;   in Loop: Header=BB99_2 Depth=1
	ds_write_b8 v4, v9
; %bb.4:                                ;   in Loop: Header=BB99_2 Depth=1
	s_or_b64 exec, exec, s[24:25]
	s_waitcnt lgkmcnt(0)
	s_barrier
	s_and_saveexec_b64 s[24:25], s[12:13]
	s_cbranch_execz .LBB99_6
; %bb.5:                                ;   in Loop: Header=BB99_2 Depth=1
	ds_read_u8 v10, v0
	s_waitcnt lgkmcnt(0)
	v_and_b32_e32 v11, 0xff, v10
	s_nop 1
	v_mov_b32_dpp v11, v11 row_shr:1 row_mask:0xf bank_mask:0xf
	v_cndmask_b32_e64 v11, v11, 0, s[20:21]
	v_add_u16_e32 v10, v11, v10
	v_and_b32_e32 v11, 0xff, v10
	s_nop 1
	v_mov_b32_dpp v11, v11 row_shr:2 row_mask:0xf bank_mask:0xf
	v_cndmask_b32_e64 v11, 0, v11, s[22:23]
	v_add_u16_e32 v10, v10, v11
	ds_write_b8 v0, v10
.LBB99_6:                               ;   in Loop: Header=BB99_2 Depth=1
	s_or_b64 exec, exec, s[24:25]
	s_waitcnt lgkmcnt(0)
	s_barrier
                                        ; implicit-def: $vgpr10
	s_and_saveexec_b64 s[24:25], s[14:15]
	s_cbranch_execz .LBB99_1
; %bb.7:                                ;   in Loop: Header=BB99_2 Depth=1
	ds_read_u8 v10, v6
	s_waitcnt lgkmcnt(0)
	v_add_u16_e32 v9, v10, v9
	s_branch .LBB99_1
.LBB99_8:
	s_mov_b32 s0, 0xc0c0004
	v_add_co_u32_e32 v0, vcc, s26, v3
	v_perm_b32 v2, v12, v7, s0
	v_perm_b32 v3, v13, v14, s0
	v_mov_b32_e32 v1, s27
	v_lshl_or_b32 v3, v3, 16, v2
	v_perm_b32 v2, v9, v8, s0
	v_perm_b32 v4, v10, v11, s0
	v_addc_co_u32_e32 v1, vcc, 0, v1, vcc
	v_lshl_or_b32 v2, v4, 16, v2
	global_store_dwordx2 v[0:1], v[2:3], off
	s_endpgm
	.section	.rodata,"a",@progbits
	.p2align	6, 0x0
	.amdhsa_kernel _Z6kernelI14inclusive_scanILN6hipcub18BlockScanAlgorithmE0EEhLj256ELj8ELj100EEvPKT0_PS4_S4_
		.amdhsa_group_segment_fixed_size 4
		.amdhsa_private_segment_fixed_size 0
		.amdhsa_kernarg_size 280
		.amdhsa_user_sgpr_count 6
		.amdhsa_user_sgpr_private_segment_buffer 1
		.amdhsa_user_sgpr_dispatch_ptr 0
		.amdhsa_user_sgpr_queue_ptr 0
		.amdhsa_user_sgpr_kernarg_segment_ptr 1
		.amdhsa_user_sgpr_dispatch_id 0
		.amdhsa_user_sgpr_flat_scratch_init 0
		.amdhsa_user_sgpr_private_segment_size 0
		.amdhsa_uses_dynamic_stack 0
		.amdhsa_system_sgpr_private_segment_wavefront_offset 0
		.amdhsa_system_sgpr_workgroup_id_x 1
		.amdhsa_system_sgpr_workgroup_id_y 0
		.amdhsa_system_sgpr_workgroup_id_z 0
		.amdhsa_system_sgpr_workgroup_info 0
		.amdhsa_system_vgpr_workitem_id 0
		.amdhsa_next_free_vgpr 16
		.amdhsa_next_free_sgpr 29
		.amdhsa_reserve_vcc 1
		.amdhsa_reserve_flat_scratch 0
		.amdhsa_float_round_mode_32 0
		.amdhsa_float_round_mode_16_64 0
		.amdhsa_float_denorm_mode_32 3
		.amdhsa_float_denorm_mode_16_64 3
		.amdhsa_dx10_clamp 1
		.amdhsa_ieee_mode 1
		.amdhsa_fp16_overflow 0
		.amdhsa_exception_fp_ieee_invalid_op 0
		.amdhsa_exception_fp_denorm_src 0
		.amdhsa_exception_fp_ieee_div_zero 0
		.amdhsa_exception_fp_ieee_overflow 0
		.amdhsa_exception_fp_ieee_underflow 0
		.amdhsa_exception_fp_ieee_inexact 0
		.amdhsa_exception_int_div_zero 0
	.end_amdhsa_kernel
	.section	.text._Z6kernelI14inclusive_scanILN6hipcub18BlockScanAlgorithmE0EEhLj256ELj8ELj100EEvPKT0_PS4_S4_,"axG",@progbits,_Z6kernelI14inclusive_scanILN6hipcub18BlockScanAlgorithmE0EEhLj256ELj8ELj100EEvPKT0_PS4_S4_,comdat
.Lfunc_end99:
	.size	_Z6kernelI14inclusive_scanILN6hipcub18BlockScanAlgorithmE0EEhLj256ELj8ELj100EEvPKT0_PS4_S4_, .Lfunc_end99-_Z6kernelI14inclusive_scanILN6hipcub18BlockScanAlgorithmE0EEhLj256ELj8ELj100EEvPKT0_PS4_S4_
                                        ; -- End function
	.set _Z6kernelI14inclusive_scanILN6hipcub18BlockScanAlgorithmE0EEhLj256ELj8ELj100EEvPKT0_PS4_S4_.num_vgpr, 16
	.set _Z6kernelI14inclusive_scanILN6hipcub18BlockScanAlgorithmE0EEhLj256ELj8ELj100EEvPKT0_PS4_S4_.num_agpr, 0
	.set _Z6kernelI14inclusive_scanILN6hipcub18BlockScanAlgorithmE0EEhLj256ELj8ELj100EEvPKT0_PS4_S4_.numbered_sgpr, 29
	.set _Z6kernelI14inclusive_scanILN6hipcub18BlockScanAlgorithmE0EEhLj256ELj8ELj100EEvPKT0_PS4_S4_.num_named_barrier, 0
	.set _Z6kernelI14inclusive_scanILN6hipcub18BlockScanAlgorithmE0EEhLj256ELj8ELj100EEvPKT0_PS4_S4_.private_seg_size, 0
	.set _Z6kernelI14inclusive_scanILN6hipcub18BlockScanAlgorithmE0EEhLj256ELj8ELj100EEvPKT0_PS4_S4_.uses_vcc, 1
	.set _Z6kernelI14inclusive_scanILN6hipcub18BlockScanAlgorithmE0EEhLj256ELj8ELj100EEvPKT0_PS4_S4_.uses_flat_scratch, 0
	.set _Z6kernelI14inclusive_scanILN6hipcub18BlockScanAlgorithmE0EEhLj256ELj8ELj100EEvPKT0_PS4_S4_.has_dyn_sized_stack, 0
	.set _Z6kernelI14inclusive_scanILN6hipcub18BlockScanAlgorithmE0EEhLj256ELj8ELj100EEvPKT0_PS4_S4_.has_recursion, 0
	.set _Z6kernelI14inclusive_scanILN6hipcub18BlockScanAlgorithmE0EEhLj256ELj8ELj100EEvPKT0_PS4_S4_.has_indirect_call, 0
	.section	.AMDGPU.csdata,"",@progbits
; Kernel info:
; codeLenInByte = 868
; TotalNumSgprs: 33
; NumVgprs: 16
; ScratchSize: 0
; MemoryBound: 0
; FloatMode: 240
; IeeeMode: 1
; LDSByteSize: 4 bytes/workgroup (compile time only)
; SGPRBlocks: 4
; VGPRBlocks: 3
; NumSGPRsForWavesPerEU: 33
; NumVGPRsForWavesPerEU: 16
; Occupancy: 10
; WaveLimiterHint : 0
; COMPUTE_PGM_RSRC2:SCRATCH_EN: 0
; COMPUTE_PGM_RSRC2:USER_SGPR: 6
; COMPUTE_PGM_RSRC2:TRAP_HANDLER: 0
; COMPUTE_PGM_RSRC2:TGID_X_EN: 1
; COMPUTE_PGM_RSRC2:TGID_Y_EN: 0
; COMPUTE_PGM_RSRC2:TGID_Z_EN: 0
; COMPUTE_PGM_RSRC2:TIDIG_COMP_CNT: 0
	.section	.text._Z6kernelI14inclusive_scanILN6hipcub18BlockScanAlgorithmE0EEhLj256ELj11ELj100EEvPKT0_PS4_S4_,"axG",@progbits,_Z6kernelI14inclusive_scanILN6hipcub18BlockScanAlgorithmE0EEhLj256ELj11ELj100EEvPKT0_PS4_S4_,comdat
	.protected	_Z6kernelI14inclusive_scanILN6hipcub18BlockScanAlgorithmE0EEhLj256ELj11ELj100EEvPKT0_PS4_S4_ ; -- Begin function _Z6kernelI14inclusive_scanILN6hipcub18BlockScanAlgorithmE0EEhLj256ELj11ELj100EEvPKT0_PS4_S4_
	.globl	_Z6kernelI14inclusive_scanILN6hipcub18BlockScanAlgorithmE0EEhLj256ELj11ELj100EEvPKT0_PS4_S4_
	.p2align	8
	.type	_Z6kernelI14inclusive_scanILN6hipcub18BlockScanAlgorithmE0EEhLj256ELj11ELj100EEvPKT0_PS4_S4_,@function
_Z6kernelI14inclusive_scanILN6hipcub18BlockScanAlgorithmE0EEhLj256ELj11ELj100EEvPKT0_PS4_S4_: ; @_Z6kernelI14inclusive_scanILN6hipcub18BlockScanAlgorithmE0EEhLj256ELj11ELj100EEvPKT0_PS4_S4_
; %bb.0:
	s_load_dword s0, s[4:5], 0x24
	s_load_dwordx4 s[24:27], s[4:5], 0x0
	v_mbcnt_lo_u32_b32 v15, -1, 0
	v_mbcnt_hi_u32_b32 v17, -1, v15
	v_and_b32_e32 v26, 15, v17
	s_waitcnt lgkmcnt(0)
	s_and_b32 s0, s0, 0xffff
	s_mul_i32 s6, s6, s0
	v_add_u32_e32 v1, s6, v0
	v_mul_lo_u32 v8, v1, 11
	v_subrev_co_u32_e64 v27, s[8:9], 1, v17
	v_cmp_eq_u32_e64 s[10:11], 0, v26
	v_add_u32_e32 v7, 1, v8
	v_add_u32_e32 v6, 2, v8
	;; [unrolled: 1-line block ×7, first 2 shown]
	global_load_ubyte v18, v8, s[24:25]
	global_load_ubyte v19, v7, s[24:25]
	;; [unrolled: 1-line block ×8, first 2 shown]
	v_add_u32_e32 v13, 8, v8
	v_add_u32_e32 v11, 9, v8
	;; [unrolled: 1-line block ×3, first 2 shown]
	global_load_ubyte v14, v13, s[24:25]
	global_load_ubyte v12, v11, s[24:25]
	;; [unrolled: 1-line block ×3, first 2 shown]
	v_cmp_lt_u32_e64 s[12:13], 1, v26
	v_cmp_lt_u32_e64 s[14:15], 3, v26
	;; [unrolled: 1-line block ×3, first 2 shown]
	v_and_b32_e32 v26, 64, v17
	s_mov_b32 s24, 0xc0c0004
	v_or_b32_e32 v16, 63, v0
	v_cmp_lt_i32_e64 s[20:21], v27, v26
	v_lshrrev_b32_e32 v15, 6, v0
	v_cmp_eq_u32_e64 s[4:5], v0, v16
	v_and_b32_e32 v16, 16, v17
	v_cmp_lt_u32_e64 s[6:7], 31, v17
	v_and_b32_e32 v28, 3, v17
	v_cndmask_b32_e64 v17, v27, v17, s[20:21]
	v_cmp_gt_u32_e32 vcc, 4, v0
	v_cmp_lt_u32_e64 s[0:1], 63, v0
	v_cmp_eq_u32_e64 s[2:3], 0, v0
	v_cmp_eq_u32_e64 s[18:19], 0, v16
	v_add_u32_e32 v16, -1, v15
	v_cmp_eq_u32_e64 s[20:21], 0, v28
	v_cmp_lt_u32_e64 s[22:23], 1, v28
	v_lshlrev_b32_e32 v17, 2, v17
	s_movk_i32 s28, 0x64
	s_waitcnt vmcnt(9)
	v_perm_b32 v18, v18, v19, s24
	s_waitcnt vmcnt(7)
	v_perm_b32 v19, v20, v21, s24
	v_lshl_or_b32 v18, v19, 16, v18
	s_waitcnt vmcnt(5)
	v_perm_b32 v20, v23, v22, s24
	s_waitcnt vmcnt(3)
	v_perm_b32 v21, v25, v24, s24
	v_lshl_or_b32 v19, v21, 16, v20
	s_branch .LBB100_2
.LBB100_1:                              ;   in Loop: Header=BB100_2 Depth=1
	s_or_b64 exec, exec, s[24:25]
	v_and_b32_e32 v22, 0xff, v22
	ds_bpermute_b32 v22, v17, v22
	s_add_i32 s28, s28, -1
	s_cmp_lg_u32 s28, 0
	s_waitcnt lgkmcnt(0)
	v_cndmask_b32_e64 v22, v22, v23, s[8:9]
	v_cndmask_b32_e64 v22, v22, 0, s[2:3]
	v_add_u16_e32 v27, v22, v18
	v_add_u16_e32 v26, v27, v21
	v_add_u16_sdwa v24, v26, v18 dst_sel:DWORD dst_unused:UNUSED_PAD src0_sel:DWORD src1_sel:WORD_1
	v_add_u16_sdwa v25, v24, v18 dst_sel:DWORD dst_unused:UNUSED_PAD src0_sel:DWORD src1_sel:BYTE_3
	v_lshlrev_b16_e32 v21, 8, v26
	v_add_u16_e32 v23, v25, v19
	v_or_b32_sdwa v18, v27, v21 dst_sel:DWORD dst_unused:UNUSED_PAD src0_sel:BYTE_0 src1_sel:DWORD
	v_lshlrev_b16_e32 v21, 8, v25
	v_add_u16_e32 v22, v23, v20
	v_or_b32_sdwa v28, v24, v21 dst_sel:WORD_1 dst_unused:UNUSED_PAD src0_sel:BYTE_0 src1_sel:DWORD
	v_add_u16_sdwa v21, v22, v19 dst_sel:DWORD dst_unused:UNUSED_PAD src0_sel:DWORD src1_sel:WORD_1
	v_add_u16_sdwa v20, v21, v19 dst_sel:DWORD dst_unused:UNUSED_PAD src0_sel:DWORD src1_sel:BYTE_3
	v_add_u16_e32 v14, v20, v14
	v_or_b32_sdwa v18, v18, v28 dst_sel:DWORD dst_unused:UNUSED_PAD src0_sel:WORD_0 src1_sel:DWORD
	v_lshlrev_b16_e32 v19, 8, v22
	v_lshlrev_b16_e32 v28, 8, v20
	v_add_u16_e32 v12, v14, v12
	v_or_b32_sdwa v19, v23, v19 dst_sel:DWORD dst_unused:UNUSED_PAD src0_sel:BYTE_0 src1_sel:DWORD
	v_or_b32_sdwa v28, v21, v28 dst_sel:WORD_1 dst_unused:UNUSED_PAD src0_sel:BYTE_0 src1_sel:DWORD
	v_add_u16_e32 v10, v12, v10
	v_or_b32_sdwa v19, v19, v28 dst_sel:DWORD dst_unused:UNUSED_PAD src0_sel:WORD_0 src1_sel:DWORD
	s_cbranch_scc0 .LBB100_8
.LBB100_2:                              ; =>This Inner Loop Header: Depth=1
	v_lshrrev_b32_e32 v21, 8, v18
	v_add_u16_e32 v22, v21, v18
	v_add_u16_sdwa v22, v22, v18 dst_sel:DWORD dst_unused:UNUSED_PAD src0_sel:DWORD src1_sel:WORD_1
	v_add_u16_sdwa v22, v22, v18 dst_sel:DWORD dst_unused:UNUSED_PAD src0_sel:DWORD src1_sel:BYTE_3
	v_lshrrev_b32_e32 v20, 8, v19
	v_add_u16_e32 v22, v22, v19
	v_add_u16_e32 v22, v22, v20
	v_add_u16_sdwa v22, v22, v19 dst_sel:DWORD dst_unused:UNUSED_PAD src0_sel:DWORD src1_sel:WORD_1
	v_add_u16_sdwa v22, v22, v19 dst_sel:DWORD dst_unused:UNUSED_PAD src0_sel:DWORD src1_sel:BYTE_3
	s_waitcnt vmcnt(2)
	v_add_u16_e32 v22, v22, v14
	s_waitcnt vmcnt(1)
	v_add_u16_e32 v22, v22, v12
	;; [unrolled: 2-line block ×3, first 2 shown]
	v_and_b32_e32 v23, 0xff, v22
	s_nop 1
	v_mov_b32_dpp v23, v23 row_shr:1 row_mask:0xf bank_mask:0xf
	v_cndmask_b32_e64 v23, v23, 0, s[10:11]
	v_add_u16_e32 v22, v22, v23
	v_and_b32_e32 v23, 0xff, v22
	s_nop 1
	v_mov_b32_dpp v23, v23 row_shr:2 row_mask:0xf bank_mask:0xf
	v_cndmask_b32_e64 v23, 0, v23, s[12:13]
	v_add_u16_e32 v22, v22, v23
	;; [unrolled: 5-line block ×4, first 2 shown]
	v_and_b32_e32 v23, 0xff, v22
	s_nop 1
	v_mov_b32_dpp v23, v23 row_bcast:15 row_mask:0xf bank_mask:0xf
	v_cndmask_b32_e64 v23, v23, 0, s[18:19]
	v_add_u16_e32 v22, v22, v23
	v_and_b32_e32 v23, 0xff, v22
	s_nop 1
	v_mov_b32_dpp v23, v23 row_bcast:31 row_mask:0xf bank_mask:0xf
	v_cndmask_b32_e64 v23, 0, v23, s[6:7]
	v_add_u16_e32 v22, v22, v23
	s_and_saveexec_b64 s[24:25], s[4:5]
; %bb.3:                                ;   in Loop: Header=BB100_2 Depth=1
	ds_write_b8 v15, v22
; %bb.4:                                ;   in Loop: Header=BB100_2 Depth=1
	s_or_b64 exec, exec, s[24:25]
	s_waitcnt lgkmcnt(0)
	s_barrier
	s_and_saveexec_b64 s[24:25], vcc
	s_cbranch_execz .LBB100_6
; %bb.5:                                ;   in Loop: Header=BB100_2 Depth=1
	ds_read_u8 v23, v0
	s_waitcnt lgkmcnt(0)
	v_and_b32_e32 v24, 0xff, v23
	s_nop 1
	v_mov_b32_dpp v24, v24 row_shr:1 row_mask:0xf bank_mask:0xf
	v_cndmask_b32_e64 v24, v24, 0, s[20:21]
	v_add_u16_e32 v23, v24, v23
	v_and_b32_e32 v24, 0xff, v23
	s_nop 1
	v_mov_b32_dpp v24, v24 row_shr:2 row_mask:0xf bank_mask:0xf
	v_cndmask_b32_e64 v24, 0, v24, s[22:23]
	v_add_u16_e32 v23, v23, v24
	ds_write_b8 v0, v23
.LBB100_6:                              ;   in Loop: Header=BB100_2 Depth=1
	s_or_b64 exec, exec, s[24:25]
	s_waitcnt lgkmcnt(0)
	s_barrier
                                        ; implicit-def: $vgpr23
	s_and_saveexec_b64 s[24:25], s[0:1]
	s_cbranch_execz .LBB100_1
; %bb.7:                                ;   in Loop: Header=BB100_2 Depth=1
	ds_read_u8 v23, v16
	s_waitcnt lgkmcnt(0)
	v_add_u16_e32 v22, v23, v22
	s_branch .LBB100_1
.LBB100_8:
	v_mov_b32_e32 v0, s27
	v_add_co_u32_e32 v15, vcc, s26, v8
	v_addc_co_u32_e32 v16, vcc, 0, v0, vcc
	v_add_co_u32_e32 v7, vcc, s26, v7
	v_addc_co_u32_e32 v8, vcc, 0, v0, vcc
	v_add_co_u32_e32 v6, vcc, s26, v6
	global_store_byte v[7:8], v26, off
	v_addc_co_u32_e32 v7, vcc, 0, v0, vcc
	v_add_co_u32_e32 v5, vcc, s26, v5
	global_store_byte v[6:7], v24, off
	;; [unrolled: 3-line block ×5, first 2 shown]
	v_addc_co_u32_e32 v3, vcc, 0, v0, vcc
	global_store_byte v[2:3], v21, off
	v_mov_b32_e32 v2, s27
	v_add_co_u32_e32 v0, vcc, s26, v1
	v_addc_co_u32_e32 v1, vcc, 0, v2, vcc
	global_store_byte v[0:1], v20, off
	v_mov_b32_e32 v1, s27
	v_add_co_u32_e32 v0, vcc, s26, v13
	;; [unrolled: 4-line block ×4, first 2 shown]
	v_addc_co_u32_e32 v1, vcc, 0, v1, vcc
	global_store_byte v[15:16], v27, off
	global_store_byte v[0:1], v10, off
	s_endpgm
	.section	.rodata,"a",@progbits
	.p2align	6, 0x0
	.amdhsa_kernel _Z6kernelI14inclusive_scanILN6hipcub18BlockScanAlgorithmE0EEhLj256ELj11ELj100EEvPKT0_PS4_S4_
		.amdhsa_group_segment_fixed_size 4
		.amdhsa_private_segment_fixed_size 0
		.amdhsa_kernarg_size 280
		.amdhsa_user_sgpr_count 6
		.amdhsa_user_sgpr_private_segment_buffer 1
		.amdhsa_user_sgpr_dispatch_ptr 0
		.amdhsa_user_sgpr_queue_ptr 0
		.amdhsa_user_sgpr_kernarg_segment_ptr 1
		.amdhsa_user_sgpr_dispatch_id 0
		.amdhsa_user_sgpr_flat_scratch_init 0
		.amdhsa_user_sgpr_private_segment_size 0
		.amdhsa_uses_dynamic_stack 0
		.amdhsa_system_sgpr_private_segment_wavefront_offset 0
		.amdhsa_system_sgpr_workgroup_id_x 1
		.amdhsa_system_sgpr_workgroup_id_y 0
		.amdhsa_system_sgpr_workgroup_id_z 0
		.amdhsa_system_sgpr_workgroup_info 0
		.amdhsa_system_vgpr_workitem_id 0
		.amdhsa_next_free_vgpr 29
		.amdhsa_next_free_sgpr 29
		.amdhsa_reserve_vcc 1
		.amdhsa_reserve_flat_scratch 0
		.amdhsa_float_round_mode_32 0
		.amdhsa_float_round_mode_16_64 0
		.amdhsa_float_denorm_mode_32 3
		.amdhsa_float_denorm_mode_16_64 3
		.amdhsa_dx10_clamp 1
		.amdhsa_ieee_mode 1
		.amdhsa_fp16_overflow 0
		.amdhsa_exception_fp_ieee_invalid_op 0
		.amdhsa_exception_fp_denorm_src 0
		.amdhsa_exception_fp_ieee_div_zero 0
		.amdhsa_exception_fp_ieee_overflow 0
		.amdhsa_exception_fp_ieee_underflow 0
		.amdhsa_exception_fp_ieee_inexact 0
		.amdhsa_exception_int_div_zero 0
	.end_amdhsa_kernel
	.section	.text._Z6kernelI14inclusive_scanILN6hipcub18BlockScanAlgorithmE0EEhLj256ELj11ELj100EEvPKT0_PS4_S4_,"axG",@progbits,_Z6kernelI14inclusive_scanILN6hipcub18BlockScanAlgorithmE0EEhLj256ELj11ELj100EEvPKT0_PS4_S4_,comdat
.Lfunc_end100:
	.size	_Z6kernelI14inclusive_scanILN6hipcub18BlockScanAlgorithmE0EEhLj256ELj11ELj100EEvPKT0_PS4_S4_, .Lfunc_end100-_Z6kernelI14inclusive_scanILN6hipcub18BlockScanAlgorithmE0EEhLj256ELj11ELj100EEvPKT0_PS4_S4_
                                        ; -- End function
	.set _Z6kernelI14inclusive_scanILN6hipcub18BlockScanAlgorithmE0EEhLj256ELj11ELj100EEvPKT0_PS4_S4_.num_vgpr, 29
	.set _Z6kernelI14inclusive_scanILN6hipcub18BlockScanAlgorithmE0EEhLj256ELj11ELj100EEvPKT0_PS4_S4_.num_agpr, 0
	.set _Z6kernelI14inclusive_scanILN6hipcub18BlockScanAlgorithmE0EEhLj256ELj11ELj100EEvPKT0_PS4_S4_.numbered_sgpr, 29
	.set _Z6kernelI14inclusive_scanILN6hipcub18BlockScanAlgorithmE0EEhLj256ELj11ELj100EEvPKT0_PS4_S4_.num_named_barrier, 0
	.set _Z6kernelI14inclusive_scanILN6hipcub18BlockScanAlgorithmE0EEhLj256ELj11ELj100EEvPKT0_PS4_S4_.private_seg_size, 0
	.set _Z6kernelI14inclusive_scanILN6hipcub18BlockScanAlgorithmE0EEhLj256ELj11ELj100EEvPKT0_PS4_S4_.uses_vcc, 1
	.set _Z6kernelI14inclusive_scanILN6hipcub18BlockScanAlgorithmE0EEhLj256ELj11ELj100EEvPKT0_PS4_S4_.uses_flat_scratch, 0
	.set _Z6kernelI14inclusive_scanILN6hipcub18BlockScanAlgorithmE0EEhLj256ELj11ELj100EEvPKT0_PS4_S4_.has_dyn_sized_stack, 0
	.set _Z6kernelI14inclusive_scanILN6hipcub18BlockScanAlgorithmE0EEhLj256ELj11ELj100EEvPKT0_PS4_S4_.has_recursion, 0
	.set _Z6kernelI14inclusive_scanILN6hipcub18BlockScanAlgorithmE0EEhLj256ELj11ELj100EEvPKT0_PS4_S4_.has_indirect_call, 0
	.section	.AMDGPU.csdata,"",@progbits
; Kernel info:
; codeLenInByte = 1216
; TotalNumSgprs: 33
; NumVgprs: 29
; ScratchSize: 0
; MemoryBound: 0
; FloatMode: 240
; IeeeMode: 1
; LDSByteSize: 4 bytes/workgroup (compile time only)
; SGPRBlocks: 4
; VGPRBlocks: 7
; NumSGPRsForWavesPerEU: 33
; NumVGPRsForWavesPerEU: 29
; Occupancy: 8
; WaveLimiterHint : 0
; COMPUTE_PGM_RSRC2:SCRATCH_EN: 0
; COMPUTE_PGM_RSRC2:USER_SGPR: 6
; COMPUTE_PGM_RSRC2:TRAP_HANDLER: 0
; COMPUTE_PGM_RSRC2:TGID_X_EN: 1
; COMPUTE_PGM_RSRC2:TGID_Y_EN: 0
; COMPUTE_PGM_RSRC2:TGID_Z_EN: 0
; COMPUTE_PGM_RSRC2:TIDIG_COMP_CNT: 0
	.section	.text._Z6kernelI14inclusive_scanILN6hipcub18BlockScanAlgorithmE0EEhLj256ELj16ELj100EEvPKT0_PS4_S4_,"axG",@progbits,_Z6kernelI14inclusive_scanILN6hipcub18BlockScanAlgorithmE0EEhLj256ELj16ELj100EEvPKT0_PS4_S4_,comdat
	.protected	_Z6kernelI14inclusive_scanILN6hipcub18BlockScanAlgorithmE0EEhLj256ELj16ELj100EEvPKT0_PS4_S4_ ; -- Begin function _Z6kernelI14inclusive_scanILN6hipcub18BlockScanAlgorithmE0EEhLj256ELj16ELj100EEvPKT0_PS4_S4_
	.globl	_Z6kernelI14inclusive_scanILN6hipcub18BlockScanAlgorithmE0EEhLj256ELj16ELj100EEvPKT0_PS4_S4_
	.p2align	8
	.type	_Z6kernelI14inclusive_scanILN6hipcub18BlockScanAlgorithmE0EEhLj256ELj16ELj100EEvPKT0_PS4_S4_,@function
_Z6kernelI14inclusive_scanILN6hipcub18BlockScanAlgorithmE0EEhLj256ELj16ELj100EEvPKT0_PS4_S4_: ; @_Z6kernelI14inclusive_scanILN6hipcub18BlockScanAlgorithmE0EEhLj256ELj16ELj100EEvPKT0_PS4_S4_
; %bb.0:
	s_load_dword s0, s[4:5], 0x24
	s_load_dwordx4 s[24:27], s[4:5], 0x0
	v_mbcnt_lo_u32_b32 v6, -1, 0
	v_mbcnt_hi_u32_b32 v8, -1, v6
	v_or_b32_e32 v7, 63, v0
	s_waitcnt lgkmcnt(0)
	s_and_b32 s0, s0, 0xffff
	s_mul_i32 s6, s6, s0
	v_add_lshl_u32 v5, s6, v0, 4
	global_load_dwordx4 v[1:4], v5, s[24:25]
	v_and_b32_e32 v6, 15, v8
	v_cmp_eq_u32_e64 s[10:11], v0, v7
	v_subrev_co_u32_e64 v7, s[16:17], 1, v8
	v_and_b32_e32 v9, 64, v8
	v_cmp_eq_u32_e32 vcc, 0, v6
	v_cmp_lt_u32_e64 s[0:1], 1, v6
	v_cmp_lt_u32_e64 s[2:3], 3, v6
	;; [unrolled: 1-line block ×3, first 2 shown]
	v_and_b32_e32 v6, 16, v8
	v_cmp_lt_i32_e64 s[18:19], v7, v9
	v_cmp_eq_u32_e64 s[6:7], 0, v6
	v_cmp_lt_u32_e64 s[8:9], 31, v8
	v_lshrrev_b32_e32 v6, 6, v0
	v_cndmask_b32_e64 v7, v7, v8, s[18:19]
	v_and_b32_e32 v8, 3, v8
	v_cmp_gt_u32_e64 s[12:13], 4, v0
	v_cmp_lt_u32_e64 s[14:15], 63, v0
	v_lshlrev_b32_e32 v7, 2, v7
	v_cmp_eq_u32_e64 s[18:19], 0, v0
	v_cmp_eq_u32_e64 s[20:21], 0, v8
	v_cmp_lt_u32_e64 s[22:23], 1, v8
	v_add_u32_e32 v8, -1, v6
	s_movk_i32 s28, 0x64
	s_branch .LBB101_2
.LBB101_1:                              ;   in Loop: Header=BB101_2 Depth=1
	s_or_b64 exec, exec, s[24:25]
	v_and_b32_e32 v13, 0xff, v13
	ds_bpermute_b32 v13, v7, v13
	s_add_i32 s28, s28, -1
	s_cmp_lg_u32 s28, 0
	s_waitcnt lgkmcnt(0)
	v_cndmask_b32_e64 v13, v13, v14, s[16:17]
	v_cndmask_b32_e64 v13, v13, 0, s[18:19]
	v_add_u16_e32 v13, v13, v1
	v_add_u16_e32 v12, v13, v12
	v_add_u16_sdwa v14, v12, v1 dst_sel:DWORD dst_unused:UNUSED_PAD src0_sel:DWORD src1_sel:WORD_1
	v_lshlrev_b16_e32 v16, 8, v12
	v_add_u16_sdwa v15, v14, v1 dst_sel:DWORD dst_unused:UNUSED_PAD src0_sel:DWORD src1_sel:BYTE_3
	v_or_b32_sdwa v1, v13, v16 dst_sel:DWORD dst_unused:UNUSED_PAD src0_sel:BYTE_0 src1_sel:DWORD
	v_lshlrev_b16_e32 v17, 8, v15
	v_add_u16_e32 v16, v15, v2
	v_or_b32_sdwa v17, v14, v17 dst_sel:WORD_1 dst_unused:UNUSED_PAD src0_sel:BYTE_0 src1_sel:DWORD
	v_add_u16_e32 v11, v16, v11
	v_or_b32_sdwa v1, v1, v17 dst_sel:DWORD dst_unused:UNUSED_PAD src0_sel:WORD_0 src1_sel:DWORD
	v_lshlrev_b16_e32 v17, 8, v11
	v_or_b32_sdwa v19, v16, v17 dst_sel:DWORD dst_unused:UNUSED_PAD src0_sel:BYTE_0 src1_sel:DWORD
	v_add_u16_sdwa v17, v11, v2 dst_sel:DWORD dst_unused:UNUSED_PAD src0_sel:DWORD src1_sel:WORD_1
	v_add_u16_sdwa v18, v17, v2 dst_sel:DWORD dst_unused:UNUSED_PAD src0_sel:DWORD src1_sel:BYTE_3
	v_lshlrev_b16_e32 v2, 8, v18
	v_or_b32_sdwa v2, v17, v2 dst_sel:WORD_1 dst_unused:UNUSED_PAD src0_sel:BYTE_0 src1_sel:DWORD
	v_or_b32_sdwa v2, v19, v2 dst_sel:DWORD dst_unused:UNUSED_PAD src0_sel:WORD_0 src1_sel:DWORD
	v_add_u16_e32 v19, v18, v3
	v_add_u16_e32 v10, v19, v10
	v_lshlrev_b16_e32 v20, 8, v10
	v_or_b32_sdwa v22, v19, v20 dst_sel:DWORD dst_unused:UNUSED_PAD src0_sel:BYTE_0 src1_sel:DWORD
	v_add_u16_sdwa v20, v10, v3 dst_sel:DWORD dst_unused:UNUSED_PAD src0_sel:DWORD src1_sel:WORD_1
	v_add_u16_sdwa v21, v20, v3 dst_sel:DWORD dst_unused:UNUSED_PAD src0_sel:DWORD src1_sel:BYTE_3
	v_lshlrev_b16_e32 v3, 8, v21
	v_or_b32_sdwa v3, v20, v3 dst_sel:WORD_1 dst_unused:UNUSED_PAD src0_sel:BYTE_0 src1_sel:DWORD
	v_or_b32_sdwa v3, v22, v3 dst_sel:DWORD dst_unused:UNUSED_PAD src0_sel:WORD_0 src1_sel:DWORD
	v_add_u16_e32 v22, v21, v4
	v_add_u16_e32 v9, v22, v9
	v_lshlrev_b16_e32 v23, 8, v9
	v_or_b32_sdwa v25, v22, v23 dst_sel:DWORD dst_unused:UNUSED_PAD src0_sel:BYTE_0 src1_sel:DWORD
	v_add_u16_sdwa v23, v9, v4 dst_sel:DWORD dst_unused:UNUSED_PAD src0_sel:DWORD src1_sel:WORD_1
	v_add_u16_sdwa v24, v23, v4 dst_sel:DWORD dst_unused:UNUSED_PAD src0_sel:DWORD src1_sel:BYTE_3
	v_lshlrev_b16_e32 v4, 8, v24
	v_or_b32_sdwa v4, v23, v4 dst_sel:WORD_1 dst_unused:UNUSED_PAD src0_sel:BYTE_0 src1_sel:DWORD
	v_or_b32_sdwa v4, v25, v4 dst_sel:DWORD dst_unused:UNUSED_PAD src0_sel:WORD_0 src1_sel:DWORD
	s_cbranch_scc0 .LBB101_8
.LBB101_2:                              ; =>This Inner Loop Header: Depth=1
	s_waitcnt vmcnt(0)
	v_lshrrev_b32_e32 v12, 8, v1
	v_add_u16_e32 v13, v12, v1
	v_add_u16_sdwa v13, v13, v1 dst_sel:DWORD dst_unused:UNUSED_PAD src0_sel:DWORD src1_sel:WORD_1
	v_add_u16_sdwa v13, v13, v1 dst_sel:DWORD dst_unused:UNUSED_PAD src0_sel:DWORD src1_sel:BYTE_3
	v_lshrrev_b32_e32 v11, 8, v2
	v_add_u16_e32 v13, v13, v2
	v_add_u16_e32 v13, v13, v11
	v_add_u16_sdwa v13, v13, v2 dst_sel:DWORD dst_unused:UNUSED_PAD src0_sel:DWORD src1_sel:WORD_1
	v_add_u16_sdwa v13, v13, v2 dst_sel:DWORD dst_unused:UNUSED_PAD src0_sel:DWORD src1_sel:BYTE_3
	v_lshrrev_b32_e32 v10, 8, v3
	v_add_u16_e32 v13, v13, v3
	;; [unrolled: 5-line block ×3, first 2 shown]
	v_add_u16_e32 v13, v13, v9
	v_add_u16_sdwa v13, v13, v4 dst_sel:DWORD dst_unused:UNUSED_PAD src0_sel:DWORD src1_sel:WORD_1
	v_add_u16_sdwa v13, v13, v4 dst_sel:DWORD dst_unused:UNUSED_PAD src0_sel:DWORD src1_sel:BYTE_3
	v_and_b32_e32 v14, 0xff, v13
	s_nop 1
	v_mov_b32_dpp v14, v14 row_shr:1 row_mask:0xf bank_mask:0xf
	v_cndmask_b32_e64 v14, v14, 0, vcc
	v_add_u16_e32 v13, v13, v14
	v_and_b32_e32 v14, 0xff, v13
	s_nop 1
	v_mov_b32_dpp v14, v14 row_shr:2 row_mask:0xf bank_mask:0xf
	v_cndmask_b32_e64 v14, 0, v14, s[0:1]
	v_add_u16_e32 v13, v13, v14
	v_and_b32_e32 v14, 0xff, v13
	s_nop 1
	v_mov_b32_dpp v14, v14 row_shr:4 row_mask:0xf bank_mask:0xf
	v_cndmask_b32_e64 v14, 0, v14, s[2:3]
	;; [unrolled: 5-line block ×3, first 2 shown]
	v_add_u16_e32 v13, v13, v14
	v_and_b32_e32 v14, 0xff, v13
	s_nop 1
	v_mov_b32_dpp v14, v14 row_bcast:15 row_mask:0xf bank_mask:0xf
	v_cndmask_b32_e64 v14, v14, 0, s[6:7]
	v_add_u16_e32 v13, v13, v14
	v_and_b32_e32 v14, 0xff, v13
	s_nop 1
	v_mov_b32_dpp v14, v14 row_bcast:31 row_mask:0xf bank_mask:0xf
	v_cndmask_b32_e64 v14, 0, v14, s[8:9]
	v_add_u16_e32 v13, v13, v14
	s_and_saveexec_b64 s[24:25], s[10:11]
; %bb.3:                                ;   in Loop: Header=BB101_2 Depth=1
	ds_write_b8 v6, v13
; %bb.4:                                ;   in Loop: Header=BB101_2 Depth=1
	s_or_b64 exec, exec, s[24:25]
	s_waitcnt lgkmcnt(0)
	s_barrier
	s_and_saveexec_b64 s[24:25], s[12:13]
	s_cbranch_execz .LBB101_6
; %bb.5:                                ;   in Loop: Header=BB101_2 Depth=1
	ds_read_u8 v14, v0
	s_waitcnt lgkmcnt(0)
	v_and_b32_e32 v15, 0xff, v14
	s_nop 1
	v_mov_b32_dpp v15, v15 row_shr:1 row_mask:0xf bank_mask:0xf
	v_cndmask_b32_e64 v15, v15, 0, s[20:21]
	v_add_u16_e32 v14, v15, v14
	v_and_b32_e32 v15, 0xff, v14
	s_nop 1
	v_mov_b32_dpp v15, v15 row_shr:2 row_mask:0xf bank_mask:0xf
	v_cndmask_b32_e64 v15, 0, v15, s[22:23]
	v_add_u16_e32 v14, v14, v15
	ds_write_b8 v0, v14
.LBB101_6:                              ;   in Loop: Header=BB101_2 Depth=1
	s_or_b64 exec, exec, s[24:25]
	s_waitcnt lgkmcnt(0)
	s_barrier
                                        ; implicit-def: $vgpr14
	s_and_saveexec_b64 s[24:25], s[14:15]
	s_cbranch_execz .LBB101_1
; %bb.7:                                ;   in Loop: Header=BB101_2 Depth=1
	ds_read_u8 v14, v8
	s_waitcnt lgkmcnt(0)
	v_add_u16_e32 v13, v14, v13
	s_branch .LBB101_1
.LBB101_8:
	v_mov_b32_e32 v0, s27
	v_add_co_u32_e32 v4, vcc, s26, v5
	s_mov_b32 s0, 0xc0c0004
	v_addc_co_u32_e32 v5, vcc, 0, v0, vcc
	v_perm_b32 v0, v22, v9, s0
	v_perm_b32 v1, v23, v24, s0
	v_lshl_or_b32 v3, v1, 16, v0
	v_perm_b32 v0, v19, v10, s0
	v_perm_b32 v1, v20, v21, s0
	v_lshl_or_b32 v2, v1, 16, v0
	;; [unrolled: 3-line block ×4, first 2 shown]
	global_store_dwordx4 v[4:5], v[0:3], off
	s_endpgm
	.section	.rodata,"a",@progbits
	.p2align	6, 0x0
	.amdhsa_kernel _Z6kernelI14inclusive_scanILN6hipcub18BlockScanAlgorithmE0EEhLj256ELj16ELj100EEvPKT0_PS4_S4_
		.amdhsa_group_segment_fixed_size 4
		.amdhsa_private_segment_fixed_size 0
		.amdhsa_kernarg_size 280
		.amdhsa_user_sgpr_count 6
		.amdhsa_user_sgpr_private_segment_buffer 1
		.amdhsa_user_sgpr_dispatch_ptr 0
		.amdhsa_user_sgpr_queue_ptr 0
		.amdhsa_user_sgpr_kernarg_segment_ptr 1
		.amdhsa_user_sgpr_dispatch_id 0
		.amdhsa_user_sgpr_flat_scratch_init 0
		.amdhsa_user_sgpr_private_segment_size 0
		.amdhsa_uses_dynamic_stack 0
		.amdhsa_system_sgpr_private_segment_wavefront_offset 0
		.amdhsa_system_sgpr_workgroup_id_x 1
		.amdhsa_system_sgpr_workgroup_id_y 0
		.amdhsa_system_sgpr_workgroup_id_z 0
		.amdhsa_system_sgpr_workgroup_info 0
		.amdhsa_system_vgpr_workitem_id 0
		.amdhsa_next_free_vgpr 26
		.amdhsa_next_free_sgpr 29
		.amdhsa_reserve_vcc 1
		.amdhsa_reserve_flat_scratch 0
		.amdhsa_float_round_mode_32 0
		.amdhsa_float_round_mode_16_64 0
		.amdhsa_float_denorm_mode_32 3
		.amdhsa_float_denorm_mode_16_64 3
		.amdhsa_dx10_clamp 1
		.amdhsa_ieee_mode 1
		.amdhsa_fp16_overflow 0
		.amdhsa_exception_fp_ieee_invalid_op 0
		.amdhsa_exception_fp_denorm_src 0
		.amdhsa_exception_fp_ieee_div_zero 0
		.amdhsa_exception_fp_ieee_overflow 0
		.amdhsa_exception_fp_ieee_underflow 0
		.amdhsa_exception_fp_ieee_inexact 0
		.amdhsa_exception_int_div_zero 0
	.end_amdhsa_kernel
	.section	.text._Z6kernelI14inclusive_scanILN6hipcub18BlockScanAlgorithmE0EEhLj256ELj16ELj100EEvPKT0_PS4_S4_,"axG",@progbits,_Z6kernelI14inclusive_scanILN6hipcub18BlockScanAlgorithmE0EEhLj256ELj16ELj100EEvPKT0_PS4_S4_,comdat
.Lfunc_end101:
	.size	_Z6kernelI14inclusive_scanILN6hipcub18BlockScanAlgorithmE0EEhLj256ELj16ELj100EEvPKT0_PS4_S4_, .Lfunc_end101-_Z6kernelI14inclusive_scanILN6hipcub18BlockScanAlgorithmE0EEhLj256ELj16ELj100EEvPKT0_PS4_S4_
                                        ; -- End function
	.set _Z6kernelI14inclusive_scanILN6hipcub18BlockScanAlgorithmE0EEhLj256ELj16ELj100EEvPKT0_PS4_S4_.num_vgpr, 26
	.set _Z6kernelI14inclusive_scanILN6hipcub18BlockScanAlgorithmE0EEhLj256ELj16ELj100EEvPKT0_PS4_S4_.num_agpr, 0
	.set _Z6kernelI14inclusive_scanILN6hipcub18BlockScanAlgorithmE0EEhLj256ELj16ELj100EEvPKT0_PS4_S4_.numbered_sgpr, 29
	.set _Z6kernelI14inclusive_scanILN6hipcub18BlockScanAlgorithmE0EEhLj256ELj16ELj100EEvPKT0_PS4_S4_.num_named_barrier, 0
	.set _Z6kernelI14inclusive_scanILN6hipcub18BlockScanAlgorithmE0EEhLj256ELj16ELj100EEvPKT0_PS4_S4_.private_seg_size, 0
	.set _Z6kernelI14inclusive_scanILN6hipcub18BlockScanAlgorithmE0EEhLj256ELj16ELj100EEvPKT0_PS4_S4_.uses_vcc, 1
	.set _Z6kernelI14inclusive_scanILN6hipcub18BlockScanAlgorithmE0EEhLj256ELj16ELj100EEvPKT0_PS4_S4_.uses_flat_scratch, 0
	.set _Z6kernelI14inclusive_scanILN6hipcub18BlockScanAlgorithmE0EEhLj256ELj16ELj100EEvPKT0_PS4_S4_.has_dyn_sized_stack, 0
	.set _Z6kernelI14inclusive_scanILN6hipcub18BlockScanAlgorithmE0EEhLj256ELj16ELj100EEvPKT0_PS4_S4_.has_recursion, 0
	.set _Z6kernelI14inclusive_scanILN6hipcub18BlockScanAlgorithmE0EEhLj256ELj16ELj100EEvPKT0_PS4_S4_.has_indirect_call, 0
	.section	.AMDGPU.csdata,"",@progbits
; Kernel info:
; codeLenInByte = 1084
; TotalNumSgprs: 33
; NumVgprs: 26
; ScratchSize: 0
; MemoryBound: 0
; FloatMode: 240
; IeeeMode: 1
; LDSByteSize: 4 bytes/workgroup (compile time only)
; SGPRBlocks: 4
; VGPRBlocks: 6
; NumSGPRsForWavesPerEU: 33
; NumVGPRsForWavesPerEU: 26
; Occupancy: 9
; WaveLimiterHint : 0
; COMPUTE_PGM_RSRC2:SCRATCH_EN: 0
; COMPUTE_PGM_RSRC2:USER_SGPR: 6
; COMPUTE_PGM_RSRC2:TRAP_HANDLER: 0
; COMPUTE_PGM_RSRC2:TGID_X_EN: 1
; COMPUTE_PGM_RSRC2:TGID_Y_EN: 0
; COMPUTE_PGM_RSRC2:TGID_Z_EN: 0
; COMPUTE_PGM_RSRC2:TIDIG_COMP_CNT: 0
	.section	.text._Z6kernelI14inclusive_scanILN6hipcub18BlockScanAlgorithmE0EEN15benchmark_utils11custom_typeIffEELj256ELj1ELj100EEvPKT0_PS7_S7_,"axG",@progbits,_Z6kernelI14inclusive_scanILN6hipcub18BlockScanAlgorithmE0EEN15benchmark_utils11custom_typeIffEELj256ELj1ELj100EEvPKT0_PS7_S7_,comdat
	.protected	_Z6kernelI14inclusive_scanILN6hipcub18BlockScanAlgorithmE0EEN15benchmark_utils11custom_typeIffEELj256ELj1ELj100EEvPKT0_PS7_S7_ ; -- Begin function _Z6kernelI14inclusive_scanILN6hipcub18BlockScanAlgorithmE0EEN15benchmark_utils11custom_typeIffEELj256ELj1ELj100EEvPKT0_PS7_S7_
	.globl	_Z6kernelI14inclusive_scanILN6hipcub18BlockScanAlgorithmE0EEN15benchmark_utils11custom_typeIffEELj256ELj1ELj100EEvPKT0_PS7_S7_
	.p2align	8
	.type	_Z6kernelI14inclusive_scanILN6hipcub18BlockScanAlgorithmE0EEN15benchmark_utils11custom_typeIffEELj256ELj1ELj100EEvPKT0_PS7_S7_,@function
_Z6kernelI14inclusive_scanILN6hipcub18BlockScanAlgorithmE0EEN15benchmark_utils11custom_typeIffEELj256ELj1ELj100EEvPKT0_PS7_S7_: ; @_Z6kernelI14inclusive_scanILN6hipcub18BlockScanAlgorithmE0EEN15benchmark_utils11custom_typeIffEELj256ELj1ELj100EEvPKT0_PS7_S7_
; %bb.0:
	s_load_dword s0, s[4:5], 0x24
	s_load_dwordx4 s[20:23], s[4:5], 0x0
	v_mov_b32_e32 v2, 0
	v_mbcnt_lo_u32_b32 v5, -1, 0
	v_mbcnt_hi_u32_b32 v5, -1, v5
	s_waitcnt lgkmcnt(0)
	s_and_b32 s0, s0, 0xffff
	s_mul_i32 s6, s6, s0
	v_add_u32_e32 v1, s6, v0
	v_lshlrev_b64 v[1:2], 3, v[1:2]
	v_mov_b32_e32 v4, s21
	v_add_co_u32_e32 v3, vcc, s20, v1
	v_addc_co_u32_e32 v4, vcc, v4, v2, vcc
	global_load_dwordx2 v[3:4], v[3:4], off
	v_and_b32_e32 v6, 15, v5
	v_cmp_ne_u32_e32 vcc, 0, v6
	v_cmp_lt_u32_e64 s[0:1], 1, v6
	v_cmp_lt_u32_e64 s[2:3], 3, v6
	;; [unrolled: 1-line block ×3, first 2 shown]
	v_and_b32_e32 v6, 16, v5
	v_cmp_ne_u32_e64 s[6:7], 0, v6
	v_or_b32_e32 v6, 63, v0
	v_cmp_eq_u32_e64 s[10:11], v0, v6
	v_lshrrev_b32_e32 v6, 3, v0
	v_cmp_lt_u32_e64 s[8:9], 31, v5
	v_and_b32_e32 v7, 24, v6
	v_and_b32_e32 v5, 3, v5
	v_cmp_gt_u32_e64 s[12:13], 4, v0
	v_cmp_lt_u32_e64 s[14:15], 63, v0
	v_lshlrev_b32_e32 v0, 3, v0
	v_cmp_ne_u32_e64 s[16:17], 0, v5
	v_cmp_lt_u32_e64 s[18:19], 1, v5
	v_add_u32_e32 v8, -8, v7
	s_movk_i32 s26, 0x64
	s_branch .LBB102_2
.LBB102_1:                              ;   in Loop: Header=BB102_2 Depth=1
	s_or_b64 exec, exec, s[20:21]
	s_add_i32 s26, s26, -1
	s_cmp_lg_u32 s26, 0
	s_cbranch_scc0 .LBB102_22
.LBB102_2:                              ; =>This Inner Loop Header: Depth=1
	s_waitcnt vmcnt(0)
	v_mov_b32_dpp v5, v3 row_shr:1 row_mask:0xf bank_mask:0xf
	v_mov_b32_dpp v6, v4 row_shr:1 row_mask:0xf bank_mask:0xf
	s_and_saveexec_b64 s[20:21], vcc
; %bb.3:                                ;   in Loop: Header=BB102_2 Depth=1
	v_add_f32_e32 v4, v4, v6
	v_add_f32_e32 v3, v3, v5
; %bb.4:                                ;   in Loop: Header=BB102_2 Depth=1
	s_or_b64 exec, exec, s[20:21]
	s_nop 0
	v_mov_b32_dpp v5, v3 row_shr:2 row_mask:0xf bank_mask:0xf
	v_mov_b32_dpp v6, v4 row_shr:2 row_mask:0xf bank_mask:0xf
	s_and_saveexec_b64 s[20:21], s[0:1]
; %bb.5:                                ;   in Loop: Header=BB102_2 Depth=1
	v_add_f32_e32 v4, v4, v6
	v_add_f32_e32 v3, v3, v5
; %bb.6:                                ;   in Loop: Header=BB102_2 Depth=1
	s_or_b64 exec, exec, s[20:21]
	s_nop 0
	v_mov_b32_dpp v5, v3 row_shr:4 row_mask:0xf bank_mask:0xf
	v_mov_b32_dpp v6, v4 row_shr:4 row_mask:0xf bank_mask:0xf
	s_and_saveexec_b64 s[20:21], s[2:3]
	;; [unrolled: 9-line block ×3, first 2 shown]
; %bb.9:                                ;   in Loop: Header=BB102_2 Depth=1
	v_add_f32_e32 v4, v4, v6
	v_add_f32_e32 v3, v3, v5
; %bb.10:                               ;   in Loop: Header=BB102_2 Depth=1
	s_or_b64 exec, exec, s[20:21]
	s_nop 0
	v_mov_b32_dpp v5, v3 row_bcast:15 row_mask:0xf bank_mask:0xf
	v_mov_b32_dpp v6, v4 row_bcast:15 row_mask:0xf bank_mask:0xf
	s_and_saveexec_b64 s[20:21], s[6:7]
; %bb.11:                               ;   in Loop: Header=BB102_2 Depth=1
	v_add_f32_e32 v4, v4, v6
	v_add_f32_e32 v3, v3, v5
; %bb.12:                               ;   in Loop: Header=BB102_2 Depth=1
	s_or_b64 exec, exec, s[20:21]
	s_nop 0
	v_mov_b32_dpp v6, v3 row_bcast:31 row_mask:0xf bank_mask:0xf
	v_mov_b32_dpp v5, v4 row_bcast:31 row_mask:0xf bank_mask:0xf
	s_and_saveexec_b64 s[20:21], s[8:9]
; %bb.13:                               ;   in Loop: Header=BB102_2 Depth=1
	v_add_f32_e32 v3, v3, v6
	v_add_f32_e32 v4, v4, v5
; %bb.14:                               ;   in Loop: Header=BB102_2 Depth=1
	s_or_b64 exec, exec, s[20:21]
	s_and_saveexec_b64 s[20:21], s[10:11]
; %bb.15:                               ;   in Loop: Header=BB102_2 Depth=1
	ds_write_b64 v7, v[3:4]
; %bb.16:                               ;   in Loop: Header=BB102_2 Depth=1
	s_or_b64 exec, exec, s[20:21]
	s_waitcnt lgkmcnt(0)
	s_barrier
	s_and_saveexec_b64 s[20:21], s[12:13]
	s_cbranch_execz .LBB102_20
; %bb.17:                               ;   in Loop: Header=BB102_2 Depth=1
	ds_read_b64 v[5:6], v0
	s_waitcnt lgkmcnt(0)
	s_nop 0
	v_mov_b32_dpp v9, v5 row_shr:1 row_mask:0xf bank_mask:0xf
	v_mov_b32_dpp v10, v6 row_shr:1 row_mask:0xf bank_mask:0xf
	s_and_saveexec_b64 s[24:25], s[16:17]
; %bb.18:                               ;   in Loop: Header=BB102_2 Depth=1
	v_add_f32_e32 v6, v6, v10
	v_add_f32_e32 v5, v5, v9
; %bb.19:                               ;   in Loop: Header=BB102_2 Depth=1
	s_or_b64 exec, exec, s[24:25]
	s_nop 0
	v_mov_b32_dpp v9, v5 row_shr:2 row_mask:0xf bank_mask:0xf
	v_mov_b32_dpp v10, v6 row_shr:2 row_mask:0xf bank_mask:0xf
	v_add_f32_e32 v10, v6, v10
	v_add_f32_e32 v9, v5, v9
	v_cndmask_b32_e64 v5, v5, v9, s[18:19]
	v_cndmask_b32_e64 v6, v6, v10, s[18:19]
	ds_write_b64 v0, v[5:6]
.LBB102_20:                             ;   in Loop: Header=BB102_2 Depth=1
	s_or_b64 exec, exec, s[20:21]
	s_waitcnt lgkmcnt(0)
	s_barrier
	s_and_saveexec_b64 s[20:21], s[14:15]
	s_cbranch_execz .LBB102_1
; %bb.21:                               ;   in Loop: Header=BB102_2 Depth=1
	ds_read_b64 v[5:6], v8
	s_waitcnt lgkmcnt(0)
	v_add_f32_e32 v3, v3, v5
	v_add_f32_e32 v4, v4, v6
	s_branch .LBB102_1
.LBB102_22:
	v_mov_b32_e32 v5, s23
	v_add_co_u32_e32 v0, vcc, s22, v1
	v_addc_co_u32_e32 v1, vcc, v5, v2, vcc
	global_store_dwordx2 v[0:1], v[3:4], off
	s_endpgm
	.section	.rodata,"a",@progbits
	.p2align	6, 0x0
	.amdhsa_kernel _Z6kernelI14inclusive_scanILN6hipcub18BlockScanAlgorithmE0EEN15benchmark_utils11custom_typeIffEELj256ELj1ELj100EEvPKT0_PS7_S7_
		.amdhsa_group_segment_fixed_size 32
		.amdhsa_private_segment_fixed_size 0
		.amdhsa_kernarg_size 280
		.amdhsa_user_sgpr_count 6
		.amdhsa_user_sgpr_private_segment_buffer 1
		.amdhsa_user_sgpr_dispatch_ptr 0
		.amdhsa_user_sgpr_queue_ptr 0
		.amdhsa_user_sgpr_kernarg_segment_ptr 1
		.amdhsa_user_sgpr_dispatch_id 0
		.amdhsa_user_sgpr_flat_scratch_init 0
		.amdhsa_user_sgpr_private_segment_size 0
		.amdhsa_uses_dynamic_stack 0
		.amdhsa_system_sgpr_private_segment_wavefront_offset 0
		.amdhsa_system_sgpr_workgroup_id_x 1
		.amdhsa_system_sgpr_workgroup_id_y 0
		.amdhsa_system_sgpr_workgroup_id_z 0
		.amdhsa_system_sgpr_workgroup_info 0
		.amdhsa_system_vgpr_workitem_id 0
		.amdhsa_next_free_vgpr 11
		.amdhsa_next_free_sgpr 27
		.amdhsa_reserve_vcc 1
		.amdhsa_reserve_flat_scratch 0
		.amdhsa_float_round_mode_32 0
		.amdhsa_float_round_mode_16_64 0
		.amdhsa_float_denorm_mode_32 3
		.amdhsa_float_denorm_mode_16_64 3
		.amdhsa_dx10_clamp 1
		.amdhsa_ieee_mode 1
		.amdhsa_fp16_overflow 0
		.amdhsa_exception_fp_ieee_invalid_op 0
		.amdhsa_exception_fp_denorm_src 0
		.amdhsa_exception_fp_ieee_div_zero 0
		.amdhsa_exception_fp_ieee_overflow 0
		.amdhsa_exception_fp_ieee_underflow 0
		.amdhsa_exception_fp_ieee_inexact 0
		.amdhsa_exception_int_div_zero 0
	.end_amdhsa_kernel
	.section	.text._Z6kernelI14inclusive_scanILN6hipcub18BlockScanAlgorithmE0EEN15benchmark_utils11custom_typeIffEELj256ELj1ELj100EEvPKT0_PS7_S7_,"axG",@progbits,_Z6kernelI14inclusive_scanILN6hipcub18BlockScanAlgorithmE0EEN15benchmark_utils11custom_typeIffEELj256ELj1ELj100EEvPKT0_PS7_S7_,comdat
.Lfunc_end102:
	.size	_Z6kernelI14inclusive_scanILN6hipcub18BlockScanAlgorithmE0EEN15benchmark_utils11custom_typeIffEELj256ELj1ELj100EEvPKT0_PS7_S7_, .Lfunc_end102-_Z6kernelI14inclusive_scanILN6hipcub18BlockScanAlgorithmE0EEN15benchmark_utils11custom_typeIffEELj256ELj1ELj100EEvPKT0_PS7_S7_
                                        ; -- End function
	.set _Z6kernelI14inclusive_scanILN6hipcub18BlockScanAlgorithmE0EEN15benchmark_utils11custom_typeIffEELj256ELj1ELj100EEvPKT0_PS7_S7_.num_vgpr, 11
	.set _Z6kernelI14inclusive_scanILN6hipcub18BlockScanAlgorithmE0EEN15benchmark_utils11custom_typeIffEELj256ELj1ELj100EEvPKT0_PS7_S7_.num_agpr, 0
	.set _Z6kernelI14inclusive_scanILN6hipcub18BlockScanAlgorithmE0EEN15benchmark_utils11custom_typeIffEELj256ELj1ELj100EEvPKT0_PS7_S7_.numbered_sgpr, 27
	.set _Z6kernelI14inclusive_scanILN6hipcub18BlockScanAlgorithmE0EEN15benchmark_utils11custom_typeIffEELj256ELj1ELj100EEvPKT0_PS7_S7_.num_named_barrier, 0
	.set _Z6kernelI14inclusive_scanILN6hipcub18BlockScanAlgorithmE0EEN15benchmark_utils11custom_typeIffEELj256ELj1ELj100EEvPKT0_PS7_S7_.private_seg_size, 0
	.set _Z6kernelI14inclusive_scanILN6hipcub18BlockScanAlgorithmE0EEN15benchmark_utils11custom_typeIffEELj256ELj1ELj100EEvPKT0_PS7_S7_.uses_vcc, 1
	.set _Z6kernelI14inclusive_scanILN6hipcub18BlockScanAlgorithmE0EEN15benchmark_utils11custom_typeIffEELj256ELj1ELj100EEvPKT0_PS7_S7_.uses_flat_scratch, 0
	.set _Z6kernelI14inclusive_scanILN6hipcub18BlockScanAlgorithmE0EEN15benchmark_utils11custom_typeIffEELj256ELj1ELj100EEvPKT0_PS7_S7_.has_dyn_sized_stack, 0
	.set _Z6kernelI14inclusive_scanILN6hipcub18BlockScanAlgorithmE0EEN15benchmark_utils11custom_typeIffEELj256ELj1ELj100EEvPKT0_PS7_S7_.has_recursion, 0
	.set _Z6kernelI14inclusive_scanILN6hipcub18BlockScanAlgorithmE0EEN15benchmark_utils11custom_typeIffEELj256ELj1ELj100EEvPKT0_PS7_S7_.has_indirect_call, 0
	.section	.AMDGPU.csdata,"",@progbits
; Kernel info:
; codeLenInByte = 640
; TotalNumSgprs: 31
; NumVgprs: 11
; ScratchSize: 0
; MemoryBound: 0
; FloatMode: 240
; IeeeMode: 1
; LDSByteSize: 32 bytes/workgroup (compile time only)
; SGPRBlocks: 3
; VGPRBlocks: 2
; NumSGPRsForWavesPerEU: 31
; NumVGPRsForWavesPerEU: 11
; Occupancy: 10
; WaveLimiterHint : 0
; COMPUTE_PGM_RSRC2:SCRATCH_EN: 0
; COMPUTE_PGM_RSRC2:USER_SGPR: 6
; COMPUTE_PGM_RSRC2:TRAP_HANDLER: 0
; COMPUTE_PGM_RSRC2:TGID_X_EN: 1
; COMPUTE_PGM_RSRC2:TGID_Y_EN: 0
; COMPUTE_PGM_RSRC2:TGID_Z_EN: 0
; COMPUTE_PGM_RSRC2:TIDIG_COMP_CNT: 0
	.section	.text._Z6kernelI14inclusive_scanILN6hipcub18BlockScanAlgorithmE0EEN15benchmark_utils11custom_typeIffEELj256ELj4ELj100EEvPKT0_PS7_S7_,"axG",@progbits,_Z6kernelI14inclusive_scanILN6hipcub18BlockScanAlgorithmE0EEN15benchmark_utils11custom_typeIffEELj256ELj4ELj100EEvPKT0_PS7_S7_,comdat
	.protected	_Z6kernelI14inclusive_scanILN6hipcub18BlockScanAlgorithmE0EEN15benchmark_utils11custom_typeIffEELj256ELj4ELj100EEvPKT0_PS7_S7_ ; -- Begin function _Z6kernelI14inclusive_scanILN6hipcub18BlockScanAlgorithmE0EEN15benchmark_utils11custom_typeIffEELj256ELj4ELj100EEvPKT0_PS7_S7_
	.globl	_Z6kernelI14inclusive_scanILN6hipcub18BlockScanAlgorithmE0EEN15benchmark_utils11custom_typeIffEELj256ELj4ELj100EEvPKT0_PS7_S7_
	.p2align	8
	.type	_Z6kernelI14inclusive_scanILN6hipcub18BlockScanAlgorithmE0EEN15benchmark_utils11custom_typeIffEELj256ELj4ELj100EEvPKT0_PS7_S7_,@function
_Z6kernelI14inclusive_scanILN6hipcub18BlockScanAlgorithmE0EEN15benchmark_utils11custom_typeIffEELj256ELj4ELj100EEvPKT0_PS7_S7_: ; @_Z6kernelI14inclusive_scanILN6hipcub18BlockScanAlgorithmE0EEN15benchmark_utils11custom_typeIffEELj256ELj4ELj100EEvPKT0_PS7_S7_
; %bb.0:
	s_load_dword s0, s[4:5], 0x24
	s_load_dwordx4 s[24:27], s[4:5], 0x0
	v_mov_b32_e32 v2, 0
	v_cmp_gt_u32_e64 s[12:13], 4, v0
	v_cmp_lt_u32_e64 s[14:15], 63, v0
	s_waitcnt lgkmcnt(0)
	s_and_b32 s0, s0, 0xffff
	s_mul_i32 s6, s6, s0
	v_add_lshl_u32 v1, s6, v0, 2
	v_lshlrev_b64 v[13:14], 3, v[1:2]
	v_mov_b32_e32 v1, s25
	v_add_co_u32_e32 v9, vcc, s24, v13
	v_addc_co_u32_e32 v10, vcc, v1, v14, vcc
	global_load_dwordx4 v[1:4], v[9:10], off
	global_load_dwordx4 v[5:8], v[9:10], off offset:16
	v_mbcnt_lo_u32_b32 v9, -1, 0
	v_mbcnt_hi_u32_b32 v9, -1, v9
	v_and_b32_e32 v10, 15, v9
	v_cmp_ne_u32_e32 vcc, 0, v10
	v_cmp_lt_u32_e64 s[0:1], 1, v10
	v_cmp_lt_u32_e64 s[2:3], 3, v10
	;; [unrolled: 1-line block ×3, first 2 shown]
	v_and_b32_e32 v10, 16, v9
	v_cmp_ne_u32_e64 s[6:7], 0, v10
	v_or_b32_e32 v10, 63, v0
	v_cmp_eq_u32_e64 s[10:11], v0, v10
	v_subrev_co_u32_e64 v10, s[16:17], 1, v9
	v_and_b32_e32 v11, 64, v9
	v_cmp_lt_i32_e64 s[18:19], v10, v11
	v_cndmask_b32_e64 v10, v10, v9, s[18:19]
	v_lshlrev_b32_e32 v19, 2, v10
	v_lshrrev_b32_e32 v10, 3, v0
	v_cmp_lt_u32_e64 s[8:9], 31, v9
	v_and_b32_e32 v20, 24, v10
	v_and_b32_e32 v9, 3, v9
	v_cmp_ne_u32_e64 s[18:19], 0, v0
	v_lshlrev_b32_e32 v0, 3, v0
	v_cmp_ne_u32_e64 s[20:21], 0, v9
	v_cmp_lt_u32_e64 s[22:23], 1, v9
	v_add_u32_e32 v21, -8, v20
	s_movk_i32 s30, 0x64
.LBB103_1:                              ; =>This Inner Loop Header: Depth=1
	s_waitcnt vmcnt(1)
	v_add_f32_e32 v22, v3, v1
	v_add_f32_e32 v23, v4, v2
	s_waitcnt vmcnt(0)
	v_add_f32_e32 v9, v5, v22
	v_add_f32_e32 v10, v6, v23
	v_add_f32_e32 v11, v7, v9
	v_add_f32_e32 v12, v8, v10
	s_waitcnt lgkmcnt(1)
	v_mov_b32_e32 v15, v11
	v_mov_b32_dpp v17, v11 row_shr:1 row_mask:0xf bank_mask:0xf
	v_mov_b32_dpp v18, v12 row_shr:1 row_mask:0xf bank_mask:0xf
	s_waitcnt lgkmcnt(0)
	v_mov_b32_e32 v16, v12
	s_and_saveexec_b64 s[24:25], vcc
; %bb.2:                                ;   in Loop: Header=BB103_1 Depth=1
	v_add_f32_e32 v16, v12, v18
	v_add_f32_e32 v15, v11, v17
; %bb.3:                                ;   in Loop: Header=BB103_1 Depth=1
	s_or_b64 exec, exec, s[24:25]
	s_nop 0
	v_mov_b32_dpp v17, v15 row_shr:2 row_mask:0xf bank_mask:0xf
	v_mov_b32_dpp v18, v16 row_shr:2 row_mask:0xf bank_mask:0xf
	s_and_saveexec_b64 s[24:25], s[0:1]
; %bb.4:                                ;   in Loop: Header=BB103_1 Depth=1
	v_add_f32_e32 v16, v16, v18
	v_add_f32_e32 v15, v15, v17
; %bb.5:                                ;   in Loop: Header=BB103_1 Depth=1
	s_or_b64 exec, exec, s[24:25]
	s_nop 0
	v_mov_b32_dpp v17, v15 row_shr:4 row_mask:0xf bank_mask:0xf
	v_mov_b32_dpp v18, v16 row_shr:4 row_mask:0xf bank_mask:0xf
	s_and_saveexec_b64 s[24:25], s[2:3]
	;; [unrolled: 9-line block ×3, first 2 shown]
; %bb.8:                                ;   in Loop: Header=BB103_1 Depth=1
	v_add_f32_e32 v16, v16, v18
	v_add_f32_e32 v15, v15, v17
; %bb.9:                                ;   in Loop: Header=BB103_1 Depth=1
	s_or_b64 exec, exec, s[24:25]
	s_nop 0
	v_mov_b32_dpp v17, v15 row_bcast:15 row_mask:0xf bank_mask:0xf
	v_mov_b32_dpp v18, v16 row_bcast:15 row_mask:0xf bank_mask:0xf
	s_and_saveexec_b64 s[24:25], s[6:7]
; %bb.10:                               ;   in Loop: Header=BB103_1 Depth=1
	v_add_f32_e32 v16, v16, v18
	v_add_f32_e32 v15, v15, v17
; %bb.11:                               ;   in Loop: Header=BB103_1 Depth=1
	s_or_b64 exec, exec, s[24:25]
	s_nop 0
	v_mov_b32_dpp v18, v15 row_bcast:31 row_mask:0xf bank_mask:0xf
	v_mov_b32_dpp v17, v16 row_bcast:31 row_mask:0xf bank_mask:0xf
	s_and_saveexec_b64 s[24:25], s[8:9]
; %bb.12:                               ;   in Loop: Header=BB103_1 Depth=1
	v_add_f32_e32 v15, v15, v18
	v_add_f32_e32 v16, v16, v17
; %bb.13:                               ;   in Loop: Header=BB103_1 Depth=1
	s_or_b64 exec, exec, s[24:25]
	s_and_saveexec_b64 s[24:25], s[10:11]
; %bb.14:                               ;   in Loop: Header=BB103_1 Depth=1
	ds_write_b64 v20, v[15:16]
; %bb.15:                               ;   in Loop: Header=BB103_1 Depth=1
	s_or_b64 exec, exec, s[24:25]
	s_waitcnt lgkmcnt(0)
	s_barrier
	s_and_saveexec_b64 s[24:25], s[12:13]
	s_cbranch_execz .LBB103_19
; %bb.16:                               ;   in Loop: Header=BB103_1 Depth=1
	ds_read_b64 v[17:18], v0
	s_waitcnt lgkmcnt(0)
	s_nop 0
	v_mov_b32_dpp v24, v17 row_shr:1 row_mask:0xf bank_mask:0xf
	v_mov_b32_dpp v25, v18 row_shr:1 row_mask:0xf bank_mask:0xf
	s_and_saveexec_b64 s[28:29], s[20:21]
; %bb.17:                               ;   in Loop: Header=BB103_1 Depth=1
	v_add_f32_e32 v18, v18, v25
	v_add_f32_e32 v17, v17, v24
; %bb.18:                               ;   in Loop: Header=BB103_1 Depth=1
	s_or_b64 exec, exec, s[28:29]
	s_nop 0
	v_mov_b32_dpp v24, v17 row_shr:2 row_mask:0xf bank_mask:0xf
	v_mov_b32_dpp v25, v18 row_shr:2 row_mask:0xf bank_mask:0xf
	v_add_f32_e32 v25, v18, v25
	v_add_f32_e32 v24, v17, v24
	v_cndmask_b32_e64 v17, v17, v24, s[22:23]
	v_cndmask_b32_e64 v18, v18, v25, s[22:23]
	ds_write_b64 v0, v[17:18]
.LBB103_19:                             ;   in Loop: Header=BB103_1 Depth=1
	s_or_b64 exec, exec, s[24:25]
	v_mov_b32_e32 v17, 0
	v_mov_b32_e32 v18, 0
	s_waitcnt lgkmcnt(0)
	s_barrier
	s_and_saveexec_b64 s[24:25], s[14:15]
	s_cbranch_execz .LBB103_21
; %bb.20:                               ;   in Loop: Header=BB103_1 Depth=1
	ds_read_b64 v[17:18], v21
	s_waitcnt lgkmcnt(0)
	v_add_f32_e32 v15, v15, v17
	v_add_f32_e32 v16, v16, v18
.LBB103_21:                             ;   in Loop: Header=BB103_1 Depth=1
	s_or_b64 exec, exec, s[24:25]
	ds_bpermute_b32 v15, v19, v15
	ds_bpermute_b32 v16, v19, v16
	s_and_saveexec_b64 s[24:25], s[18:19]
	s_cbranch_execz .LBB103_23
; %bb.22:                               ;   in Loop: Header=BB103_1 Depth=1
	s_waitcnt lgkmcnt(0)
	v_cndmask_b32_e64 v9, v16, v18, s[16:17]
	v_add_f32_e32 v2, v2, v9
	v_cndmask_b32_e64 v9, v15, v17, s[16:17]
	v_add_f32_e32 v1, v1, v9
	v_add_f32_e32 v22, v3, v1
	;; [unrolled: 1-line block ×7, first 2 shown]
.LBB103_23:                             ;   in Loop: Header=BB103_1 Depth=1
	s_or_b64 exec, exec, s[24:25]
	s_add_i32 s30, s30, -1
	s_cmp_lg_u32 s30, 0
	s_cbranch_scc0 .LBB103_25
; %bb.24:                               ;   in Loop: Header=BB103_1 Depth=1
	v_mov_b32_e32 v8, v12
	v_mov_b32_e32 v7, v11
	;; [unrolled: 1-line block ×6, first 2 shown]
	s_branch .LBB103_1
.LBB103_25:
	v_mov_b32_e32 v0, s27
	v_add_co_u32_e32 v5, vcc, s26, v13
	v_addc_co_u32_e32 v6, vcc, v0, v14, vcc
	v_mov_b32_e32 v3, v22
	v_mov_b32_e32 v4, v23
	global_store_dwordx4 v[5:6], v[1:4], off
	global_store_dwordx4 v[5:6], v[9:12], off offset:16
	s_endpgm
	.section	.rodata,"a",@progbits
	.p2align	6, 0x0
	.amdhsa_kernel _Z6kernelI14inclusive_scanILN6hipcub18BlockScanAlgorithmE0EEN15benchmark_utils11custom_typeIffEELj256ELj4ELj100EEvPKT0_PS7_S7_
		.amdhsa_group_segment_fixed_size 32
		.amdhsa_private_segment_fixed_size 0
		.amdhsa_kernarg_size 280
		.amdhsa_user_sgpr_count 6
		.amdhsa_user_sgpr_private_segment_buffer 1
		.amdhsa_user_sgpr_dispatch_ptr 0
		.amdhsa_user_sgpr_queue_ptr 0
		.amdhsa_user_sgpr_kernarg_segment_ptr 1
		.amdhsa_user_sgpr_dispatch_id 0
		.amdhsa_user_sgpr_flat_scratch_init 0
		.amdhsa_user_sgpr_private_segment_size 0
		.amdhsa_uses_dynamic_stack 0
		.amdhsa_system_sgpr_private_segment_wavefront_offset 0
		.amdhsa_system_sgpr_workgroup_id_x 1
		.amdhsa_system_sgpr_workgroup_id_y 0
		.amdhsa_system_sgpr_workgroup_id_z 0
		.amdhsa_system_sgpr_workgroup_info 0
		.amdhsa_system_vgpr_workitem_id 0
		.amdhsa_next_free_vgpr 26
		.amdhsa_next_free_sgpr 31
		.amdhsa_reserve_vcc 1
		.amdhsa_reserve_flat_scratch 0
		.amdhsa_float_round_mode_32 0
		.amdhsa_float_round_mode_16_64 0
		.amdhsa_float_denorm_mode_32 3
		.amdhsa_float_denorm_mode_16_64 3
		.amdhsa_dx10_clamp 1
		.amdhsa_ieee_mode 1
		.amdhsa_fp16_overflow 0
		.amdhsa_exception_fp_ieee_invalid_op 0
		.amdhsa_exception_fp_denorm_src 0
		.amdhsa_exception_fp_ieee_div_zero 0
		.amdhsa_exception_fp_ieee_overflow 0
		.amdhsa_exception_fp_ieee_underflow 0
		.amdhsa_exception_fp_ieee_inexact 0
		.amdhsa_exception_int_div_zero 0
	.end_amdhsa_kernel
	.section	.text._Z6kernelI14inclusive_scanILN6hipcub18BlockScanAlgorithmE0EEN15benchmark_utils11custom_typeIffEELj256ELj4ELj100EEvPKT0_PS7_S7_,"axG",@progbits,_Z6kernelI14inclusive_scanILN6hipcub18BlockScanAlgorithmE0EEN15benchmark_utils11custom_typeIffEELj256ELj4ELj100EEvPKT0_PS7_S7_,comdat
.Lfunc_end103:
	.size	_Z6kernelI14inclusive_scanILN6hipcub18BlockScanAlgorithmE0EEN15benchmark_utils11custom_typeIffEELj256ELj4ELj100EEvPKT0_PS7_S7_, .Lfunc_end103-_Z6kernelI14inclusive_scanILN6hipcub18BlockScanAlgorithmE0EEN15benchmark_utils11custom_typeIffEELj256ELj4ELj100EEvPKT0_PS7_S7_
                                        ; -- End function
	.set _Z6kernelI14inclusive_scanILN6hipcub18BlockScanAlgorithmE0EEN15benchmark_utils11custom_typeIffEELj256ELj4ELj100EEvPKT0_PS7_S7_.num_vgpr, 26
	.set _Z6kernelI14inclusive_scanILN6hipcub18BlockScanAlgorithmE0EEN15benchmark_utils11custom_typeIffEELj256ELj4ELj100EEvPKT0_PS7_S7_.num_agpr, 0
	.set _Z6kernelI14inclusive_scanILN6hipcub18BlockScanAlgorithmE0EEN15benchmark_utils11custom_typeIffEELj256ELj4ELj100EEvPKT0_PS7_S7_.numbered_sgpr, 31
	.set _Z6kernelI14inclusive_scanILN6hipcub18BlockScanAlgorithmE0EEN15benchmark_utils11custom_typeIffEELj256ELj4ELj100EEvPKT0_PS7_S7_.num_named_barrier, 0
	.set _Z6kernelI14inclusive_scanILN6hipcub18BlockScanAlgorithmE0EEN15benchmark_utils11custom_typeIffEELj256ELj4ELj100EEvPKT0_PS7_S7_.private_seg_size, 0
	.set _Z6kernelI14inclusive_scanILN6hipcub18BlockScanAlgorithmE0EEN15benchmark_utils11custom_typeIffEELj256ELj4ELj100EEvPKT0_PS7_S7_.uses_vcc, 1
	.set _Z6kernelI14inclusive_scanILN6hipcub18BlockScanAlgorithmE0EEN15benchmark_utils11custom_typeIffEELj256ELj4ELj100EEvPKT0_PS7_S7_.uses_flat_scratch, 0
	.set _Z6kernelI14inclusive_scanILN6hipcub18BlockScanAlgorithmE0EEN15benchmark_utils11custom_typeIffEELj256ELj4ELj100EEvPKT0_PS7_S7_.has_dyn_sized_stack, 0
	.set _Z6kernelI14inclusive_scanILN6hipcub18BlockScanAlgorithmE0EEN15benchmark_utils11custom_typeIffEELj256ELj4ELj100EEvPKT0_PS7_S7_.has_recursion, 0
	.set _Z6kernelI14inclusive_scanILN6hipcub18BlockScanAlgorithmE0EEN15benchmark_utils11custom_typeIffEELj256ELj4ELj100EEvPKT0_PS7_S7_.has_indirect_call, 0
	.section	.AMDGPU.csdata,"",@progbits
; Kernel info:
; codeLenInByte = 860
; TotalNumSgprs: 35
; NumVgprs: 26
; ScratchSize: 0
; MemoryBound: 0
; FloatMode: 240
; IeeeMode: 1
; LDSByteSize: 32 bytes/workgroup (compile time only)
; SGPRBlocks: 4
; VGPRBlocks: 6
; NumSGPRsForWavesPerEU: 35
; NumVGPRsForWavesPerEU: 26
; Occupancy: 9
; WaveLimiterHint : 0
; COMPUTE_PGM_RSRC2:SCRATCH_EN: 0
; COMPUTE_PGM_RSRC2:USER_SGPR: 6
; COMPUTE_PGM_RSRC2:TRAP_HANDLER: 0
; COMPUTE_PGM_RSRC2:TGID_X_EN: 1
; COMPUTE_PGM_RSRC2:TGID_Y_EN: 0
; COMPUTE_PGM_RSRC2:TGID_Z_EN: 0
; COMPUTE_PGM_RSRC2:TIDIG_COMP_CNT: 0
	.section	.text._Z6kernelI14inclusive_scanILN6hipcub18BlockScanAlgorithmE0EEN15benchmark_utils11custom_typeIffEELj256ELj8ELj100EEvPKT0_PS7_S7_,"axG",@progbits,_Z6kernelI14inclusive_scanILN6hipcub18BlockScanAlgorithmE0EEN15benchmark_utils11custom_typeIffEELj256ELj8ELj100EEvPKT0_PS7_S7_,comdat
	.protected	_Z6kernelI14inclusive_scanILN6hipcub18BlockScanAlgorithmE0EEN15benchmark_utils11custom_typeIffEELj256ELj8ELj100EEvPKT0_PS7_S7_ ; -- Begin function _Z6kernelI14inclusive_scanILN6hipcub18BlockScanAlgorithmE0EEN15benchmark_utils11custom_typeIffEELj256ELj8ELj100EEvPKT0_PS7_S7_
	.globl	_Z6kernelI14inclusive_scanILN6hipcub18BlockScanAlgorithmE0EEN15benchmark_utils11custom_typeIffEELj256ELj8ELj100EEvPKT0_PS7_S7_
	.p2align	8
	.type	_Z6kernelI14inclusive_scanILN6hipcub18BlockScanAlgorithmE0EEN15benchmark_utils11custom_typeIffEELj256ELj8ELj100EEvPKT0_PS7_S7_,@function
_Z6kernelI14inclusive_scanILN6hipcub18BlockScanAlgorithmE0EEN15benchmark_utils11custom_typeIffEELj256ELj8ELj100EEvPKT0_PS7_S7_: ; @_Z6kernelI14inclusive_scanILN6hipcub18BlockScanAlgorithmE0EEN15benchmark_utils11custom_typeIffEELj256ELj8ELj100EEvPKT0_PS7_S7_
; %bb.0:
	s_load_dword s0, s[4:5], 0x24
	s_load_dwordx4 s[24:27], s[4:5], 0x0
	v_mov_b32_e32 v2, 0
	v_cmp_gt_u32_e64 s[12:13], 4, v0
	v_cmp_lt_u32_e64 s[14:15], 63, v0
	s_waitcnt lgkmcnt(0)
	s_and_b32 s0, s0, 0xffff
	s_mul_i32 s6, s6, s0
	v_add_lshl_u32 v1, s6, v0, 3
	v_lshlrev_b64 v[29:30], 3, v[1:2]
	v_mov_b32_e32 v1, s25
	v_add_co_u32_e32 v17, vcc, s24, v29
	v_addc_co_u32_e32 v18, vcc, v1, v30, vcc
	global_load_dwordx4 v[1:4], v[17:18], off
	global_load_dwordx4 v[5:8], v[17:18], off offset:16
	global_load_dwordx4 v[13:16], v[17:18], off offset:32
	;; [unrolled: 1-line block ×3, first 2 shown]
	v_mbcnt_lo_u32_b32 v17, -1, 0
	v_mbcnt_hi_u32_b32 v17, -1, v17
	v_and_b32_e32 v18, 15, v17
	v_cmp_ne_u32_e32 vcc, 0, v18
	v_cmp_lt_u32_e64 s[0:1], 1, v18
	v_cmp_lt_u32_e64 s[2:3], 3, v18
	;; [unrolled: 1-line block ×3, first 2 shown]
	v_and_b32_e32 v18, 16, v17
	v_cmp_ne_u32_e64 s[6:7], 0, v18
	v_or_b32_e32 v18, 63, v0
	v_cmp_eq_u32_e64 s[10:11], v0, v18
	v_subrev_co_u32_e64 v18, s[16:17], 1, v17
	v_and_b32_e32 v19, 64, v17
	v_cmp_lt_i32_e64 s[18:19], v18, v19
	v_cndmask_b32_e64 v18, v18, v17, s[18:19]
	v_lshlrev_b32_e32 v35, 2, v18
	v_lshrrev_b32_e32 v18, 3, v0
	v_cmp_lt_u32_e64 s[8:9], 31, v17
	v_and_b32_e32 v36, 24, v18
	v_and_b32_e32 v17, 3, v17
	v_cmp_ne_u32_e64 s[18:19], 0, v0
	v_lshlrev_b32_e32 v0, 3, v0
	v_cmp_ne_u32_e64 s[20:21], 0, v17
	v_cmp_lt_u32_e64 s[22:23], 1, v17
	v_add_u32_e32 v37, -8, v36
	s_movk_i32 s30, 0x64
.LBB104_1:                              ; =>This Inner Loop Header: Depth=1
	s_waitcnt vmcnt(3)
	v_add_f32_e32 v38, v3, v1
	v_add_f32_e32 v39, v4, v2
	s_waitcnt vmcnt(2)
	v_add_f32_e32 v17, v5, v38
	v_add_f32_e32 v18, v6, v39
	v_add_f32_e32 v19, v7, v17
	v_add_f32_e32 v20, v8, v18
	s_waitcnt vmcnt(1)
	v_add_f32_e32 v21, v13, v19
	v_add_f32_e32 v22, v14, v20
	;; [unrolled: 5-line block ×3, first 2 shown]
	v_add_f32_e32 v27, v11, v25
	v_add_f32_e32 v28, v12, v26
	s_waitcnt lgkmcnt(1)
	v_mov_b32_e32 v31, v27
	s_waitcnt lgkmcnt(0)
	v_mov_b32_e32 v32, v28
	v_mov_b32_dpp v33, v27 row_shr:1 row_mask:0xf bank_mask:0xf
	v_mov_b32_dpp v34, v28 row_shr:1 row_mask:0xf bank_mask:0xf
	s_and_saveexec_b64 s[24:25], vcc
; %bb.2:                                ;   in Loop: Header=BB104_1 Depth=1
	v_add_f32_e32 v32, v28, v34
	v_add_f32_e32 v31, v27, v33
; %bb.3:                                ;   in Loop: Header=BB104_1 Depth=1
	s_or_b64 exec, exec, s[24:25]
	s_nop 0
	v_mov_b32_dpp v33, v31 row_shr:2 row_mask:0xf bank_mask:0xf
	v_mov_b32_dpp v34, v32 row_shr:2 row_mask:0xf bank_mask:0xf
	s_and_saveexec_b64 s[24:25], s[0:1]
; %bb.4:                                ;   in Loop: Header=BB104_1 Depth=1
	v_add_f32_e32 v32, v32, v34
	v_add_f32_e32 v31, v31, v33
; %bb.5:                                ;   in Loop: Header=BB104_1 Depth=1
	s_or_b64 exec, exec, s[24:25]
	s_nop 0
	v_mov_b32_dpp v33, v31 row_shr:4 row_mask:0xf bank_mask:0xf
	v_mov_b32_dpp v34, v32 row_shr:4 row_mask:0xf bank_mask:0xf
	s_and_saveexec_b64 s[24:25], s[2:3]
	;; [unrolled: 9-line block ×3, first 2 shown]
; %bb.8:                                ;   in Loop: Header=BB104_1 Depth=1
	v_add_f32_e32 v32, v32, v34
	v_add_f32_e32 v31, v31, v33
; %bb.9:                                ;   in Loop: Header=BB104_1 Depth=1
	s_or_b64 exec, exec, s[24:25]
	s_nop 0
	v_mov_b32_dpp v33, v31 row_bcast:15 row_mask:0xf bank_mask:0xf
	v_mov_b32_dpp v34, v32 row_bcast:15 row_mask:0xf bank_mask:0xf
	s_and_saveexec_b64 s[24:25], s[6:7]
; %bb.10:                               ;   in Loop: Header=BB104_1 Depth=1
	v_add_f32_e32 v32, v32, v34
	v_add_f32_e32 v31, v31, v33
; %bb.11:                               ;   in Loop: Header=BB104_1 Depth=1
	s_or_b64 exec, exec, s[24:25]
	s_nop 0
	v_mov_b32_dpp v34, v31 row_bcast:31 row_mask:0xf bank_mask:0xf
	v_mov_b32_dpp v33, v32 row_bcast:31 row_mask:0xf bank_mask:0xf
	s_and_saveexec_b64 s[24:25], s[8:9]
; %bb.12:                               ;   in Loop: Header=BB104_1 Depth=1
	v_add_f32_e32 v31, v31, v34
	v_add_f32_e32 v32, v32, v33
; %bb.13:                               ;   in Loop: Header=BB104_1 Depth=1
	s_or_b64 exec, exec, s[24:25]
	s_and_saveexec_b64 s[24:25], s[10:11]
; %bb.14:                               ;   in Loop: Header=BB104_1 Depth=1
	ds_write_b64 v36, v[31:32]
; %bb.15:                               ;   in Loop: Header=BB104_1 Depth=1
	s_or_b64 exec, exec, s[24:25]
	s_waitcnt lgkmcnt(0)
	s_barrier
	s_and_saveexec_b64 s[24:25], s[12:13]
	s_cbranch_execz .LBB104_19
; %bb.16:                               ;   in Loop: Header=BB104_1 Depth=1
	ds_read_b64 v[33:34], v0
	s_waitcnt lgkmcnt(0)
	s_nop 0
	v_mov_b32_dpp v40, v33 row_shr:1 row_mask:0xf bank_mask:0xf
	v_mov_b32_dpp v41, v34 row_shr:1 row_mask:0xf bank_mask:0xf
	s_and_saveexec_b64 s[28:29], s[20:21]
; %bb.17:                               ;   in Loop: Header=BB104_1 Depth=1
	v_add_f32_e32 v34, v34, v41
	v_add_f32_e32 v33, v33, v40
; %bb.18:                               ;   in Loop: Header=BB104_1 Depth=1
	s_or_b64 exec, exec, s[28:29]
	s_nop 0
	v_mov_b32_dpp v40, v33 row_shr:2 row_mask:0xf bank_mask:0xf
	v_mov_b32_dpp v41, v34 row_shr:2 row_mask:0xf bank_mask:0xf
	v_add_f32_e32 v41, v34, v41
	v_add_f32_e32 v40, v33, v40
	v_cndmask_b32_e64 v33, v33, v40, s[22:23]
	v_cndmask_b32_e64 v34, v34, v41, s[22:23]
	ds_write_b64 v0, v[33:34]
.LBB104_19:                             ;   in Loop: Header=BB104_1 Depth=1
	s_or_b64 exec, exec, s[24:25]
	v_mov_b32_e32 v33, 0
	v_mov_b32_e32 v34, 0
	s_waitcnt lgkmcnt(0)
	s_barrier
	s_and_saveexec_b64 s[24:25], s[14:15]
	s_cbranch_execz .LBB104_21
; %bb.20:                               ;   in Loop: Header=BB104_1 Depth=1
	ds_read_b64 v[33:34], v37
	s_waitcnt lgkmcnt(0)
	v_add_f32_e32 v31, v31, v33
	v_add_f32_e32 v32, v32, v34
.LBB104_21:                             ;   in Loop: Header=BB104_1 Depth=1
	s_or_b64 exec, exec, s[24:25]
	ds_bpermute_b32 v31, v35, v31
	ds_bpermute_b32 v32, v35, v32
	s_and_saveexec_b64 s[24:25], s[18:19]
	s_cbranch_execz .LBB104_23
; %bb.22:                               ;   in Loop: Header=BB104_1 Depth=1
	s_waitcnt lgkmcnt(0)
	v_cndmask_b32_e64 v17, v32, v34, s[16:17]
	v_add_f32_e32 v2, v2, v17
	v_cndmask_b32_e64 v17, v31, v33, s[16:17]
	v_add_f32_e32 v1, v1, v17
	v_add_f32_e32 v38, v3, v1
	;; [unrolled: 1-line block ×15, first 2 shown]
.LBB104_23:                             ;   in Loop: Header=BB104_1 Depth=1
	s_or_b64 exec, exec, s[24:25]
	s_add_i32 s30, s30, -1
	s_cmp_lg_u32 s30, 0
	s_cbranch_scc0 .LBB104_25
; %bb.24:                               ;   in Loop: Header=BB104_1 Depth=1
	v_mov_b32_e32 v12, v28
	v_mov_b32_e32 v11, v27
	;; [unrolled: 1-line block ×14, first 2 shown]
	s_branch .LBB104_1
.LBB104_25:
	v_mov_b32_e32 v0, s27
	v_add_co_u32_e32 v5, vcc, s26, v29
	v_addc_co_u32_e32 v6, vcc, v0, v30, vcc
	v_mov_b32_e32 v3, v38
	v_mov_b32_e32 v4, v39
	global_store_dwordx4 v[5:6], v[1:4], off
	global_store_dwordx4 v[5:6], v[17:20], off offset:16
	global_store_dwordx4 v[5:6], v[21:24], off offset:32
	;; [unrolled: 1-line block ×3, first 2 shown]
	s_endpgm
	.section	.rodata,"a",@progbits
	.p2align	6, 0x0
	.amdhsa_kernel _Z6kernelI14inclusive_scanILN6hipcub18BlockScanAlgorithmE0EEN15benchmark_utils11custom_typeIffEELj256ELj8ELj100EEvPKT0_PS7_S7_
		.amdhsa_group_segment_fixed_size 32
		.amdhsa_private_segment_fixed_size 0
		.amdhsa_kernarg_size 280
		.amdhsa_user_sgpr_count 6
		.amdhsa_user_sgpr_private_segment_buffer 1
		.amdhsa_user_sgpr_dispatch_ptr 0
		.amdhsa_user_sgpr_queue_ptr 0
		.amdhsa_user_sgpr_kernarg_segment_ptr 1
		.amdhsa_user_sgpr_dispatch_id 0
		.amdhsa_user_sgpr_flat_scratch_init 0
		.amdhsa_user_sgpr_private_segment_size 0
		.amdhsa_uses_dynamic_stack 0
		.amdhsa_system_sgpr_private_segment_wavefront_offset 0
		.amdhsa_system_sgpr_workgroup_id_x 1
		.amdhsa_system_sgpr_workgroup_id_y 0
		.amdhsa_system_sgpr_workgroup_id_z 0
		.amdhsa_system_sgpr_workgroup_info 0
		.amdhsa_system_vgpr_workitem_id 0
		.amdhsa_next_free_vgpr 42
		.amdhsa_next_free_sgpr 31
		.amdhsa_reserve_vcc 1
		.amdhsa_reserve_flat_scratch 0
		.amdhsa_float_round_mode_32 0
		.amdhsa_float_round_mode_16_64 0
		.amdhsa_float_denorm_mode_32 3
		.amdhsa_float_denorm_mode_16_64 3
		.amdhsa_dx10_clamp 1
		.amdhsa_ieee_mode 1
		.amdhsa_fp16_overflow 0
		.amdhsa_exception_fp_ieee_invalid_op 0
		.amdhsa_exception_fp_denorm_src 0
		.amdhsa_exception_fp_ieee_div_zero 0
		.amdhsa_exception_fp_ieee_overflow 0
		.amdhsa_exception_fp_ieee_underflow 0
		.amdhsa_exception_fp_ieee_inexact 0
		.amdhsa_exception_int_div_zero 0
	.end_amdhsa_kernel
	.section	.text._Z6kernelI14inclusive_scanILN6hipcub18BlockScanAlgorithmE0EEN15benchmark_utils11custom_typeIffEELj256ELj8ELj100EEvPKT0_PS7_S7_,"axG",@progbits,_Z6kernelI14inclusive_scanILN6hipcub18BlockScanAlgorithmE0EEN15benchmark_utils11custom_typeIffEELj256ELj8ELj100EEvPKT0_PS7_S7_,comdat
.Lfunc_end104:
	.size	_Z6kernelI14inclusive_scanILN6hipcub18BlockScanAlgorithmE0EEN15benchmark_utils11custom_typeIffEELj256ELj8ELj100EEvPKT0_PS7_S7_, .Lfunc_end104-_Z6kernelI14inclusive_scanILN6hipcub18BlockScanAlgorithmE0EEN15benchmark_utils11custom_typeIffEELj256ELj8ELj100EEvPKT0_PS7_S7_
                                        ; -- End function
	.set _Z6kernelI14inclusive_scanILN6hipcub18BlockScanAlgorithmE0EEN15benchmark_utils11custom_typeIffEELj256ELj8ELj100EEvPKT0_PS7_S7_.num_vgpr, 42
	.set _Z6kernelI14inclusive_scanILN6hipcub18BlockScanAlgorithmE0EEN15benchmark_utils11custom_typeIffEELj256ELj8ELj100EEvPKT0_PS7_S7_.num_agpr, 0
	.set _Z6kernelI14inclusive_scanILN6hipcub18BlockScanAlgorithmE0EEN15benchmark_utils11custom_typeIffEELj256ELj8ELj100EEvPKT0_PS7_S7_.numbered_sgpr, 31
	.set _Z6kernelI14inclusive_scanILN6hipcub18BlockScanAlgorithmE0EEN15benchmark_utils11custom_typeIffEELj256ELj8ELj100EEvPKT0_PS7_S7_.num_named_barrier, 0
	.set _Z6kernelI14inclusive_scanILN6hipcub18BlockScanAlgorithmE0EEN15benchmark_utils11custom_typeIffEELj256ELj8ELj100EEvPKT0_PS7_S7_.private_seg_size, 0
	.set _Z6kernelI14inclusive_scanILN6hipcub18BlockScanAlgorithmE0EEN15benchmark_utils11custom_typeIffEELj256ELj8ELj100EEvPKT0_PS7_S7_.uses_vcc, 1
	.set _Z6kernelI14inclusive_scanILN6hipcub18BlockScanAlgorithmE0EEN15benchmark_utils11custom_typeIffEELj256ELj8ELj100EEvPKT0_PS7_S7_.uses_flat_scratch, 0
	.set _Z6kernelI14inclusive_scanILN6hipcub18BlockScanAlgorithmE0EEN15benchmark_utils11custom_typeIffEELj256ELj8ELj100EEvPKT0_PS7_S7_.has_dyn_sized_stack, 0
	.set _Z6kernelI14inclusive_scanILN6hipcub18BlockScanAlgorithmE0EEN15benchmark_utils11custom_typeIffEELj256ELj8ELj100EEvPKT0_PS7_S7_.has_recursion, 0
	.set _Z6kernelI14inclusive_scanILN6hipcub18BlockScanAlgorithmE0EEN15benchmark_utils11custom_typeIffEELj256ELj8ELj100EEvPKT0_PS7_S7_.has_indirect_call, 0
	.section	.AMDGPU.csdata,"",@progbits
; Kernel info:
; codeLenInByte = 996
; TotalNumSgprs: 35
; NumVgprs: 42
; ScratchSize: 0
; MemoryBound: 0
; FloatMode: 240
; IeeeMode: 1
; LDSByteSize: 32 bytes/workgroup (compile time only)
; SGPRBlocks: 4
; VGPRBlocks: 10
; NumSGPRsForWavesPerEU: 35
; NumVGPRsForWavesPerEU: 42
; Occupancy: 5
; WaveLimiterHint : 0
; COMPUTE_PGM_RSRC2:SCRATCH_EN: 0
; COMPUTE_PGM_RSRC2:USER_SGPR: 6
; COMPUTE_PGM_RSRC2:TRAP_HANDLER: 0
; COMPUTE_PGM_RSRC2:TGID_X_EN: 1
; COMPUTE_PGM_RSRC2:TGID_Y_EN: 0
; COMPUTE_PGM_RSRC2:TGID_Z_EN: 0
; COMPUTE_PGM_RSRC2:TIDIG_COMP_CNT: 0
	.section	.text._Z6kernelI14inclusive_scanILN6hipcub18BlockScanAlgorithmE0EEN15benchmark_utils11custom_typeIddEELj256ELj1ELj100EEvPKT0_PS7_S7_,"axG",@progbits,_Z6kernelI14inclusive_scanILN6hipcub18BlockScanAlgorithmE0EEN15benchmark_utils11custom_typeIddEELj256ELj1ELj100EEvPKT0_PS7_S7_,comdat
	.protected	_Z6kernelI14inclusive_scanILN6hipcub18BlockScanAlgorithmE0EEN15benchmark_utils11custom_typeIddEELj256ELj1ELj100EEvPKT0_PS7_S7_ ; -- Begin function _Z6kernelI14inclusive_scanILN6hipcub18BlockScanAlgorithmE0EEN15benchmark_utils11custom_typeIddEELj256ELj1ELj100EEvPKT0_PS7_S7_
	.globl	_Z6kernelI14inclusive_scanILN6hipcub18BlockScanAlgorithmE0EEN15benchmark_utils11custom_typeIddEELj256ELj1ELj100EEvPKT0_PS7_S7_
	.p2align	8
	.type	_Z6kernelI14inclusive_scanILN6hipcub18BlockScanAlgorithmE0EEN15benchmark_utils11custom_typeIddEELj256ELj1ELj100EEvPKT0_PS7_S7_,@function
_Z6kernelI14inclusive_scanILN6hipcub18BlockScanAlgorithmE0EEN15benchmark_utils11custom_typeIddEELj256ELj1ELj100EEvPKT0_PS7_S7_: ; @_Z6kernelI14inclusive_scanILN6hipcub18BlockScanAlgorithmE0EEN15benchmark_utils11custom_typeIddEELj256ELj1ELj100EEvPKT0_PS7_S7_
; %bb.0:
	s_load_dword s0, s[4:5], 0x2c
	s_load_dwordx4 s[20:23], s[4:5], 0x0
	v_mov_b32_e32 v2, 0
	v_mbcnt_lo_u32_b32 v5, -1, 0
	v_mbcnt_hi_u32_b32 v5, -1, v5
	s_waitcnt lgkmcnt(0)
	s_and_b32 s0, s0, 0xffff
	s_mul_i32 s6, s6, s0
	v_add_u32_e32 v1, s6, v0
	v_lshlrev_b64 v[9:10], 4, v[1:2]
	v_mov_b32_e32 v2, s21
	v_add_co_u32_e32 v1, vcc, s20, v9
	v_addc_co_u32_e32 v2, vcc, v2, v10, vcc
	global_load_dwordx4 v[1:4], v[1:2], off
	v_and_b32_e32 v6, 15, v5
	v_cmp_ne_u32_e32 vcc, 0, v6
	v_cmp_lt_u32_e64 s[0:1], 1, v6
	v_cmp_lt_u32_e64 s[2:3], 3, v6
	;; [unrolled: 1-line block ×3, first 2 shown]
	v_and_b32_e32 v6, 16, v5
	v_cmp_ne_u32_e64 s[6:7], 0, v6
	v_or_b32_e32 v6, 63, v0
	v_cmp_eq_u32_e64 s[10:11], v0, v6
	v_lshrrev_b32_e32 v6, 2, v0
	v_cmp_lt_u32_e64 s[8:9], 31, v5
	v_and_b32_e32 v15, 48, v6
	v_and_b32_e32 v5, 3, v5
	v_cmp_gt_u32_e64 s[12:13], 4, v0
	v_cmp_lt_u32_e64 s[14:15], 63, v0
	v_lshlrev_b32_e32 v0, 4, v0
	v_cmp_ne_u32_e64 s[16:17], 0, v5
	v_cmp_lt_u32_e64 s[18:19], 1, v5
	v_add_u32_e32 v16, -16, v15
	s_movk_i32 s26, 0x64
	s_branch .LBB105_2
.LBB105_1:                              ;   in Loop: Header=BB105_2 Depth=1
	s_or_b64 exec, exec, s[20:21]
	s_add_i32 s26, s26, -1
	s_cmp_lg_u32 s26, 0
	s_cbranch_scc0 .LBB105_24
.LBB105_2:                              ; =>This Inner Loop Header: Depth=1
	s_waitcnt vmcnt(0)
	v_mov_b32_dpp v5, v1 row_shr:1 row_mask:0xf bank_mask:0xf
	v_mov_b32_dpp v6, v2 row_shr:1 row_mask:0xf bank_mask:0xf
	;; [unrolled: 1-line block ×4, first 2 shown]
	s_and_saveexec_b64 s[20:21], vcc
	s_cbranch_execz .LBB105_4
; %bb.3:                                ;   in Loop: Header=BB105_2 Depth=1
	v_add_f64 v[3:4], v[3:4], v[7:8]
	v_add_f64 v[1:2], v[1:2], v[5:6]
.LBB105_4:                              ;   in Loop: Header=BB105_2 Depth=1
	s_or_b64 exec, exec, s[20:21]
	s_nop 0
	v_mov_b32_dpp v5, v1 row_shr:2 row_mask:0xf bank_mask:0xf
	v_mov_b32_dpp v6, v2 row_shr:2 row_mask:0xf bank_mask:0xf
	v_mov_b32_dpp v7, v3 row_shr:2 row_mask:0xf bank_mask:0xf
	v_mov_b32_dpp v8, v4 row_shr:2 row_mask:0xf bank_mask:0xf
	s_and_saveexec_b64 s[20:21], s[0:1]
	s_cbranch_execz .LBB105_6
; %bb.5:                                ;   in Loop: Header=BB105_2 Depth=1
	v_add_f64 v[3:4], v[3:4], v[7:8]
	v_add_f64 v[1:2], v[1:2], v[5:6]
.LBB105_6:                              ;   in Loop: Header=BB105_2 Depth=1
	s_or_b64 exec, exec, s[20:21]
	s_nop 0
	v_mov_b32_dpp v5, v1 row_shr:4 row_mask:0xf bank_mask:0xf
	v_mov_b32_dpp v6, v2 row_shr:4 row_mask:0xf bank_mask:0xf
	v_mov_b32_dpp v7, v3 row_shr:4 row_mask:0xf bank_mask:0xf
	v_mov_b32_dpp v8, v4 row_shr:4 row_mask:0xf bank_mask:0xf
	s_and_saveexec_b64 s[20:21], s[2:3]
	;; [unrolled: 12-line block ×3, first 2 shown]
	s_cbranch_execz .LBB105_10
; %bb.9:                                ;   in Loop: Header=BB105_2 Depth=1
	v_add_f64 v[3:4], v[3:4], v[7:8]
	v_add_f64 v[1:2], v[1:2], v[5:6]
.LBB105_10:                             ;   in Loop: Header=BB105_2 Depth=1
	s_or_b64 exec, exec, s[20:21]
	s_nop 0
	v_mov_b32_dpp v5, v1 row_bcast:15 row_mask:0xf bank_mask:0xf
	v_mov_b32_dpp v6, v2 row_bcast:15 row_mask:0xf bank_mask:0xf
	v_mov_b32_dpp v7, v3 row_bcast:15 row_mask:0xf bank_mask:0xf
	v_mov_b32_dpp v8, v4 row_bcast:15 row_mask:0xf bank_mask:0xf
	s_and_saveexec_b64 s[20:21], s[6:7]
	s_cbranch_execz .LBB105_12
; %bb.11:                               ;   in Loop: Header=BB105_2 Depth=1
	v_add_f64 v[3:4], v[3:4], v[7:8]
	v_add_f64 v[1:2], v[1:2], v[5:6]
.LBB105_12:                             ;   in Loop: Header=BB105_2 Depth=1
	s_or_b64 exec, exec, s[20:21]
	s_nop 0
	v_mov_b32_dpp v5, v1 row_bcast:31 row_mask:0xf bank_mask:0xf
	v_mov_b32_dpp v6, v2 row_bcast:31 row_mask:0xf bank_mask:0xf
	v_mov_b32_dpp v7, v3 row_bcast:31 row_mask:0xf bank_mask:0xf
	v_mov_b32_dpp v8, v4 row_bcast:31 row_mask:0xf bank_mask:0xf
	s_and_saveexec_b64 s[20:21], s[8:9]
	s_cbranch_execz .LBB105_14
; %bb.13:                               ;   in Loop: Header=BB105_2 Depth=1
	v_add_f64 v[3:4], v[3:4], v[7:8]
	v_add_f64 v[1:2], v[1:2], v[5:6]
.LBB105_14:                             ;   in Loop: Header=BB105_2 Depth=1
	s_or_b64 exec, exec, s[20:21]
	s_and_saveexec_b64 s[20:21], s[10:11]
; %bb.15:                               ;   in Loop: Header=BB105_2 Depth=1
	ds_write2_b64 v15, v[1:2], v[3:4] offset1:1
; %bb.16:                               ;   in Loop: Header=BB105_2 Depth=1
	s_or_b64 exec, exec, s[20:21]
	s_waitcnt lgkmcnt(0)
	s_barrier
	s_and_saveexec_b64 s[20:21], s[12:13]
	s_cbranch_execz .LBB105_22
; %bb.17:                               ;   in Loop: Header=BB105_2 Depth=1
	ds_read2_b64 v[5:8], v0 offset1:1
	s_waitcnt lgkmcnt(0)
	s_nop 0
	v_mov_b32_dpp v11, v5 row_shr:1 row_mask:0xf bank_mask:0xf
	v_mov_b32_dpp v12, v6 row_shr:1 row_mask:0xf bank_mask:0xf
	;; [unrolled: 1-line block ×4, first 2 shown]
	s_and_saveexec_b64 s[24:25], s[16:17]
	s_cbranch_execz .LBB105_19
; %bb.18:                               ;   in Loop: Header=BB105_2 Depth=1
	v_add_f64 v[7:8], v[7:8], v[13:14]
	v_add_f64 v[5:6], v[5:6], v[11:12]
.LBB105_19:                             ;   in Loop: Header=BB105_2 Depth=1
	s_or_b64 exec, exec, s[24:25]
	s_nop 0
	v_mov_b32_dpp v11, v5 row_shr:2 row_mask:0xf bank_mask:0xf
	v_mov_b32_dpp v12, v6 row_shr:2 row_mask:0xf bank_mask:0xf
	;; [unrolled: 1-line block ×4, first 2 shown]
	s_and_saveexec_b64 s[24:25], s[18:19]
	s_cbranch_execz .LBB105_21
; %bb.20:                               ;   in Loop: Header=BB105_2 Depth=1
	v_add_f64 v[7:8], v[7:8], v[13:14]
	v_add_f64 v[5:6], v[5:6], v[11:12]
.LBB105_21:                             ;   in Loop: Header=BB105_2 Depth=1
	s_or_b64 exec, exec, s[24:25]
	ds_write2_b64 v0, v[5:6], v[7:8] offset1:1
.LBB105_22:                             ;   in Loop: Header=BB105_2 Depth=1
	s_or_b64 exec, exec, s[20:21]
	s_waitcnt lgkmcnt(0)
	s_barrier
	s_and_saveexec_b64 s[20:21], s[14:15]
	s_cbranch_execz .LBB105_1
; %bb.23:                               ;   in Loop: Header=BB105_2 Depth=1
	ds_read2_b64 v[5:8], v16 offset1:1
	s_waitcnt lgkmcnt(0)
	v_add_f64 v[1:2], v[1:2], v[5:6]
	v_add_f64 v[3:4], v[3:4], v[7:8]
	s_branch .LBB105_1
.LBB105_24:
	v_mov_b32_e32 v0, s23
	v_add_co_u32_e32 v5, vcc, s22, v9
	v_addc_co_u32_e32 v6, vcc, v0, v10, vcc
	global_store_dwordx4 v[5:6], v[1:4], off
	s_endpgm
	.section	.rodata,"a",@progbits
	.p2align	6, 0x0
	.amdhsa_kernel _Z6kernelI14inclusive_scanILN6hipcub18BlockScanAlgorithmE0EEN15benchmark_utils11custom_typeIddEELj256ELj1ELj100EEvPKT0_PS7_S7_
		.amdhsa_group_segment_fixed_size 64
		.amdhsa_private_segment_fixed_size 0
		.amdhsa_kernarg_size 288
		.amdhsa_user_sgpr_count 6
		.amdhsa_user_sgpr_private_segment_buffer 1
		.amdhsa_user_sgpr_dispatch_ptr 0
		.amdhsa_user_sgpr_queue_ptr 0
		.amdhsa_user_sgpr_kernarg_segment_ptr 1
		.amdhsa_user_sgpr_dispatch_id 0
		.amdhsa_user_sgpr_flat_scratch_init 0
		.amdhsa_user_sgpr_private_segment_size 0
		.amdhsa_uses_dynamic_stack 0
		.amdhsa_system_sgpr_private_segment_wavefront_offset 0
		.amdhsa_system_sgpr_workgroup_id_x 1
		.amdhsa_system_sgpr_workgroup_id_y 0
		.amdhsa_system_sgpr_workgroup_id_z 0
		.amdhsa_system_sgpr_workgroup_info 0
		.amdhsa_system_vgpr_workitem_id 0
		.amdhsa_next_free_vgpr 17
		.amdhsa_next_free_sgpr 27
		.amdhsa_reserve_vcc 1
		.amdhsa_reserve_flat_scratch 0
		.amdhsa_float_round_mode_32 0
		.amdhsa_float_round_mode_16_64 0
		.amdhsa_float_denorm_mode_32 3
		.amdhsa_float_denorm_mode_16_64 3
		.amdhsa_dx10_clamp 1
		.amdhsa_ieee_mode 1
		.amdhsa_fp16_overflow 0
		.amdhsa_exception_fp_ieee_invalid_op 0
		.amdhsa_exception_fp_denorm_src 0
		.amdhsa_exception_fp_ieee_div_zero 0
		.amdhsa_exception_fp_ieee_overflow 0
		.amdhsa_exception_fp_ieee_underflow 0
		.amdhsa_exception_fp_ieee_inexact 0
		.amdhsa_exception_int_div_zero 0
	.end_amdhsa_kernel
	.section	.text._Z6kernelI14inclusive_scanILN6hipcub18BlockScanAlgorithmE0EEN15benchmark_utils11custom_typeIddEELj256ELj1ELj100EEvPKT0_PS7_S7_,"axG",@progbits,_Z6kernelI14inclusive_scanILN6hipcub18BlockScanAlgorithmE0EEN15benchmark_utils11custom_typeIddEELj256ELj1ELj100EEvPKT0_PS7_S7_,comdat
.Lfunc_end105:
	.size	_Z6kernelI14inclusive_scanILN6hipcub18BlockScanAlgorithmE0EEN15benchmark_utils11custom_typeIddEELj256ELj1ELj100EEvPKT0_PS7_S7_, .Lfunc_end105-_Z6kernelI14inclusive_scanILN6hipcub18BlockScanAlgorithmE0EEN15benchmark_utils11custom_typeIddEELj256ELj1ELj100EEvPKT0_PS7_S7_
                                        ; -- End function
	.set _Z6kernelI14inclusive_scanILN6hipcub18BlockScanAlgorithmE0EEN15benchmark_utils11custom_typeIddEELj256ELj1ELj100EEvPKT0_PS7_S7_.num_vgpr, 17
	.set _Z6kernelI14inclusive_scanILN6hipcub18BlockScanAlgorithmE0EEN15benchmark_utils11custom_typeIddEELj256ELj1ELj100EEvPKT0_PS7_S7_.num_agpr, 0
	.set _Z6kernelI14inclusive_scanILN6hipcub18BlockScanAlgorithmE0EEN15benchmark_utils11custom_typeIddEELj256ELj1ELj100EEvPKT0_PS7_S7_.numbered_sgpr, 27
	.set _Z6kernelI14inclusive_scanILN6hipcub18BlockScanAlgorithmE0EEN15benchmark_utils11custom_typeIddEELj256ELj1ELj100EEvPKT0_PS7_S7_.num_named_barrier, 0
	.set _Z6kernelI14inclusive_scanILN6hipcub18BlockScanAlgorithmE0EEN15benchmark_utils11custom_typeIddEELj256ELj1ELj100EEvPKT0_PS7_S7_.private_seg_size, 0
	.set _Z6kernelI14inclusive_scanILN6hipcub18BlockScanAlgorithmE0EEN15benchmark_utils11custom_typeIddEELj256ELj1ELj100EEvPKT0_PS7_S7_.uses_vcc, 1
	.set _Z6kernelI14inclusive_scanILN6hipcub18BlockScanAlgorithmE0EEN15benchmark_utils11custom_typeIddEELj256ELj1ELj100EEvPKT0_PS7_S7_.uses_flat_scratch, 0
	.set _Z6kernelI14inclusive_scanILN6hipcub18BlockScanAlgorithmE0EEN15benchmark_utils11custom_typeIddEELj256ELj1ELj100EEvPKT0_PS7_S7_.has_dyn_sized_stack, 0
	.set _Z6kernelI14inclusive_scanILN6hipcub18BlockScanAlgorithmE0EEN15benchmark_utils11custom_typeIddEELj256ELj1ELj100EEvPKT0_PS7_S7_.has_recursion, 0
	.set _Z6kernelI14inclusive_scanILN6hipcub18BlockScanAlgorithmE0EEN15benchmark_utils11custom_typeIddEELj256ELj1ELj100EEvPKT0_PS7_S7_.has_indirect_call, 0
	.section	.AMDGPU.csdata,"",@progbits
; Kernel info:
; codeLenInByte = 864
; TotalNumSgprs: 31
; NumVgprs: 17
; ScratchSize: 0
; MemoryBound: 0
; FloatMode: 240
; IeeeMode: 1
; LDSByteSize: 64 bytes/workgroup (compile time only)
; SGPRBlocks: 3
; VGPRBlocks: 4
; NumSGPRsForWavesPerEU: 31
; NumVGPRsForWavesPerEU: 17
; Occupancy: 10
; WaveLimiterHint : 0
; COMPUTE_PGM_RSRC2:SCRATCH_EN: 0
; COMPUTE_PGM_RSRC2:USER_SGPR: 6
; COMPUTE_PGM_RSRC2:TRAP_HANDLER: 0
; COMPUTE_PGM_RSRC2:TGID_X_EN: 1
; COMPUTE_PGM_RSRC2:TGID_Y_EN: 0
; COMPUTE_PGM_RSRC2:TGID_Z_EN: 0
; COMPUTE_PGM_RSRC2:TIDIG_COMP_CNT: 0
	.section	.text._Z6kernelI14inclusive_scanILN6hipcub18BlockScanAlgorithmE0EEN15benchmark_utils11custom_typeIddEELj256ELj4ELj100EEvPKT0_PS7_S7_,"axG",@progbits,_Z6kernelI14inclusive_scanILN6hipcub18BlockScanAlgorithmE0EEN15benchmark_utils11custom_typeIddEELj256ELj4ELj100EEvPKT0_PS7_S7_,comdat
	.protected	_Z6kernelI14inclusive_scanILN6hipcub18BlockScanAlgorithmE0EEN15benchmark_utils11custom_typeIddEELj256ELj4ELj100EEvPKT0_PS7_S7_ ; -- Begin function _Z6kernelI14inclusive_scanILN6hipcub18BlockScanAlgorithmE0EEN15benchmark_utils11custom_typeIddEELj256ELj4ELj100EEvPKT0_PS7_S7_
	.globl	_Z6kernelI14inclusive_scanILN6hipcub18BlockScanAlgorithmE0EEN15benchmark_utils11custom_typeIddEELj256ELj4ELj100EEvPKT0_PS7_S7_
	.p2align	8
	.type	_Z6kernelI14inclusive_scanILN6hipcub18BlockScanAlgorithmE0EEN15benchmark_utils11custom_typeIddEELj256ELj4ELj100EEvPKT0_PS7_S7_,@function
_Z6kernelI14inclusive_scanILN6hipcub18BlockScanAlgorithmE0EEN15benchmark_utils11custom_typeIddEELj256ELj4ELj100EEvPKT0_PS7_S7_: ; @_Z6kernelI14inclusive_scanILN6hipcub18BlockScanAlgorithmE0EEN15benchmark_utils11custom_typeIddEELj256ELj4ELj100EEvPKT0_PS7_S7_
; %bb.0:
	s_load_dword s0, s[4:5], 0x2c
	s_load_dwordx4 s[24:27], s[4:5], 0x0
	v_mov_b32_e32 v2, 0
	v_cmp_gt_u32_e64 s[12:13], 4, v0
	v_cmp_lt_u32_e64 s[14:15], 63, v0
	s_waitcnt lgkmcnt(0)
	s_and_b32 s0, s0, 0xffff
	s_mul_i32 s6, s6, s0
	v_add_lshl_u32 v1, s6, v0, 2
	v_lshlrev_b64 v[33:34], 4, v[1:2]
	v_mov_b32_e32 v1, s25
	v_add_co_u32_e32 v17, vcc, s24, v33
	v_addc_co_u32_e32 v18, vcc, v1, v34, vcc
	global_load_dwordx4 v[1:4], v[17:18], off offset:48
	global_load_dwordx4 v[5:8], v[17:18], off offset:32
	;; [unrolled: 1-line block ×3, first 2 shown]
	global_load_dwordx4 v[9:12], v[17:18], off
	v_mbcnt_lo_u32_b32 v17, -1, 0
	v_mbcnt_hi_u32_b32 v17, -1, v17
	v_and_b32_e32 v18, 15, v17
	v_cmp_ne_u32_e32 vcc, 0, v18
	v_cmp_lt_u32_e64 s[0:1], 1, v18
	v_cmp_lt_u32_e64 s[2:3], 3, v18
	;; [unrolled: 1-line block ×3, first 2 shown]
	v_and_b32_e32 v18, 16, v17
	v_cmp_ne_u32_e64 s[6:7], 0, v18
	v_or_b32_e32 v18, 63, v0
	v_cmp_eq_u32_e64 s[10:11], v0, v18
	v_subrev_co_u32_e64 v18, s[16:17], 1, v17
	v_and_b32_e32 v19, 64, v17
	v_cmp_lt_i32_e64 s[18:19], v18, v19
	v_cndmask_b32_e64 v18, v18, v17, s[18:19]
	v_lshlrev_b32_e32 v43, 2, v18
	v_lshrrev_b32_e32 v18, 2, v0
	v_cmp_lt_u32_e64 s[8:9], 31, v17
	v_and_b32_e32 v44, 48, v18
	v_and_b32_e32 v17, 3, v17
	v_cmp_ne_u32_e64 s[18:19], 0, v0
	v_lshlrev_b32_e32 v0, 4, v0
	v_cmp_ne_u32_e64 s[20:21], 0, v17
	v_cmp_lt_u32_e64 s[22:23], 1, v17
	v_add_u32_e32 v45, -16, v44
	s_movk_i32 s30, 0x64
.LBB106_1:                              ; =>This Inner Loop Header: Depth=1
	s_waitcnt vmcnt(0)
	v_add_f64 v[17:18], v[13:14], v[9:10]
	v_add_f64 v[19:20], v[15:16], v[11:12]
	;; [unrolled: 1-line block ×6, first 2 shown]
	s_waitcnt lgkmcnt(2)
	v_mov_b32_e32 v38, v26
	s_waitcnt lgkmcnt(0)
	v_mov_b32_e32 v36, v28
	v_mov_b32_dpp v39, v25 row_shr:1 row_mask:0xf bank_mask:0xf
	v_mov_b32_dpp v40, v26 row_shr:1 row_mask:0xf bank_mask:0xf
	;; [unrolled: 1-line block ×4, first 2 shown]
	v_mov_b32_e32 v30, v28
	v_mov_b32_e32 v29, v27
	;; [unrolled: 1-line block ×6, first 2 shown]
	s_and_saveexec_b64 s[24:25], vcc
	s_cbranch_execz .LBB106_3
; %bb.2:                                ;   in Loop: Header=BB106_1 Depth=1
	v_add_f64 v[35:36], v[27:28], v[41:42]
	v_add_f64 v[37:38], v[25:26], v[39:40]
	v_mov_b32_e32 v30, v36
	v_mov_b32_e32 v29, v35
	v_mov_b32_e32 v32, v38
	v_mov_b32_e32 v31, v37
.LBB106_3:                              ;   in Loop: Header=BB106_1 Depth=1
	s_or_b64 exec, exec, s[24:25]
	s_nop 0
	v_mov_b32_dpp v39, v31 row_shr:2 row_mask:0xf bank_mask:0xf
	v_mov_b32_dpp v40, v32 row_shr:2 row_mask:0xf bank_mask:0xf
	v_mov_b32_dpp v41, v29 row_shr:2 row_mask:0xf bank_mask:0xf
	v_mov_b32_dpp v42, v30 row_shr:2 row_mask:0xf bank_mask:0xf
	s_and_saveexec_b64 s[24:25], s[0:1]
	s_cbranch_execz .LBB106_5
; %bb.4:                                ;   in Loop: Header=BB106_1 Depth=1
	v_add_f64 v[31:32], v[37:38], v[39:40]
	v_add_f64 v[29:30], v[35:36], v[41:42]
	v_mov_b32_e32 v38, v32
	v_mov_b32_e32 v36, v30
	v_mov_b32_e32 v37, v31
	v_mov_b32_e32 v35, v29
.LBB106_5:                              ;   in Loop: Header=BB106_1 Depth=1
	s_or_b64 exec, exec, s[24:25]
	v_mov_b32_dpp v39, v31 row_shr:4 row_mask:0xf bank_mask:0xf
	v_mov_b32_dpp v40, v32 row_shr:4 row_mask:0xf bank_mask:0xf
	v_mov_b32_dpp v41, v29 row_shr:4 row_mask:0xf bank_mask:0xf
	v_mov_b32_dpp v42, v30 row_shr:4 row_mask:0xf bank_mask:0xf
	s_and_saveexec_b64 s[24:25], s[2:3]
	s_cbranch_execz .LBB106_7
; %bb.6:                                ;   in Loop: Header=BB106_1 Depth=1
	v_add_f64 v[31:32], v[37:38], v[39:40]
	v_add_f64 v[29:30], v[35:36], v[41:42]
	v_mov_b32_e32 v38, v32
	v_mov_b32_e32 v36, v30
	v_mov_b32_e32 v37, v31
	v_mov_b32_e32 v35, v29
.LBB106_7:                              ;   in Loop: Header=BB106_1 Depth=1
	s_or_b64 exec, exec, s[24:25]
	;; [unrolled: 15-line block ×3, first 2 shown]
	v_mov_b32_dpp v39, v31 row_bcast:15 row_mask:0xf bank_mask:0xf
	v_mov_b32_dpp v40, v32 row_bcast:15 row_mask:0xf bank_mask:0xf
	;; [unrolled: 1-line block ×4, first 2 shown]
	s_and_saveexec_b64 s[24:25], s[6:7]
	s_cbranch_execz .LBB106_11
; %bb.10:                               ;   in Loop: Header=BB106_1 Depth=1
	v_add_f64 v[35:36], v[35:36], v[41:42]
	v_add_f64 v[37:38], v[37:38], v[39:40]
	v_mov_b32_e32 v30, v36
	v_mov_b32_e32 v29, v35
	;; [unrolled: 1-line block ×4, first 2 shown]
.LBB106_11:                             ;   in Loop: Header=BB106_1 Depth=1
	s_or_b64 exec, exec, s[24:25]
	s_nop 0
	v_mov_b32_dpp v31, v31 row_bcast:31 row_mask:0xf bank_mask:0xf
	v_mov_b32_dpp v32, v32 row_bcast:31 row_mask:0xf bank_mask:0xf
	v_mov_b32_dpp v29, v29 row_bcast:31 row_mask:0xf bank_mask:0xf
	v_mov_b32_dpp v30, v30 row_bcast:31 row_mask:0xf bank_mask:0xf
	s_and_saveexec_b64 s[24:25], s[8:9]
	s_cbranch_execz .LBB106_13
; %bb.12:                               ;   in Loop: Header=BB106_1 Depth=1
	v_add_f64 v[35:36], v[35:36], v[29:30]
	v_add_f64 v[37:38], v[37:38], v[31:32]
.LBB106_13:                             ;   in Loop: Header=BB106_1 Depth=1
	s_or_b64 exec, exec, s[24:25]
	s_and_saveexec_b64 s[24:25], s[10:11]
; %bb.14:                               ;   in Loop: Header=BB106_1 Depth=1
	ds_write2_b64 v44, v[37:38], v[35:36] offset1:1
; %bb.15:                               ;   in Loop: Header=BB106_1 Depth=1
	s_or_b64 exec, exec, s[24:25]
	s_waitcnt lgkmcnt(0)
	s_barrier
	s_and_saveexec_b64 s[24:25], s[12:13]
	s_cbranch_execz .LBB106_21
; %bb.16:                               ;   in Loop: Header=BB106_1 Depth=1
	ds_read2_b64 v[29:32], v0 offset1:1
	s_waitcnt lgkmcnt(0)
	s_nop 0
	v_mov_b32_dpp v39, v29 row_shr:1 row_mask:0xf bank_mask:0xf
	v_mov_b32_dpp v40, v30 row_shr:1 row_mask:0xf bank_mask:0xf
	;; [unrolled: 1-line block ×4, first 2 shown]
	s_and_saveexec_b64 s[28:29], s[20:21]
	s_cbranch_execz .LBB106_18
; %bb.17:                               ;   in Loop: Header=BB106_1 Depth=1
	v_add_f64 v[31:32], v[31:32], v[41:42]
	v_add_f64 v[29:30], v[29:30], v[39:40]
.LBB106_18:                             ;   in Loop: Header=BB106_1 Depth=1
	s_or_b64 exec, exec, s[28:29]
	s_nop 0
	v_mov_b32_dpp v39, v29 row_shr:2 row_mask:0xf bank_mask:0xf
	v_mov_b32_dpp v40, v30 row_shr:2 row_mask:0xf bank_mask:0xf
	;; [unrolled: 1-line block ×4, first 2 shown]
	s_and_saveexec_b64 s[28:29], s[22:23]
	s_cbranch_execz .LBB106_20
; %bb.19:                               ;   in Loop: Header=BB106_1 Depth=1
	v_add_f64 v[31:32], v[31:32], v[41:42]
	v_add_f64 v[29:30], v[29:30], v[39:40]
.LBB106_20:                             ;   in Loop: Header=BB106_1 Depth=1
	s_or_b64 exec, exec, s[28:29]
	ds_write2_b64 v0, v[29:30], v[31:32] offset1:1
.LBB106_21:                             ;   in Loop: Header=BB106_1 Depth=1
	s_or_b64 exec, exec, s[24:25]
	v_mov_b32_e32 v29, 0
	v_mov_b32_e32 v31, 0
	;; [unrolled: 1-line block ×4, first 2 shown]
	s_waitcnt lgkmcnt(0)
	s_barrier
	s_and_saveexec_b64 s[24:25], s[14:15]
	s_cbranch_execz .LBB106_23
; %bb.22:                               ;   in Loop: Header=BB106_1 Depth=1
	ds_read2_b64 v[29:32], v45 offset1:1
	s_waitcnt lgkmcnt(0)
	v_add_f64 v[37:38], v[37:38], v[29:30]
	v_add_f64 v[35:36], v[35:36], v[31:32]
.LBB106_23:                             ;   in Loop: Header=BB106_1 Depth=1
	s_or_b64 exec, exec, s[24:25]
	ds_bpermute_b32 v37, v43, v37
	ds_bpermute_b32 v38, v43, v38
	;; [unrolled: 1-line block ×4, first 2 shown]
	s_and_saveexec_b64 s[24:25], s[18:19]
	s_cbranch_execz .LBB106_25
; %bb.24:                               ;   in Loop: Header=BB106_1 Depth=1
	s_waitcnt lgkmcnt(2)
	v_cndmask_b32_e64 v18, v38, v30, s[16:17]
	v_cndmask_b32_e64 v17, v37, v29, s[16:17]
	s_waitcnt lgkmcnt(0)
	v_cndmask_b32_e64 v20, v36, v32, s[16:17]
	v_cndmask_b32_e64 v19, v35, v31, s[16:17]
	v_add_f64 v[9:10], v[9:10], v[17:18]
	v_add_f64 v[11:12], v[11:12], v[19:20]
	;; [unrolled: 1-line block ×8, first 2 shown]
.LBB106_25:                             ;   in Loop: Header=BB106_1 Depth=1
	s_or_b64 exec, exec, s[24:25]
	s_add_i32 s30, s30, -1
	s_cmp_lg_u32 s30, 0
	s_cbranch_scc0 .LBB106_27
; %bb.26:                               ;   in Loop: Header=BB106_1 Depth=1
	v_mov_b32_e32 v3, v27
	v_mov_b32_e32 v1, v25
	;; [unrolled: 1-line block ×12, first 2 shown]
	s_branch .LBB106_1
.LBB106_27:
	v_mov_b32_e32 v1, s27
	v_add_co_u32_e32 v0, vcc, s26, v33
	v_addc_co_u32_e32 v1, vcc, v1, v34, vcc
	global_store_dwordx4 v[0:1], v[9:12], off
	global_store_dwordx4 v[0:1], v[17:20], off offset:16
	global_store_dwordx4 v[0:1], v[21:24], off offset:32
	;; [unrolled: 1-line block ×3, first 2 shown]
	s_endpgm
	.section	.rodata,"a",@progbits
	.p2align	6, 0x0
	.amdhsa_kernel _Z6kernelI14inclusive_scanILN6hipcub18BlockScanAlgorithmE0EEN15benchmark_utils11custom_typeIddEELj256ELj4ELj100EEvPKT0_PS7_S7_
		.amdhsa_group_segment_fixed_size 64
		.amdhsa_private_segment_fixed_size 0
		.amdhsa_kernarg_size 288
		.amdhsa_user_sgpr_count 6
		.amdhsa_user_sgpr_private_segment_buffer 1
		.amdhsa_user_sgpr_dispatch_ptr 0
		.amdhsa_user_sgpr_queue_ptr 0
		.amdhsa_user_sgpr_kernarg_segment_ptr 1
		.amdhsa_user_sgpr_dispatch_id 0
		.amdhsa_user_sgpr_flat_scratch_init 0
		.amdhsa_user_sgpr_private_segment_size 0
		.amdhsa_uses_dynamic_stack 0
		.amdhsa_system_sgpr_private_segment_wavefront_offset 0
		.amdhsa_system_sgpr_workgroup_id_x 1
		.amdhsa_system_sgpr_workgroup_id_y 0
		.amdhsa_system_sgpr_workgroup_id_z 0
		.amdhsa_system_sgpr_workgroup_info 0
		.amdhsa_system_vgpr_workitem_id 0
		.amdhsa_next_free_vgpr 46
		.amdhsa_next_free_sgpr 31
		.amdhsa_reserve_vcc 1
		.amdhsa_reserve_flat_scratch 0
		.amdhsa_float_round_mode_32 0
		.amdhsa_float_round_mode_16_64 0
		.amdhsa_float_denorm_mode_32 3
		.amdhsa_float_denorm_mode_16_64 3
		.amdhsa_dx10_clamp 1
		.amdhsa_ieee_mode 1
		.amdhsa_fp16_overflow 0
		.amdhsa_exception_fp_ieee_invalid_op 0
		.amdhsa_exception_fp_denorm_src 0
		.amdhsa_exception_fp_ieee_div_zero 0
		.amdhsa_exception_fp_ieee_overflow 0
		.amdhsa_exception_fp_ieee_underflow 0
		.amdhsa_exception_fp_ieee_inexact 0
		.amdhsa_exception_int_div_zero 0
	.end_amdhsa_kernel
	.section	.text._Z6kernelI14inclusive_scanILN6hipcub18BlockScanAlgorithmE0EEN15benchmark_utils11custom_typeIddEELj256ELj4ELj100EEvPKT0_PS7_S7_,"axG",@progbits,_Z6kernelI14inclusive_scanILN6hipcub18BlockScanAlgorithmE0EEN15benchmark_utils11custom_typeIddEELj256ELj4ELj100EEvPKT0_PS7_S7_,comdat
.Lfunc_end106:
	.size	_Z6kernelI14inclusive_scanILN6hipcub18BlockScanAlgorithmE0EEN15benchmark_utils11custom_typeIddEELj256ELj4ELj100EEvPKT0_PS7_S7_, .Lfunc_end106-_Z6kernelI14inclusive_scanILN6hipcub18BlockScanAlgorithmE0EEN15benchmark_utils11custom_typeIddEELj256ELj4ELj100EEvPKT0_PS7_S7_
                                        ; -- End function
	.set _Z6kernelI14inclusive_scanILN6hipcub18BlockScanAlgorithmE0EEN15benchmark_utils11custom_typeIddEELj256ELj4ELj100EEvPKT0_PS7_S7_.num_vgpr, 46
	.set _Z6kernelI14inclusive_scanILN6hipcub18BlockScanAlgorithmE0EEN15benchmark_utils11custom_typeIddEELj256ELj4ELj100EEvPKT0_PS7_S7_.num_agpr, 0
	.set _Z6kernelI14inclusive_scanILN6hipcub18BlockScanAlgorithmE0EEN15benchmark_utils11custom_typeIddEELj256ELj4ELj100EEvPKT0_PS7_S7_.numbered_sgpr, 31
	.set _Z6kernelI14inclusive_scanILN6hipcub18BlockScanAlgorithmE0EEN15benchmark_utils11custom_typeIddEELj256ELj4ELj100EEvPKT0_PS7_S7_.num_named_barrier, 0
	.set _Z6kernelI14inclusive_scanILN6hipcub18BlockScanAlgorithmE0EEN15benchmark_utils11custom_typeIddEELj256ELj4ELj100EEvPKT0_PS7_S7_.private_seg_size, 0
	.set _Z6kernelI14inclusive_scanILN6hipcub18BlockScanAlgorithmE0EEN15benchmark_utils11custom_typeIddEELj256ELj4ELj100EEvPKT0_PS7_S7_.uses_vcc, 1
	.set _Z6kernelI14inclusive_scanILN6hipcub18BlockScanAlgorithmE0EEN15benchmark_utils11custom_typeIddEELj256ELj4ELj100EEvPKT0_PS7_S7_.uses_flat_scratch, 0
	.set _Z6kernelI14inclusive_scanILN6hipcub18BlockScanAlgorithmE0EEN15benchmark_utils11custom_typeIddEELj256ELj4ELj100EEvPKT0_PS7_S7_.has_dyn_sized_stack, 0
	.set _Z6kernelI14inclusive_scanILN6hipcub18BlockScanAlgorithmE0EEN15benchmark_utils11custom_typeIddEELj256ELj4ELj100EEvPKT0_PS7_S7_.has_recursion, 0
	.set _Z6kernelI14inclusive_scanILN6hipcub18BlockScanAlgorithmE0EEN15benchmark_utils11custom_typeIddEELj256ELj4ELj100EEvPKT0_PS7_S7_.has_indirect_call, 0
	.section	.AMDGPU.csdata,"",@progbits
; Kernel info:
; codeLenInByte = 1320
; TotalNumSgprs: 35
; NumVgprs: 46
; ScratchSize: 0
; MemoryBound: 0
; FloatMode: 240
; IeeeMode: 1
; LDSByteSize: 64 bytes/workgroup (compile time only)
; SGPRBlocks: 4
; VGPRBlocks: 11
; NumSGPRsForWavesPerEU: 35
; NumVGPRsForWavesPerEU: 46
; Occupancy: 5
; WaveLimiterHint : 0
; COMPUTE_PGM_RSRC2:SCRATCH_EN: 0
; COMPUTE_PGM_RSRC2:USER_SGPR: 6
; COMPUTE_PGM_RSRC2:TRAP_HANDLER: 0
; COMPUTE_PGM_RSRC2:TGID_X_EN: 1
; COMPUTE_PGM_RSRC2:TGID_Y_EN: 0
; COMPUTE_PGM_RSRC2:TGID_Z_EN: 0
; COMPUTE_PGM_RSRC2:TIDIG_COMP_CNT: 0
	.section	.text._Z6kernelI14inclusive_scanILN6hipcub18BlockScanAlgorithmE0EEN15benchmark_utils11custom_typeIddEELj256ELj8ELj100EEvPKT0_PS7_S7_,"axG",@progbits,_Z6kernelI14inclusive_scanILN6hipcub18BlockScanAlgorithmE0EEN15benchmark_utils11custom_typeIddEELj256ELj8ELj100EEvPKT0_PS7_S7_,comdat
	.protected	_Z6kernelI14inclusive_scanILN6hipcub18BlockScanAlgorithmE0EEN15benchmark_utils11custom_typeIddEELj256ELj8ELj100EEvPKT0_PS7_S7_ ; -- Begin function _Z6kernelI14inclusive_scanILN6hipcub18BlockScanAlgorithmE0EEN15benchmark_utils11custom_typeIddEELj256ELj8ELj100EEvPKT0_PS7_S7_
	.globl	_Z6kernelI14inclusive_scanILN6hipcub18BlockScanAlgorithmE0EEN15benchmark_utils11custom_typeIddEELj256ELj8ELj100EEvPKT0_PS7_S7_
	.p2align	8
	.type	_Z6kernelI14inclusive_scanILN6hipcub18BlockScanAlgorithmE0EEN15benchmark_utils11custom_typeIddEELj256ELj8ELj100EEvPKT0_PS7_S7_,@function
_Z6kernelI14inclusive_scanILN6hipcub18BlockScanAlgorithmE0EEN15benchmark_utils11custom_typeIddEELj256ELj8ELj100EEvPKT0_PS7_S7_: ; @_Z6kernelI14inclusive_scanILN6hipcub18BlockScanAlgorithmE0EEN15benchmark_utils11custom_typeIddEELj256ELj8ELj100EEvPKT0_PS7_S7_
; %bb.0:
	s_load_dword s0, s[4:5], 0x2c
	s_load_dwordx4 s[24:27], s[4:5], 0x0
	v_mov_b32_e32 v2, 0
	v_cmp_gt_u32_e64 s[12:13], 4, v0
	v_cmp_lt_u32_e64 s[14:15], 63, v0
	s_waitcnt lgkmcnt(0)
	s_and_b32 s0, s0, 0xffff
	s_mul_i32 s6, s6, s0
	v_add_lshl_u32 v1, s6, v0, 3
	v_lshlrev_b64 v[65:66], 4, v[1:2]
	v_mov_b32_e32 v1, s25
	v_add_co_u32_e32 v33, vcc, s24, v65
	v_addc_co_u32_e32 v34, vcc, v1, v66, vcc
	global_load_dwordx4 v[1:4], v[33:34], off offset:48
	global_load_dwordx4 v[5:8], v[33:34], off offset:32
	;; [unrolled: 1-line block ×3, first 2 shown]
	global_load_dwordx4 v[9:12], v[33:34], off
	global_load_dwordx4 v[13:16], v[33:34], off offset:112
	global_load_dwordx4 v[17:20], v[33:34], off offset:96
	;; [unrolled: 1-line block ×4, first 2 shown]
	v_mbcnt_lo_u32_b32 v33, -1, 0
	v_mbcnt_hi_u32_b32 v33, -1, v33
	v_and_b32_e32 v34, 15, v33
	v_cmp_ne_u32_e32 vcc, 0, v34
	v_cmp_lt_u32_e64 s[0:1], 1, v34
	v_cmp_lt_u32_e64 s[2:3], 3, v34
	;; [unrolled: 1-line block ×3, first 2 shown]
	v_and_b32_e32 v34, 16, v33
	v_cmp_ne_u32_e64 s[6:7], 0, v34
	v_or_b32_e32 v34, 63, v0
	v_cmp_eq_u32_e64 s[10:11], v0, v34
	v_subrev_co_u32_e64 v34, s[16:17], 1, v33
	v_and_b32_e32 v35, 64, v33
	v_cmp_lt_i32_e64 s[18:19], v34, v35
	v_cndmask_b32_e64 v34, v34, v33, s[18:19]
	v_lshlrev_b32_e32 v75, 2, v34
	v_lshrrev_b32_e32 v34, 2, v0
	v_cmp_lt_u32_e64 s[8:9], 31, v33
	v_and_b32_e32 v76, 48, v34
	v_and_b32_e32 v33, 3, v33
	v_cmp_ne_u32_e64 s[18:19], 0, v0
	v_lshlrev_b32_e32 v0, 4, v0
	v_cmp_ne_u32_e64 s[20:21], 0, v33
	v_cmp_lt_u32_e64 s[22:23], 1, v33
	v_add_u32_e32 v77, -16, v76
	s_movk_i32 s30, 0x64
.LBB107_1:                              ; =>This Inner Loop Header: Depth=1
	s_waitcnt vmcnt(4)
	v_add_f64 v[33:34], v[29:30], v[9:10]
	v_add_f64 v[35:36], v[31:32], v[11:12]
	;; [unrolled: 1-line block ×6, first 2 shown]
	s_waitcnt vmcnt(0)
	v_add_f64 v[45:46], v[25:26], v[41:42]
	v_add_f64 v[47:48], v[27:28], v[43:44]
	;; [unrolled: 1-line block ×8, first 2 shown]
	s_waitcnt lgkmcnt(2)
	v_mov_b32_e32 v70, v58
	s_waitcnt lgkmcnt(0)
	v_mov_b32_e32 v68, v60
	v_mov_b32_dpp v71, v57 row_shr:1 row_mask:0xf bank_mask:0xf
	v_mov_b32_dpp v72, v58 row_shr:1 row_mask:0xf bank_mask:0xf
	;; [unrolled: 1-line block ×4, first 2 shown]
	v_mov_b32_e32 v62, v60
	v_mov_b32_e32 v61, v59
	;; [unrolled: 1-line block ×6, first 2 shown]
	s_and_saveexec_b64 s[24:25], vcc
	s_cbranch_execz .LBB107_3
; %bb.2:                                ;   in Loop: Header=BB107_1 Depth=1
	v_add_f64 v[67:68], v[59:60], v[73:74]
	v_add_f64 v[69:70], v[57:58], v[71:72]
	v_mov_b32_e32 v62, v68
	v_mov_b32_e32 v61, v67
	;; [unrolled: 1-line block ×4, first 2 shown]
.LBB107_3:                              ;   in Loop: Header=BB107_1 Depth=1
	s_or_b64 exec, exec, s[24:25]
	s_nop 0
	v_mov_b32_dpp v71, v63 row_shr:2 row_mask:0xf bank_mask:0xf
	v_mov_b32_dpp v72, v64 row_shr:2 row_mask:0xf bank_mask:0xf
	v_mov_b32_dpp v73, v61 row_shr:2 row_mask:0xf bank_mask:0xf
	v_mov_b32_dpp v74, v62 row_shr:2 row_mask:0xf bank_mask:0xf
	s_and_saveexec_b64 s[24:25], s[0:1]
	s_cbranch_execz .LBB107_5
; %bb.4:                                ;   in Loop: Header=BB107_1 Depth=1
	v_add_f64 v[63:64], v[69:70], v[71:72]
	v_add_f64 v[61:62], v[67:68], v[73:74]
	v_mov_b32_e32 v70, v64
	v_mov_b32_e32 v68, v62
	v_mov_b32_e32 v69, v63
	v_mov_b32_e32 v67, v61
.LBB107_5:                              ;   in Loop: Header=BB107_1 Depth=1
	s_or_b64 exec, exec, s[24:25]
	v_mov_b32_dpp v71, v63 row_shr:4 row_mask:0xf bank_mask:0xf
	v_mov_b32_dpp v72, v64 row_shr:4 row_mask:0xf bank_mask:0xf
	v_mov_b32_dpp v73, v61 row_shr:4 row_mask:0xf bank_mask:0xf
	v_mov_b32_dpp v74, v62 row_shr:4 row_mask:0xf bank_mask:0xf
	s_and_saveexec_b64 s[24:25], s[2:3]
	s_cbranch_execz .LBB107_7
; %bb.6:                                ;   in Loop: Header=BB107_1 Depth=1
	v_add_f64 v[63:64], v[69:70], v[71:72]
	v_add_f64 v[61:62], v[67:68], v[73:74]
	v_mov_b32_e32 v70, v64
	v_mov_b32_e32 v68, v62
	v_mov_b32_e32 v69, v63
	v_mov_b32_e32 v67, v61
.LBB107_7:                              ;   in Loop: Header=BB107_1 Depth=1
	s_or_b64 exec, exec, s[24:25]
	;; [unrolled: 15-line block ×3, first 2 shown]
	v_mov_b32_dpp v71, v63 row_bcast:15 row_mask:0xf bank_mask:0xf
	v_mov_b32_dpp v72, v64 row_bcast:15 row_mask:0xf bank_mask:0xf
	;; [unrolled: 1-line block ×4, first 2 shown]
	s_and_saveexec_b64 s[24:25], s[6:7]
	s_cbranch_execz .LBB107_11
; %bb.10:                               ;   in Loop: Header=BB107_1 Depth=1
	v_add_f64 v[67:68], v[67:68], v[73:74]
	v_add_f64 v[69:70], v[69:70], v[71:72]
	v_mov_b32_e32 v62, v68
	v_mov_b32_e32 v61, v67
	;; [unrolled: 1-line block ×4, first 2 shown]
.LBB107_11:                             ;   in Loop: Header=BB107_1 Depth=1
	s_or_b64 exec, exec, s[24:25]
	s_nop 0
	v_mov_b32_dpp v63, v63 row_bcast:31 row_mask:0xf bank_mask:0xf
	v_mov_b32_dpp v64, v64 row_bcast:31 row_mask:0xf bank_mask:0xf
	;; [unrolled: 1-line block ×4, first 2 shown]
	s_and_saveexec_b64 s[24:25], s[8:9]
	s_cbranch_execz .LBB107_13
; %bb.12:                               ;   in Loop: Header=BB107_1 Depth=1
	v_add_f64 v[67:68], v[67:68], v[61:62]
	v_add_f64 v[69:70], v[69:70], v[63:64]
.LBB107_13:                             ;   in Loop: Header=BB107_1 Depth=1
	s_or_b64 exec, exec, s[24:25]
	s_and_saveexec_b64 s[24:25], s[10:11]
; %bb.14:                               ;   in Loop: Header=BB107_1 Depth=1
	ds_write2_b64 v76, v[69:70], v[67:68] offset1:1
; %bb.15:                               ;   in Loop: Header=BB107_1 Depth=1
	s_or_b64 exec, exec, s[24:25]
	s_waitcnt lgkmcnt(0)
	s_barrier
	s_and_saveexec_b64 s[24:25], s[12:13]
	s_cbranch_execz .LBB107_21
; %bb.16:                               ;   in Loop: Header=BB107_1 Depth=1
	ds_read2_b64 v[61:64], v0 offset1:1
	s_waitcnt lgkmcnt(0)
	s_nop 0
	v_mov_b32_dpp v71, v61 row_shr:1 row_mask:0xf bank_mask:0xf
	v_mov_b32_dpp v72, v62 row_shr:1 row_mask:0xf bank_mask:0xf
	;; [unrolled: 1-line block ×4, first 2 shown]
	s_and_saveexec_b64 s[28:29], s[20:21]
	s_cbranch_execz .LBB107_18
; %bb.17:                               ;   in Loop: Header=BB107_1 Depth=1
	v_add_f64 v[63:64], v[63:64], v[73:74]
	v_add_f64 v[61:62], v[61:62], v[71:72]
.LBB107_18:                             ;   in Loop: Header=BB107_1 Depth=1
	s_or_b64 exec, exec, s[28:29]
	s_nop 0
	v_mov_b32_dpp v71, v61 row_shr:2 row_mask:0xf bank_mask:0xf
	v_mov_b32_dpp v72, v62 row_shr:2 row_mask:0xf bank_mask:0xf
	;; [unrolled: 1-line block ×4, first 2 shown]
	s_and_saveexec_b64 s[28:29], s[22:23]
	s_cbranch_execz .LBB107_20
; %bb.19:                               ;   in Loop: Header=BB107_1 Depth=1
	v_add_f64 v[63:64], v[63:64], v[73:74]
	v_add_f64 v[61:62], v[61:62], v[71:72]
.LBB107_20:                             ;   in Loop: Header=BB107_1 Depth=1
	s_or_b64 exec, exec, s[28:29]
	ds_write2_b64 v0, v[61:62], v[63:64] offset1:1
.LBB107_21:                             ;   in Loop: Header=BB107_1 Depth=1
	s_or_b64 exec, exec, s[24:25]
	v_mov_b32_e32 v61, 0
	v_mov_b32_e32 v63, 0
	;; [unrolled: 1-line block ×4, first 2 shown]
	s_waitcnt lgkmcnt(0)
	s_barrier
	s_and_saveexec_b64 s[24:25], s[14:15]
	s_cbranch_execz .LBB107_23
; %bb.22:                               ;   in Loop: Header=BB107_1 Depth=1
	ds_read2_b64 v[61:64], v77 offset1:1
	s_waitcnt lgkmcnt(0)
	v_add_f64 v[69:70], v[69:70], v[61:62]
	v_add_f64 v[67:68], v[67:68], v[63:64]
.LBB107_23:                             ;   in Loop: Header=BB107_1 Depth=1
	s_or_b64 exec, exec, s[24:25]
	ds_bpermute_b32 v69, v75, v69
	ds_bpermute_b32 v70, v75, v70
	;; [unrolled: 1-line block ×4, first 2 shown]
	s_and_saveexec_b64 s[24:25], s[18:19]
	s_cbranch_execz .LBB107_25
; %bb.24:                               ;   in Loop: Header=BB107_1 Depth=1
	s_waitcnt lgkmcnt(2)
	v_cndmask_b32_e64 v34, v70, v62, s[16:17]
	v_cndmask_b32_e64 v33, v69, v61, s[16:17]
	s_waitcnt lgkmcnt(0)
	v_cndmask_b32_e64 v36, v68, v64, s[16:17]
	v_cndmask_b32_e64 v35, v67, v63, s[16:17]
	v_add_f64 v[9:10], v[9:10], v[33:34]
	v_add_f64 v[11:12], v[11:12], v[35:36]
	;; [unrolled: 1-line block ×16, first 2 shown]
.LBB107_25:                             ;   in Loop: Header=BB107_1 Depth=1
	s_or_b64 exec, exec, s[24:25]
	s_add_i32 s30, s30, -1
	s_cmp_lg_u32 s30, 0
	s_cbranch_scc0 .LBB107_27
; %bb.26:                               ;   in Loop: Header=BB107_1 Depth=1
	v_mov_b32_e32 v15, v59
	v_mov_b32_e32 v13, v57
	;; [unrolled: 1-line block ×28, first 2 shown]
	s_branch .LBB107_1
.LBB107_27:
	v_mov_b32_e32 v1, s27
	v_add_co_u32_e32 v0, vcc, s26, v65
	v_addc_co_u32_e32 v1, vcc, v1, v66, vcc
	global_store_dwordx4 v[0:1], v[9:12], off
	global_store_dwordx4 v[0:1], v[33:36], off offset:16
	global_store_dwordx4 v[0:1], v[37:40], off offset:32
	;; [unrolled: 1-line block ×7, first 2 shown]
	s_endpgm
	.section	.rodata,"a",@progbits
	.p2align	6, 0x0
	.amdhsa_kernel _Z6kernelI14inclusive_scanILN6hipcub18BlockScanAlgorithmE0EEN15benchmark_utils11custom_typeIddEELj256ELj8ELj100EEvPKT0_PS7_S7_
		.amdhsa_group_segment_fixed_size 64
		.amdhsa_private_segment_fixed_size 0
		.amdhsa_kernarg_size 288
		.amdhsa_user_sgpr_count 6
		.amdhsa_user_sgpr_private_segment_buffer 1
		.amdhsa_user_sgpr_dispatch_ptr 0
		.amdhsa_user_sgpr_queue_ptr 0
		.amdhsa_user_sgpr_kernarg_segment_ptr 1
		.amdhsa_user_sgpr_dispatch_id 0
		.amdhsa_user_sgpr_flat_scratch_init 0
		.amdhsa_user_sgpr_private_segment_size 0
		.amdhsa_uses_dynamic_stack 0
		.amdhsa_system_sgpr_private_segment_wavefront_offset 0
		.amdhsa_system_sgpr_workgroup_id_x 1
		.amdhsa_system_sgpr_workgroup_id_y 0
		.amdhsa_system_sgpr_workgroup_id_z 0
		.amdhsa_system_sgpr_workgroup_info 0
		.amdhsa_system_vgpr_workitem_id 0
		.amdhsa_next_free_vgpr 78
		.amdhsa_next_free_sgpr 31
		.amdhsa_reserve_vcc 1
		.amdhsa_reserve_flat_scratch 0
		.amdhsa_float_round_mode_32 0
		.amdhsa_float_round_mode_16_64 0
		.amdhsa_float_denorm_mode_32 3
		.amdhsa_float_denorm_mode_16_64 3
		.amdhsa_dx10_clamp 1
		.amdhsa_ieee_mode 1
		.amdhsa_fp16_overflow 0
		.amdhsa_exception_fp_ieee_invalid_op 0
		.amdhsa_exception_fp_denorm_src 0
		.amdhsa_exception_fp_ieee_div_zero 0
		.amdhsa_exception_fp_ieee_overflow 0
		.amdhsa_exception_fp_ieee_underflow 0
		.amdhsa_exception_fp_ieee_inexact 0
		.amdhsa_exception_int_div_zero 0
	.end_amdhsa_kernel
	.section	.text._Z6kernelI14inclusive_scanILN6hipcub18BlockScanAlgorithmE0EEN15benchmark_utils11custom_typeIddEELj256ELj8ELj100EEvPKT0_PS7_S7_,"axG",@progbits,_Z6kernelI14inclusive_scanILN6hipcub18BlockScanAlgorithmE0EEN15benchmark_utils11custom_typeIddEELj256ELj8ELj100EEvPKT0_PS7_S7_,comdat
.Lfunc_end107:
	.size	_Z6kernelI14inclusive_scanILN6hipcub18BlockScanAlgorithmE0EEN15benchmark_utils11custom_typeIddEELj256ELj8ELj100EEvPKT0_PS7_S7_, .Lfunc_end107-_Z6kernelI14inclusive_scanILN6hipcub18BlockScanAlgorithmE0EEN15benchmark_utils11custom_typeIddEELj256ELj8ELj100EEvPKT0_PS7_S7_
                                        ; -- End function
	.set _Z6kernelI14inclusive_scanILN6hipcub18BlockScanAlgorithmE0EEN15benchmark_utils11custom_typeIddEELj256ELj8ELj100EEvPKT0_PS7_S7_.num_vgpr, 78
	.set _Z6kernelI14inclusive_scanILN6hipcub18BlockScanAlgorithmE0EEN15benchmark_utils11custom_typeIddEELj256ELj8ELj100EEvPKT0_PS7_S7_.num_agpr, 0
	.set _Z6kernelI14inclusive_scanILN6hipcub18BlockScanAlgorithmE0EEN15benchmark_utils11custom_typeIddEELj256ELj8ELj100EEvPKT0_PS7_S7_.numbered_sgpr, 31
	.set _Z6kernelI14inclusive_scanILN6hipcub18BlockScanAlgorithmE0EEN15benchmark_utils11custom_typeIddEELj256ELj8ELj100EEvPKT0_PS7_S7_.num_named_barrier, 0
	.set _Z6kernelI14inclusive_scanILN6hipcub18BlockScanAlgorithmE0EEN15benchmark_utils11custom_typeIddEELj256ELj8ELj100EEvPKT0_PS7_S7_.private_seg_size, 0
	.set _Z6kernelI14inclusive_scanILN6hipcub18BlockScanAlgorithmE0EEN15benchmark_utils11custom_typeIddEELj256ELj8ELj100EEvPKT0_PS7_S7_.uses_vcc, 1
	.set _Z6kernelI14inclusive_scanILN6hipcub18BlockScanAlgorithmE0EEN15benchmark_utils11custom_typeIddEELj256ELj8ELj100EEvPKT0_PS7_S7_.uses_flat_scratch, 0
	.set _Z6kernelI14inclusive_scanILN6hipcub18BlockScanAlgorithmE0EEN15benchmark_utils11custom_typeIddEELj256ELj8ELj100EEvPKT0_PS7_S7_.has_dyn_sized_stack, 0
	.set _Z6kernelI14inclusive_scanILN6hipcub18BlockScanAlgorithmE0EEN15benchmark_utils11custom_typeIddEELj256ELj8ELj100EEvPKT0_PS7_S7_.has_recursion, 0
	.set _Z6kernelI14inclusive_scanILN6hipcub18BlockScanAlgorithmE0EEN15benchmark_utils11custom_typeIddEELj256ELj8ELj100EEvPKT0_PS7_S7_.has_indirect_call, 0
	.section	.AMDGPU.csdata,"",@progbits
; Kernel info:
; codeLenInByte = 1580
; TotalNumSgprs: 35
; NumVgprs: 78
; ScratchSize: 0
; MemoryBound: 0
; FloatMode: 240
; IeeeMode: 1
; LDSByteSize: 64 bytes/workgroup (compile time only)
; SGPRBlocks: 4
; VGPRBlocks: 19
; NumSGPRsForWavesPerEU: 35
; NumVGPRsForWavesPerEU: 78
; Occupancy: 3
; WaveLimiterHint : 0
; COMPUTE_PGM_RSRC2:SCRATCH_EN: 0
; COMPUTE_PGM_RSRC2:USER_SGPR: 6
; COMPUTE_PGM_RSRC2:TRAP_HANDLER: 0
; COMPUTE_PGM_RSRC2:TGID_X_EN: 1
; COMPUTE_PGM_RSRC2:TGID_Y_EN: 0
; COMPUTE_PGM_RSRC2:TGID_Z_EN: 0
; COMPUTE_PGM_RSRC2:TIDIG_COMP_CNT: 0
	.section	.text._Z6kernelI14exclusive_scanILN6hipcub18BlockScanAlgorithmE1EEiLj64ELj1ELj100EEvPKT0_PS4_S4_,"axG",@progbits,_Z6kernelI14exclusive_scanILN6hipcub18BlockScanAlgorithmE1EEiLj64ELj1ELj100EEvPKT0_PS4_S4_,comdat
	.protected	_Z6kernelI14exclusive_scanILN6hipcub18BlockScanAlgorithmE1EEiLj64ELj1ELj100EEvPKT0_PS4_S4_ ; -- Begin function _Z6kernelI14exclusive_scanILN6hipcub18BlockScanAlgorithmE1EEiLj64ELj1ELj100EEvPKT0_PS4_S4_
	.globl	_Z6kernelI14exclusive_scanILN6hipcub18BlockScanAlgorithmE1EEiLj64ELj1ELj100EEvPKT0_PS4_S4_
	.p2align	8
	.type	_Z6kernelI14exclusive_scanILN6hipcub18BlockScanAlgorithmE1EEiLj64ELj1ELj100EEvPKT0_PS4_S4_,@function
_Z6kernelI14exclusive_scanILN6hipcub18BlockScanAlgorithmE1EEiLj64ELj1ELj100EEvPKT0_PS4_S4_: ; @_Z6kernelI14exclusive_scanILN6hipcub18BlockScanAlgorithmE1EEiLj64ELj1ELj100EEvPKT0_PS4_S4_
; %bb.0:
	s_load_dword s0, s[4:5], 0x24
	s_load_dwordx4 s[16:19], s[4:5], 0x0
	s_load_dword s20, s[4:5], 0x10
	v_mov_b32_e32 v3, 0
	v_cmp_eq_u32_e64 s[10:11], 63, v0
	s_waitcnt lgkmcnt(0)
	s_and_b32 s0, s0, 0xffff
	s_mul_i32 s6, s6, s0
	v_add_u32_e32 v2, s6, v0
	v_lshlrev_b64 v[1:2], 2, v[2:3]
	v_mov_b32_e32 v5, s17
	v_add_co_u32_e32 v4, vcc, s16, v1
	v_addc_co_u32_e32 v5, vcc, v5, v2, vcc
	global_load_dword v5, v[4:5], off
	v_mbcnt_lo_u32_b32 v4, -1, 0
	v_mbcnt_hi_u32_b32 v4, -1, v4
	v_and_b32_e32 v6, 15, v4
	v_cmp_eq_u32_e32 vcc, 0, v6
	v_cmp_lt_u32_e64 s[0:1], 1, v6
	v_cmp_lt_u32_e64 s[2:3], 3, v6
	;; [unrolled: 1-line block ×3, first 2 shown]
	v_and_b32_e32 v6, 16, v4
	v_cmp_eq_u32_e64 s[6:7], 0, v6
	v_subrev_co_u32_e64 v0, s[12:13], 1, v4
	v_and_b32_e32 v6, 64, v4
	v_cmp_lt_i32_e64 s[14:15], v0, v6
	v_cndmask_b32_e64 v0, v0, v4, s[14:15]
	v_cmp_lt_u32_e64 s[8:9], 31, v4
	v_lshlrev_b32_e32 v0, 2, v0
	s_movk_i32 s16, 0x64
	v_mov_b32_e32 v4, s20
	s_branch .LBB108_2
.LBB108_1:                              ;   in Loop: Header=BB108_2 Depth=1
	s_or_b64 exec, exec, s[14:15]
	v_add_u32_e32 v5, s20, v5
	ds_bpermute_b32 v5, v0, v5
	s_add_i32 s16, s16, -1
	s_cmp_lg_u32 s16, 0
	s_waitcnt lgkmcnt(0)
	; wave barrier
	v_cndmask_b32_e64 v5, v5, v4, s[12:13]
	s_cbranch_scc0 .LBB108_4
.LBB108_2:                              ; =>This Inner Loop Header: Depth=1
	s_waitcnt vmcnt(0)
	v_mov_b32_dpp v6, v5 row_shr:1 row_mask:0xf bank_mask:0xf
	v_cndmask_b32_e64 v6, v6, 0, vcc
	v_add_u32_e32 v5, v6, v5
	s_nop 1
	v_mov_b32_dpp v6, v5 row_shr:2 row_mask:0xf bank_mask:0xf
	v_cndmask_b32_e64 v6, 0, v6, s[0:1]
	v_add_u32_e32 v5, v5, v6
	s_nop 1
	v_mov_b32_dpp v6, v5 row_shr:4 row_mask:0xf bank_mask:0xf
	v_cndmask_b32_e64 v6, 0, v6, s[2:3]
	;; [unrolled: 4-line block ×3, first 2 shown]
	v_add_u32_e32 v5, v5, v6
	s_nop 1
	v_mov_b32_dpp v6, v5 row_bcast:15 row_mask:0xf bank_mask:0xf
	v_cndmask_b32_e64 v6, v6, 0, s[6:7]
	v_add_u32_e32 v5, v5, v6
	s_nop 1
	v_mov_b32_dpp v6, v5 row_bcast:31 row_mask:0xf bank_mask:0xf
	v_cndmask_b32_e64 v6, 0, v6, s[8:9]
	v_add_u32_e32 v5, v5, v6
	s_and_saveexec_b64 s[14:15], s[10:11]
	s_cbranch_execz .LBB108_1
; %bb.3:                                ;   in Loop: Header=BB108_2 Depth=1
	ds_write_b32 v3, v5
	s_branch .LBB108_1
.LBB108_4:
	v_mov_b32_e32 v3, s19
	v_add_co_u32_e32 v0, vcc, s18, v1
	v_addc_co_u32_e32 v1, vcc, v3, v2, vcc
	global_store_dword v[0:1], v5, off
	s_endpgm
	.section	.rodata,"a",@progbits
	.p2align	6, 0x0
	.amdhsa_kernel _Z6kernelI14exclusive_scanILN6hipcub18BlockScanAlgorithmE1EEiLj64ELj1ELj100EEvPKT0_PS4_S4_
		.amdhsa_group_segment_fixed_size 4
		.amdhsa_private_segment_fixed_size 0
		.amdhsa_kernarg_size 280
		.amdhsa_user_sgpr_count 6
		.amdhsa_user_sgpr_private_segment_buffer 1
		.amdhsa_user_sgpr_dispatch_ptr 0
		.amdhsa_user_sgpr_queue_ptr 0
		.amdhsa_user_sgpr_kernarg_segment_ptr 1
		.amdhsa_user_sgpr_dispatch_id 0
		.amdhsa_user_sgpr_flat_scratch_init 0
		.amdhsa_user_sgpr_private_segment_size 0
		.amdhsa_uses_dynamic_stack 0
		.amdhsa_system_sgpr_private_segment_wavefront_offset 0
		.amdhsa_system_sgpr_workgroup_id_x 1
		.amdhsa_system_sgpr_workgroup_id_y 0
		.amdhsa_system_sgpr_workgroup_id_z 0
		.amdhsa_system_sgpr_workgroup_info 0
		.amdhsa_system_vgpr_workitem_id 0
		.amdhsa_next_free_vgpr 7
		.amdhsa_next_free_sgpr 21
		.amdhsa_reserve_vcc 1
		.amdhsa_reserve_flat_scratch 0
		.amdhsa_float_round_mode_32 0
		.amdhsa_float_round_mode_16_64 0
		.amdhsa_float_denorm_mode_32 3
		.amdhsa_float_denorm_mode_16_64 3
		.amdhsa_dx10_clamp 1
		.amdhsa_ieee_mode 1
		.amdhsa_fp16_overflow 0
		.amdhsa_exception_fp_ieee_invalid_op 0
		.amdhsa_exception_fp_denorm_src 0
		.amdhsa_exception_fp_ieee_div_zero 0
		.amdhsa_exception_fp_ieee_overflow 0
		.amdhsa_exception_fp_ieee_underflow 0
		.amdhsa_exception_fp_ieee_inexact 0
		.amdhsa_exception_int_div_zero 0
	.end_amdhsa_kernel
	.section	.text._Z6kernelI14exclusive_scanILN6hipcub18BlockScanAlgorithmE1EEiLj64ELj1ELj100EEvPKT0_PS4_S4_,"axG",@progbits,_Z6kernelI14exclusive_scanILN6hipcub18BlockScanAlgorithmE1EEiLj64ELj1ELj100EEvPKT0_PS4_S4_,comdat
.Lfunc_end108:
	.size	_Z6kernelI14exclusive_scanILN6hipcub18BlockScanAlgorithmE1EEiLj64ELj1ELj100EEvPKT0_PS4_S4_, .Lfunc_end108-_Z6kernelI14exclusive_scanILN6hipcub18BlockScanAlgorithmE1EEiLj64ELj1ELj100EEvPKT0_PS4_S4_
                                        ; -- End function
	.set _Z6kernelI14exclusive_scanILN6hipcub18BlockScanAlgorithmE1EEiLj64ELj1ELj100EEvPKT0_PS4_S4_.num_vgpr, 7
	.set _Z6kernelI14exclusive_scanILN6hipcub18BlockScanAlgorithmE1EEiLj64ELj1ELj100EEvPKT0_PS4_S4_.num_agpr, 0
	.set _Z6kernelI14exclusive_scanILN6hipcub18BlockScanAlgorithmE1EEiLj64ELj1ELj100EEvPKT0_PS4_S4_.numbered_sgpr, 21
	.set _Z6kernelI14exclusive_scanILN6hipcub18BlockScanAlgorithmE1EEiLj64ELj1ELj100EEvPKT0_PS4_S4_.num_named_barrier, 0
	.set _Z6kernelI14exclusive_scanILN6hipcub18BlockScanAlgorithmE1EEiLj64ELj1ELj100EEvPKT0_PS4_S4_.private_seg_size, 0
	.set _Z6kernelI14exclusive_scanILN6hipcub18BlockScanAlgorithmE1EEiLj64ELj1ELj100EEvPKT0_PS4_S4_.uses_vcc, 1
	.set _Z6kernelI14exclusive_scanILN6hipcub18BlockScanAlgorithmE1EEiLj64ELj1ELj100EEvPKT0_PS4_S4_.uses_flat_scratch, 0
	.set _Z6kernelI14exclusive_scanILN6hipcub18BlockScanAlgorithmE1EEiLj64ELj1ELj100EEvPKT0_PS4_S4_.has_dyn_sized_stack, 0
	.set _Z6kernelI14exclusive_scanILN6hipcub18BlockScanAlgorithmE1EEiLj64ELj1ELj100EEvPKT0_PS4_S4_.has_recursion, 0
	.set _Z6kernelI14exclusive_scanILN6hipcub18BlockScanAlgorithmE1EEiLj64ELj1ELj100EEvPKT0_PS4_S4_.has_indirect_call, 0
	.section	.AMDGPU.csdata,"",@progbits
; Kernel info:
; codeLenInByte = 424
; TotalNumSgprs: 25
; NumVgprs: 7
; ScratchSize: 0
; MemoryBound: 0
; FloatMode: 240
; IeeeMode: 1
; LDSByteSize: 4 bytes/workgroup (compile time only)
; SGPRBlocks: 3
; VGPRBlocks: 1
; NumSGPRsForWavesPerEU: 25
; NumVGPRsForWavesPerEU: 7
; Occupancy: 10
; WaveLimiterHint : 0
; COMPUTE_PGM_RSRC2:SCRATCH_EN: 0
; COMPUTE_PGM_RSRC2:USER_SGPR: 6
; COMPUTE_PGM_RSRC2:TRAP_HANDLER: 0
; COMPUTE_PGM_RSRC2:TGID_X_EN: 1
; COMPUTE_PGM_RSRC2:TGID_Y_EN: 0
; COMPUTE_PGM_RSRC2:TGID_Z_EN: 0
; COMPUTE_PGM_RSRC2:TIDIG_COMP_CNT: 0
	.section	.text._Z6kernelI14exclusive_scanILN6hipcub18BlockScanAlgorithmE1EEiLj64ELj3ELj100EEvPKT0_PS4_S4_,"axG",@progbits,_Z6kernelI14exclusive_scanILN6hipcub18BlockScanAlgorithmE1EEiLj64ELj3ELj100EEvPKT0_PS4_S4_,comdat
	.protected	_Z6kernelI14exclusive_scanILN6hipcub18BlockScanAlgorithmE1EEiLj64ELj3ELj100EEvPKT0_PS4_S4_ ; -- Begin function _Z6kernelI14exclusive_scanILN6hipcub18BlockScanAlgorithmE1EEiLj64ELj3ELj100EEvPKT0_PS4_S4_
	.globl	_Z6kernelI14exclusive_scanILN6hipcub18BlockScanAlgorithmE1EEiLj64ELj3ELj100EEvPKT0_PS4_S4_
	.p2align	8
	.type	_Z6kernelI14exclusive_scanILN6hipcub18BlockScanAlgorithmE1EEiLj64ELj3ELj100EEvPKT0_PS4_S4_,@function
_Z6kernelI14exclusive_scanILN6hipcub18BlockScanAlgorithmE1EEiLj64ELj3ELj100EEvPKT0_PS4_S4_: ; @_Z6kernelI14exclusive_scanILN6hipcub18BlockScanAlgorithmE1EEiLj64ELj3ELj100EEvPKT0_PS4_S4_
; %bb.0:
	s_load_dword s0, s[4:5], 0x24
	s_load_dwordx4 s[16:19], s[4:5], 0x0
	s_load_dword s20, s[4:5], 0x10
	v_mov_b32_e32 v4, 0
	v_mov_b32_e32 v6, v4
	s_waitcnt lgkmcnt(0)
	s_and_b32 s0, s0, 0xffff
	s_mul_i32 s6, s6, s0
	v_add_u32_e32 v1, s6, v0
	v_lshl_add_u32 v3, v1, 1, v1
	v_lshlrev_b64 v[1:2], 2, v[3:4]
	v_mov_b32_e32 v5, s17
	v_add_co_u32_e32 v12, vcc, s16, v1
	v_addc_co_u32_e32 v13, vcc, v5, v2, vcc
	v_add_u32_e32 v5, 1, v3
	v_lshlrev_b64 v[5:6], 2, v[5:6]
	v_mov_b32_e32 v7, s17
	v_add_co_u32_e32 v14, vcc, s16, v5
	v_add_u32_e32 v3, 2, v3
	v_addc_co_u32_e32 v15, vcc, v7, v6, vcc
	v_lshlrev_b64 v[7:8], 2, v[3:4]
	v_mov_b32_e32 v3, s17
	v_add_co_u32_e32 v16, vcc, s16, v7
	v_addc_co_u32_e32 v17, vcc, v3, v8, vcc
	global_load_dword v3, v[12:13], off
	global_load_dword v9, v[14:15], off
	;; [unrolled: 1-line block ×3, first 2 shown]
	v_mbcnt_lo_u32_b32 v10, -1, 0
	v_mbcnt_hi_u32_b32 v10, -1, v10
	v_and_b32_e32 v12, 15, v10
	v_cmp_eq_u32_e32 vcc, 0, v12
	v_cmp_lt_u32_e64 s[0:1], 1, v12
	v_cmp_lt_u32_e64 s[2:3], 3, v12
	;; [unrolled: 1-line block ×3, first 2 shown]
	v_and_b32_e32 v12, 16, v10
	v_cmp_eq_u32_e64 s[6:7], 0, v12
	v_subrev_co_u32_e64 v12, s[12:13], 1, v10
	v_and_b32_e32 v13, 64, v10
	v_cmp_lt_i32_e64 s[14:15], v12, v13
	v_cmp_lt_u32_e64 s[8:9], 31, v10
	v_cndmask_b32_e64 v10, v12, v10, s[14:15]
	v_cmp_eq_u32_e64 s[14:15], 0, v0
	v_cmp_eq_u32_e64 s[10:11], 63, v0
	v_lshlrev_b32_e32 v10, 2, v10
	s_or_b64 s[12:13], s[14:15], s[12:13]
	s_movk_i32 s16, 0x64
.LBB109_1:                              ; =>This Inner Loop Header: Depth=1
	s_waitcnt vmcnt(0)
	v_add3_u32 v0, v9, v3, v11
	s_nop 1
	v_mov_b32_dpp v11, v0 row_shr:1 row_mask:0xf bank_mask:0xf
	v_cndmask_b32_e64 v11, v11, 0, vcc
	v_add_u32_e32 v0, v0, v11
	s_nop 1
	v_mov_b32_dpp v11, v0 row_shr:2 row_mask:0xf bank_mask:0xf
	v_cndmask_b32_e64 v11, 0, v11, s[0:1]
	v_add_u32_e32 v0, v0, v11
	s_nop 1
	v_mov_b32_dpp v11, v0 row_shr:4 row_mask:0xf bank_mask:0xf
	v_cndmask_b32_e64 v11, 0, v11, s[2:3]
	v_add_u32_e32 v0, v0, v11
	s_nop 1
	v_mov_b32_dpp v11, v0 row_shr:8 row_mask:0xf bank_mask:0xf
	v_cndmask_b32_e64 v11, 0, v11, s[4:5]
	v_add_u32_e32 v0, v0, v11
	s_nop 1
	v_mov_b32_dpp v11, v0 row_bcast:15 row_mask:0xf bank_mask:0xf
	v_cndmask_b32_e64 v11, v11, 0, s[6:7]
	v_add_u32_e32 v0, v0, v11
	s_nop 1
	v_mov_b32_dpp v11, v0 row_bcast:31 row_mask:0xf bank_mask:0xf
	v_cndmask_b32_e64 v11, 0, v11, s[8:9]
	v_add_u32_e32 v0, v0, v11
	s_and_saveexec_b64 s[14:15], s[10:11]
; %bb.2:                                ;   in Loop: Header=BB109_1 Depth=1
	ds_write_b32 v4, v0
; %bb.3:                                ;   in Loop: Header=BB109_1 Depth=1
	s_or_b64 exec, exec, s[14:15]
	v_add_u32_e32 v0, s20, v0
	ds_bpermute_b32 v0, v10, v0
	v_mov_b32_e32 v11, s20
	s_add_i32 s16, s16, -1
	s_cmp_lg_u32 s16, 0
	s_waitcnt lgkmcnt(0)
	v_cndmask_b32_e64 v12, v0, v11, s[12:13]
	v_add_u32_e32 v0, v12, v3
	v_add_u32_e32 v11, v0, v9
	; wave barrier
	s_cbranch_scc0 .LBB109_5
; %bb.4:                                ;   in Loop: Header=BB109_1 Depth=1
	v_mov_b32_e32 v3, v12
	v_mov_b32_e32 v9, v0
	s_branch .LBB109_1
.LBB109_5:
	v_mov_b32_e32 v3, s19
	v_add_co_u32_e32 v1, vcc, s18, v1
	v_addc_co_u32_e32 v2, vcc, v3, v2, vcc
	global_store_dword v[1:2], v12, off
	v_mov_b32_e32 v2, s19
	v_add_co_u32_e32 v1, vcc, s18, v5
	v_addc_co_u32_e32 v2, vcc, v2, v6, vcc
	global_store_dword v[1:2], v0, off
	;; [unrolled: 4-line block ×3, first 2 shown]
	s_endpgm
	.section	.rodata,"a",@progbits
	.p2align	6, 0x0
	.amdhsa_kernel _Z6kernelI14exclusive_scanILN6hipcub18BlockScanAlgorithmE1EEiLj64ELj3ELj100EEvPKT0_PS4_S4_
		.amdhsa_group_segment_fixed_size 4
		.amdhsa_private_segment_fixed_size 0
		.amdhsa_kernarg_size 280
		.amdhsa_user_sgpr_count 6
		.amdhsa_user_sgpr_private_segment_buffer 1
		.amdhsa_user_sgpr_dispatch_ptr 0
		.amdhsa_user_sgpr_queue_ptr 0
		.amdhsa_user_sgpr_kernarg_segment_ptr 1
		.amdhsa_user_sgpr_dispatch_id 0
		.amdhsa_user_sgpr_flat_scratch_init 0
		.amdhsa_user_sgpr_private_segment_size 0
		.amdhsa_uses_dynamic_stack 0
		.amdhsa_system_sgpr_private_segment_wavefront_offset 0
		.amdhsa_system_sgpr_workgroup_id_x 1
		.amdhsa_system_sgpr_workgroup_id_y 0
		.amdhsa_system_sgpr_workgroup_id_z 0
		.amdhsa_system_sgpr_workgroup_info 0
		.amdhsa_system_vgpr_workitem_id 0
		.amdhsa_next_free_vgpr 18
		.amdhsa_next_free_sgpr 21
		.amdhsa_reserve_vcc 1
		.amdhsa_reserve_flat_scratch 0
		.amdhsa_float_round_mode_32 0
		.amdhsa_float_round_mode_16_64 0
		.amdhsa_float_denorm_mode_32 3
		.amdhsa_float_denorm_mode_16_64 3
		.amdhsa_dx10_clamp 1
		.amdhsa_ieee_mode 1
		.amdhsa_fp16_overflow 0
		.amdhsa_exception_fp_ieee_invalid_op 0
		.amdhsa_exception_fp_denorm_src 0
		.amdhsa_exception_fp_ieee_div_zero 0
		.amdhsa_exception_fp_ieee_overflow 0
		.amdhsa_exception_fp_ieee_underflow 0
		.amdhsa_exception_fp_ieee_inexact 0
		.amdhsa_exception_int_div_zero 0
	.end_amdhsa_kernel
	.section	.text._Z6kernelI14exclusive_scanILN6hipcub18BlockScanAlgorithmE1EEiLj64ELj3ELj100EEvPKT0_PS4_S4_,"axG",@progbits,_Z6kernelI14exclusive_scanILN6hipcub18BlockScanAlgorithmE1EEiLj64ELj3ELj100EEvPKT0_PS4_S4_,comdat
.Lfunc_end109:
	.size	_Z6kernelI14exclusive_scanILN6hipcub18BlockScanAlgorithmE1EEiLj64ELj3ELj100EEvPKT0_PS4_S4_, .Lfunc_end109-_Z6kernelI14exclusive_scanILN6hipcub18BlockScanAlgorithmE1EEiLj64ELj3ELj100EEvPKT0_PS4_S4_
                                        ; -- End function
	.set _Z6kernelI14exclusive_scanILN6hipcub18BlockScanAlgorithmE1EEiLj64ELj3ELj100EEvPKT0_PS4_S4_.num_vgpr, 18
	.set _Z6kernelI14exclusive_scanILN6hipcub18BlockScanAlgorithmE1EEiLj64ELj3ELj100EEvPKT0_PS4_S4_.num_agpr, 0
	.set _Z6kernelI14exclusive_scanILN6hipcub18BlockScanAlgorithmE1EEiLj64ELj3ELj100EEvPKT0_PS4_S4_.numbered_sgpr, 21
	.set _Z6kernelI14exclusive_scanILN6hipcub18BlockScanAlgorithmE1EEiLj64ELj3ELj100EEvPKT0_PS4_S4_.num_named_barrier, 0
	.set _Z6kernelI14exclusive_scanILN6hipcub18BlockScanAlgorithmE1EEiLj64ELj3ELj100EEvPKT0_PS4_S4_.private_seg_size, 0
	.set _Z6kernelI14exclusive_scanILN6hipcub18BlockScanAlgorithmE1EEiLj64ELj3ELj100EEvPKT0_PS4_S4_.uses_vcc, 1
	.set _Z6kernelI14exclusive_scanILN6hipcub18BlockScanAlgorithmE1EEiLj64ELj3ELj100EEvPKT0_PS4_S4_.uses_flat_scratch, 0
	.set _Z6kernelI14exclusive_scanILN6hipcub18BlockScanAlgorithmE1EEiLj64ELj3ELj100EEvPKT0_PS4_S4_.has_dyn_sized_stack, 0
	.set _Z6kernelI14exclusive_scanILN6hipcub18BlockScanAlgorithmE1EEiLj64ELj3ELj100EEvPKT0_PS4_S4_.has_recursion, 0
	.set _Z6kernelI14exclusive_scanILN6hipcub18BlockScanAlgorithmE1EEiLj64ELj3ELj100EEvPKT0_PS4_S4_.has_indirect_call, 0
	.section	.AMDGPU.csdata,"",@progbits
; Kernel info:
; codeLenInByte = 572
; TotalNumSgprs: 25
; NumVgprs: 18
; ScratchSize: 0
; MemoryBound: 0
; FloatMode: 240
; IeeeMode: 1
; LDSByteSize: 4 bytes/workgroup (compile time only)
; SGPRBlocks: 3
; VGPRBlocks: 4
; NumSGPRsForWavesPerEU: 25
; NumVGPRsForWavesPerEU: 18
; Occupancy: 10
; WaveLimiterHint : 0
; COMPUTE_PGM_RSRC2:SCRATCH_EN: 0
; COMPUTE_PGM_RSRC2:USER_SGPR: 6
; COMPUTE_PGM_RSRC2:TRAP_HANDLER: 0
; COMPUTE_PGM_RSRC2:TGID_X_EN: 1
; COMPUTE_PGM_RSRC2:TGID_Y_EN: 0
; COMPUTE_PGM_RSRC2:TGID_Z_EN: 0
; COMPUTE_PGM_RSRC2:TIDIG_COMP_CNT: 0
	.section	.text._Z6kernelI14exclusive_scanILN6hipcub18BlockScanAlgorithmE1EEiLj64ELj4ELj100EEvPKT0_PS4_S4_,"axG",@progbits,_Z6kernelI14exclusive_scanILN6hipcub18BlockScanAlgorithmE1EEiLj64ELj4ELj100EEvPKT0_PS4_S4_,comdat
	.protected	_Z6kernelI14exclusive_scanILN6hipcub18BlockScanAlgorithmE1EEiLj64ELj4ELj100EEvPKT0_PS4_S4_ ; -- Begin function _Z6kernelI14exclusive_scanILN6hipcub18BlockScanAlgorithmE1EEiLj64ELj4ELj100EEvPKT0_PS4_S4_
	.globl	_Z6kernelI14exclusive_scanILN6hipcub18BlockScanAlgorithmE1EEiLj64ELj4ELj100EEvPKT0_PS4_S4_
	.p2align	8
	.type	_Z6kernelI14exclusive_scanILN6hipcub18BlockScanAlgorithmE1EEiLj64ELj4ELj100EEvPKT0_PS4_S4_,@function
_Z6kernelI14exclusive_scanILN6hipcub18BlockScanAlgorithmE1EEiLj64ELj4ELj100EEvPKT0_PS4_S4_: ; @_Z6kernelI14exclusive_scanILN6hipcub18BlockScanAlgorithmE1EEiLj64ELj4ELj100EEvPKT0_PS4_S4_
; %bb.0:
	s_load_dword s0, s[4:5], 0x24
	s_load_dwordx4 s[16:19], s[4:5], 0x0
	s_load_dword s20, s[4:5], 0x10
	v_mov_b32_e32 v10, 0
	v_mbcnt_lo_u32_b32 v5, -1, 0
	s_waitcnt lgkmcnt(0)
	s_and_b32 s0, s0, 0xffff
	s_mul_i32 s6, s6, s0
	v_add_lshl_u32 v9, s6, v0, 2
	v_lshlrev_b64 v[8:9], 2, v[9:10]
	v_mov_b32_e32 v2, s17
	v_add_co_u32_e32 v1, vcc, s16, v8
	v_addc_co_u32_e32 v2, vcc, v2, v9, vcc
	global_load_dwordx4 v[1:4], v[1:2], off
	v_mbcnt_hi_u32_b32 v5, -1, v5
	v_and_b32_e32 v6, 15, v5
	v_cmp_eq_u32_e32 vcc, 0, v6
	v_cmp_lt_u32_e64 s[0:1], 1, v6
	v_cmp_lt_u32_e64 s[2:3], 3, v6
	;; [unrolled: 1-line block ×3, first 2 shown]
	v_and_b32_e32 v6, 16, v5
	v_cmp_eq_u32_e64 s[6:7], 0, v6
	v_subrev_co_u32_e64 v6, s[12:13], 1, v5
	v_and_b32_e32 v7, 64, v5
	v_cmp_lt_i32_e64 s[14:15], v6, v7
	v_cmp_lt_u32_e64 s[8:9], 31, v5
	v_cndmask_b32_e64 v5, v6, v5, s[14:15]
	v_cmp_eq_u32_e64 s[14:15], 0, v0
	v_cmp_eq_u32_e64 s[10:11], 63, v0
	v_lshlrev_b32_e32 v11, 2, v5
	s_or_b64 s[12:13], s[14:15], s[12:13]
	s_movk_i32 s16, 0x64
.LBB110_1:                              ; =>This Inner Loop Header: Depth=1
	s_waitcnt vmcnt(0)
	v_add_u32_e32 v0, v2, v1
	v_add3_u32 v0, v0, v3, v4
	s_nop 1
	v_mov_b32_dpp v4, v0 row_shr:1 row_mask:0xf bank_mask:0xf
	v_cndmask_b32_e64 v4, v4, 0, vcc
	v_add_u32_e32 v0, v0, v4
	s_nop 1
	v_mov_b32_dpp v4, v0 row_shr:2 row_mask:0xf bank_mask:0xf
	v_cndmask_b32_e64 v4, 0, v4, s[0:1]
	v_add_u32_e32 v0, v0, v4
	s_nop 1
	v_mov_b32_dpp v4, v0 row_shr:4 row_mask:0xf bank_mask:0xf
	v_cndmask_b32_e64 v4, 0, v4, s[2:3]
	;; [unrolled: 4-line block ×3, first 2 shown]
	v_add_u32_e32 v0, v0, v4
	s_nop 1
	v_mov_b32_dpp v4, v0 row_bcast:15 row_mask:0xf bank_mask:0xf
	v_cndmask_b32_e64 v4, v4, 0, s[6:7]
	v_add_u32_e32 v0, v0, v4
	s_nop 1
	v_mov_b32_dpp v4, v0 row_bcast:31 row_mask:0xf bank_mask:0xf
	v_cndmask_b32_e64 v4, 0, v4, s[8:9]
	v_add_u32_e32 v0, v0, v4
	s_and_saveexec_b64 s[14:15], s[10:11]
; %bb.2:                                ;   in Loop: Header=BB110_1 Depth=1
	ds_write_b32 v10, v0
; %bb.3:                                ;   in Loop: Header=BB110_1 Depth=1
	s_or_b64 exec, exec, s[14:15]
	v_add_u32_e32 v0, s20, v0
	ds_bpermute_b32 v0, v11, v0
	v_mov_b32_e32 v4, s20
	s_add_i32 s16, s16, -1
	s_cmp_lg_u32 s16, 0
	s_waitcnt lgkmcnt(0)
	v_cndmask_b32_e64 v5, v0, v4, s[12:13]
	v_add_u32_e32 v6, v5, v1
	v_add_u32_e32 v7, v6, v2
	;; [unrolled: 1-line block ×3, first 2 shown]
	; wave barrier
	s_cbranch_scc0 .LBB110_5
; %bb.4:                                ;   in Loop: Header=BB110_1 Depth=1
	v_mov_b32_e32 v1, v5
	v_mov_b32_e32 v2, v6
	;; [unrolled: 1-line block ×3, first 2 shown]
	s_branch .LBB110_1
.LBB110_5:
	v_mov_b32_e32 v1, s19
	v_add_co_u32_e32 v0, vcc, s18, v8
	v_addc_co_u32_e32 v1, vcc, v1, v9, vcc
	v_mov_b32_e32 v8, v4
	global_store_dwordx4 v[0:1], v[5:8], off
	s_endpgm
	.section	.rodata,"a",@progbits
	.p2align	6, 0x0
	.amdhsa_kernel _Z6kernelI14exclusive_scanILN6hipcub18BlockScanAlgorithmE1EEiLj64ELj4ELj100EEvPKT0_PS4_S4_
		.amdhsa_group_segment_fixed_size 4
		.amdhsa_private_segment_fixed_size 0
		.amdhsa_kernarg_size 280
		.amdhsa_user_sgpr_count 6
		.amdhsa_user_sgpr_private_segment_buffer 1
		.amdhsa_user_sgpr_dispatch_ptr 0
		.amdhsa_user_sgpr_queue_ptr 0
		.amdhsa_user_sgpr_kernarg_segment_ptr 1
		.amdhsa_user_sgpr_dispatch_id 0
		.amdhsa_user_sgpr_flat_scratch_init 0
		.amdhsa_user_sgpr_private_segment_size 0
		.amdhsa_uses_dynamic_stack 0
		.amdhsa_system_sgpr_private_segment_wavefront_offset 0
		.amdhsa_system_sgpr_workgroup_id_x 1
		.amdhsa_system_sgpr_workgroup_id_y 0
		.amdhsa_system_sgpr_workgroup_id_z 0
		.amdhsa_system_sgpr_workgroup_info 0
		.amdhsa_system_vgpr_workitem_id 0
		.amdhsa_next_free_vgpr 12
		.amdhsa_next_free_sgpr 21
		.amdhsa_reserve_vcc 1
		.amdhsa_reserve_flat_scratch 0
		.amdhsa_float_round_mode_32 0
		.amdhsa_float_round_mode_16_64 0
		.amdhsa_float_denorm_mode_32 3
		.amdhsa_float_denorm_mode_16_64 3
		.amdhsa_dx10_clamp 1
		.amdhsa_ieee_mode 1
		.amdhsa_fp16_overflow 0
		.amdhsa_exception_fp_ieee_invalid_op 0
		.amdhsa_exception_fp_denorm_src 0
		.amdhsa_exception_fp_ieee_div_zero 0
		.amdhsa_exception_fp_ieee_overflow 0
		.amdhsa_exception_fp_ieee_underflow 0
		.amdhsa_exception_fp_ieee_inexact 0
		.amdhsa_exception_int_div_zero 0
	.end_amdhsa_kernel
	.section	.text._Z6kernelI14exclusive_scanILN6hipcub18BlockScanAlgorithmE1EEiLj64ELj4ELj100EEvPKT0_PS4_S4_,"axG",@progbits,_Z6kernelI14exclusive_scanILN6hipcub18BlockScanAlgorithmE1EEiLj64ELj4ELj100EEvPKT0_PS4_S4_,comdat
.Lfunc_end110:
	.size	_Z6kernelI14exclusive_scanILN6hipcub18BlockScanAlgorithmE1EEiLj64ELj4ELj100EEvPKT0_PS4_S4_, .Lfunc_end110-_Z6kernelI14exclusive_scanILN6hipcub18BlockScanAlgorithmE1EEiLj64ELj4ELj100EEvPKT0_PS4_S4_
                                        ; -- End function
	.set _Z6kernelI14exclusive_scanILN6hipcub18BlockScanAlgorithmE1EEiLj64ELj4ELj100EEvPKT0_PS4_S4_.num_vgpr, 12
	.set _Z6kernelI14exclusive_scanILN6hipcub18BlockScanAlgorithmE1EEiLj64ELj4ELj100EEvPKT0_PS4_S4_.num_agpr, 0
	.set _Z6kernelI14exclusive_scanILN6hipcub18BlockScanAlgorithmE1EEiLj64ELj4ELj100EEvPKT0_PS4_S4_.numbered_sgpr, 21
	.set _Z6kernelI14exclusive_scanILN6hipcub18BlockScanAlgorithmE1EEiLj64ELj4ELj100EEvPKT0_PS4_S4_.num_named_barrier, 0
	.set _Z6kernelI14exclusive_scanILN6hipcub18BlockScanAlgorithmE1EEiLj64ELj4ELj100EEvPKT0_PS4_S4_.private_seg_size, 0
	.set _Z6kernelI14exclusive_scanILN6hipcub18BlockScanAlgorithmE1EEiLj64ELj4ELj100EEvPKT0_PS4_S4_.uses_vcc, 1
	.set _Z6kernelI14exclusive_scanILN6hipcub18BlockScanAlgorithmE1EEiLj64ELj4ELj100EEvPKT0_PS4_S4_.uses_flat_scratch, 0
	.set _Z6kernelI14exclusive_scanILN6hipcub18BlockScanAlgorithmE1EEiLj64ELj4ELj100EEvPKT0_PS4_S4_.has_dyn_sized_stack, 0
	.set _Z6kernelI14exclusive_scanILN6hipcub18BlockScanAlgorithmE1EEiLj64ELj4ELj100EEvPKT0_PS4_S4_.has_recursion, 0
	.set _Z6kernelI14exclusive_scanILN6hipcub18BlockScanAlgorithmE1EEiLj64ELj4ELj100EEvPKT0_PS4_S4_.has_indirect_call, 0
	.section	.AMDGPU.csdata,"",@progbits
; Kernel info:
; codeLenInByte = 476
; TotalNumSgprs: 25
; NumVgprs: 12
; ScratchSize: 0
; MemoryBound: 0
; FloatMode: 240
; IeeeMode: 1
; LDSByteSize: 4 bytes/workgroup (compile time only)
; SGPRBlocks: 3
; VGPRBlocks: 2
; NumSGPRsForWavesPerEU: 25
; NumVGPRsForWavesPerEU: 12
; Occupancy: 10
; WaveLimiterHint : 0
; COMPUTE_PGM_RSRC2:SCRATCH_EN: 0
; COMPUTE_PGM_RSRC2:USER_SGPR: 6
; COMPUTE_PGM_RSRC2:TRAP_HANDLER: 0
; COMPUTE_PGM_RSRC2:TGID_X_EN: 1
; COMPUTE_PGM_RSRC2:TGID_Y_EN: 0
; COMPUTE_PGM_RSRC2:TGID_Z_EN: 0
; COMPUTE_PGM_RSRC2:TIDIG_COMP_CNT: 0
	.section	.text._Z6kernelI14exclusive_scanILN6hipcub18BlockScanAlgorithmE1EEiLj64ELj8ELj100EEvPKT0_PS4_S4_,"axG",@progbits,_Z6kernelI14exclusive_scanILN6hipcub18BlockScanAlgorithmE1EEiLj64ELj8ELj100EEvPKT0_PS4_S4_,comdat
	.protected	_Z6kernelI14exclusive_scanILN6hipcub18BlockScanAlgorithmE1EEiLj64ELj8ELj100EEvPKT0_PS4_S4_ ; -- Begin function _Z6kernelI14exclusive_scanILN6hipcub18BlockScanAlgorithmE1EEiLj64ELj8ELj100EEvPKT0_PS4_S4_
	.globl	_Z6kernelI14exclusive_scanILN6hipcub18BlockScanAlgorithmE1EEiLj64ELj8ELj100EEvPKT0_PS4_S4_
	.p2align	8
	.type	_Z6kernelI14exclusive_scanILN6hipcub18BlockScanAlgorithmE1EEiLj64ELj8ELj100EEvPKT0_PS4_S4_,@function
_Z6kernelI14exclusive_scanILN6hipcub18BlockScanAlgorithmE1EEiLj64ELj8ELj100EEvPKT0_PS4_S4_: ; @_Z6kernelI14exclusive_scanILN6hipcub18BlockScanAlgorithmE1EEiLj64ELj8ELj100EEvPKT0_PS4_S4_
; %bb.0:
	s_load_dword s0, s[4:5], 0x24
	s_load_dwordx4 s[16:19], s[4:5], 0x0
	s_load_dword s20, s[4:5], 0x10
	v_mov_b32_e32 v18, 0
	v_cmp_eq_u32_e64 s[10:11], 63, v0
	s_waitcnt lgkmcnt(0)
	s_and_b32 s0, s0, 0xffff
	s_mul_i32 s6, s6, s0
	v_add_lshl_u32 v17, s6, v0, 3
	v_lshlrev_b64 v[16:17], 2, v[17:18]
	v_mov_b32_e32 v1, s17
	v_add_co_u32_e32 v9, vcc, s16, v16
	v_addc_co_u32_e32 v10, vcc, v1, v17, vcc
	global_load_dwordx4 v[5:8], v[9:10], off
	global_load_dwordx4 v[1:4], v[9:10], off offset:16
	v_mbcnt_lo_u32_b32 v9, -1, 0
	v_mbcnt_hi_u32_b32 v9, -1, v9
	v_and_b32_e32 v10, 15, v9
	v_cmp_eq_u32_e32 vcc, 0, v10
	v_cmp_lt_u32_e64 s[0:1], 1, v10
	v_cmp_lt_u32_e64 s[2:3], 3, v10
	v_cmp_lt_u32_e64 s[4:5], 7, v10
	v_and_b32_e32 v10, 16, v9
	v_cmp_eq_u32_e64 s[6:7], 0, v10
	v_subrev_co_u32_e64 v10, s[12:13], 1, v9
	v_and_b32_e32 v11, 64, v9
	v_cmp_lt_i32_e64 s[14:15], v10, v11
	v_cmp_lt_u32_e64 s[8:9], 31, v9
	v_cndmask_b32_e64 v9, v10, v9, s[14:15]
	v_cmp_eq_u32_e64 s[14:15], 0, v0
	v_lshlrev_b32_e32 v19, 2, v9
	s_or_b64 s[12:13], s[14:15], s[12:13]
	s_movk_i32 s16, 0x64
.LBB111_1:                              ; =>This Inner Loop Header: Depth=1
	s_waitcnt vmcnt(1)
	v_add_u32_e32 v0, v6, v5
	v_add3_u32 v0, v0, v7, v8
	s_waitcnt vmcnt(0)
	v_add3_u32 v0, v0, v1, v2
	v_add3_u32 v0, v0, v3, v4
	s_nop 1
	v_mov_b32_dpp v4, v0 row_shr:1 row_mask:0xf bank_mask:0xf
	v_cndmask_b32_e64 v4, v4, 0, vcc
	v_add_u32_e32 v0, v0, v4
	s_nop 1
	v_mov_b32_dpp v4, v0 row_shr:2 row_mask:0xf bank_mask:0xf
	v_cndmask_b32_e64 v4, 0, v4, s[0:1]
	v_add_u32_e32 v0, v0, v4
	s_nop 1
	v_mov_b32_dpp v4, v0 row_shr:4 row_mask:0xf bank_mask:0xf
	v_cndmask_b32_e64 v4, 0, v4, s[2:3]
	;; [unrolled: 4-line block ×3, first 2 shown]
	v_add_u32_e32 v0, v0, v4
	s_nop 1
	v_mov_b32_dpp v4, v0 row_bcast:15 row_mask:0xf bank_mask:0xf
	v_cndmask_b32_e64 v4, v4, 0, s[6:7]
	v_add_u32_e32 v0, v0, v4
	s_nop 1
	v_mov_b32_dpp v4, v0 row_bcast:31 row_mask:0xf bank_mask:0xf
	v_cndmask_b32_e64 v4, 0, v4, s[8:9]
	v_add_u32_e32 v0, v0, v4
	s_and_saveexec_b64 s[14:15], s[10:11]
; %bb.2:                                ;   in Loop: Header=BB111_1 Depth=1
	ds_write_b32 v18, v0
; %bb.3:                                ;   in Loop: Header=BB111_1 Depth=1
	s_or_b64 exec, exec, s[14:15]
	v_add_u32_e32 v0, s20, v0
	ds_bpermute_b32 v0, v19, v0
	v_mov_b32_e32 v4, s20
	s_add_i32 s16, s16, -1
	s_cmp_lg_u32 s16, 0
	s_waitcnt lgkmcnt(0)
	v_cndmask_b32_e64 v12, v0, v4, s[12:13]
	v_add_u32_e32 v13, v12, v5
	v_add_u32_e32 v14, v13, v6
	;; [unrolled: 1-line block ×7, first 2 shown]
	; wave barrier
	s_cbranch_scc0 .LBB111_5
; %bb.4:                                ;   in Loop: Header=BB111_1 Depth=1
	v_mov_b32_e32 v5, v12
	v_mov_b32_e32 v6, v13
	v_mov_b32_e32 v7, v14
	v_mov_b32_e32 v8, v15
	v_mov_b32_e32 v1, v9
	v_mov_b32_e32 v2, v10
	v_mov_b32_e32 v3, v11
	s_branch .LBB111_1
.LBB111_5:
	v_mov_b32_e32 v1, s19
	v_add_co_u32_e32 v0, vcc, s18, v16
	v_addc_co_u32_e32 v1, vcc, v1, v17, vcc
	global_store_dwordx4 v[0:1], v[12:15], off
	s_nop 0
	v_mov_b32_e32 v12, v4
	global_store_dwordx4 v[0:1], v[9:12], off offset:16
	s_endpgm
	.section	.rodata,"a",@progbits
	.p2align	6, 0x0
	.amdhsa_kernel _Z6kernelI14exclusive_scanILN6hipcub18BlockScanAlgorithmE1EEiLj64ELj8ELj100EEvPKT0_PS4_S4_
		.amdhsa_group_segment_fixed_size 4
		.amdhsa_private_segment_fixed_size 0
		.amdhsa_kernarg_size 280
		.amdhsa_user_sgpr_count 6
		.amdhsa_user_sgpr_private_segment_buffer 1
		.amdhsa_user_sgpr_dispatch_ptr 0
		.amdhsa_user_sgpr_queue_ptr 0
		.amdhsa_user_sgpr_kernarg_segment_ptr 1
		.amdhsa_user_sgpr_dispatch_id 0
		.amdhsa_user_sgpr_flat_scratch_init 0
		.amdhsa_user_sgpr_private_segment_size 0
		.amdhsa_uses_dynamic_stack 0
		.amdhsa_system_sgpr_private_segment_wavefront_offset 0
		.amdhsa_system_sgpr_workgroup_id_x 1
		.amdhsa_system_sgpr_workgroup_id_y 0
		.amdhsa_system_sgpr_workgroup_id_z 0
		.amdhsa_system_sgpr_workgroup_info 0
		.amdhsa_system_vgpr_workitem_id 0
		.amdhsa_next_free_vgpr 20
		.amdhsa_next_free_sgpr 21
		.amdhsa_reserve_vcc 1
		.amdhsa_reserve_flat_scratch 0
		.amdhsa_float_round_mode_32 0
		.amdhsa_float_round_mode_16_64 0
		.amdhsa_float_denorm_mode_32 3
		.amdhsa_float_denorm_mode_16_64 3
		.amdhsa_dx10_clamp 1
		.amdhsa_ieee_mode 1
		.amdhsa_fp16_overflow 0
		.amdhsa_exception_fp_ieee_invalid_op 0
		.amdhsa_exception_fp_denorm_src 0
		.amdhsa_exception_fp_ieee_div_zero 0
		.amdhsa_exception_fp_ieee_overflow 0
		.amdhsa_exception_fp_ieee_underflow 0
		.amdhsa_exception_fp_ieee_inexact 0
		.amdhsa_exception_int_div_zero 0
	.end_amdhsa_kernel
	.section	.text._Z6kernelI14exclusive_scanILN6hipcub18BlockScanAlgorithmE1EEiLj64ELj8ELj100EEvPKT0_PS4_S4_,"axG",@progbits,_Z6kernelI14exclusive_scanILN6hipcub18BlockScanAlgorithmE1EEiLj64ELj8ELj100EEvPKT0_PS4_S4_,comdat
.Lfunc_end111:
	.size	_Z6kernelI14exclusive_scanILN6hipcub18BlockScanAlgorithmE1EEiLj64ELj8ELj100EEvPKT0_PS4_S4_, .Lfunc_end111-_Z6kernelI14exclusive_scanILN6hipcub18BlockScanAlgorithmE1EEiLj64ELj8ELj100EEvPKT0_PS4_S4_
                                        ; -- End function
	.set _Z6kernelI14exclusive_scanILN6hipcub18BlockScanAlgorithmE1EEiLj64ELj8ELj100EEvPKT0_PS4_S4_.num_vgpr, 20
	.set _Z6kernelI14exclusive_scanILN6hipcub18BlockScanAlgorithmE1EEiLj64ELj8ELj100EEvPKT0_PS4_S4_.num_agpr, 0
	.set _Z6kernelI14exclusive_scanILN6hipcub18BlockScanAlgorithmE1EEiLj64ELj8ELj100EEvPKT0_PS4_S4_.numbered_sgpr, 21
	.set _Z6kernelI14exclusive_scanILN6hipcub18BlockScanAlgorithmE1EEiLj64ELj8ELj100EEvPKT0_PS4_S4_.num_named_barrier, 0
	.set _Z6kernelI14exclusive_scanILN6hipcub18BlockScanAlgorithmE1EEiLj64ELj8ELj100EEvPKT0_PS4_S4_.private_seg_size, 0
	.set _Z6kernelI14exclusive_scanILN6hipcub18BlockScanAlgorithmE1EEiLj64ELj8ELj100EEvPKT0_PS4_S4_.uses_vcc, 1
	.set _Z6kernelI14exclusive_scanILN6hipcub18BlockScanAlgorithmE1EEiLj64ELj8ELj100EEvPKT0_PS4_S4_.uses_flat_scratch, 0
	.set _Z6kernelI14exclusive_scanILN6hipcub18BlockScanAlgorithmE1EEiLj64ELj8ELj100EEvPKT0_PS4_S4_.has_dyn_sized_stack, 0
	.set _Z6kernelI14exclusive_scanILN6hipcub18BlockScanAlgorithmE1EEiLj64ELj8ELj100EEvPKT0_PS4_S4_.has_recursion, 0
	.set _Z6kernelI14exclusive_scanILN6hipcub18BlockScanAlgorithmE1EEiLj64ELj8ELj100EEvPKT0_PS4_S4_.has_indirect_call, 0
	.section	.AMDGPU.csdata,"",@progbits
; Kernel info:
; codeLenInByte = 548
; TotalNumSgprs: 25
; NumVgprs: 20
; ScratchSize: 0
; MemoryBound: 0
; FloatMode: 240
; IeeeMode: 1
; LDSByteSize: 4 bytes/workgroup (compile time only)
; SGPRBlocks: 3
; VGPRBlocks: 4
; NumSGPRsForWavesPerEU: 25
; NumVGPRsForWavesPerEU: 20
; Occupancy: 10
; WaveLimiterHint : 0
; COMPUTE_PGM_RSRC2:SCRATCH_EN: 0
; COMPUTE_PGM_RSRC2:USER_SGPR: 6
; COMPUTE_PGM_RSRC2:TRAP_HANDLER: 0
; COMPUTE_PGM_RSRC2:TGID_X_EN: 1
; COMPUTE_PGM_RSRC2:TGID_Y_EN: 0
; COMPUTE_PGM_RSRC2:TGID_Z_EN: 0
; COMPUTE_PGM_RSRC2:TIDIG_COMP_CNT: 0
	.section	.text._Z6kernelI14exclusive_scanILN6hipcub18BlockScanAlgorithmE1EEiLj64ELj11ELj100EEvPKT0_PS4_S4_,"axG",@progbits,_Z6kernelI14exclusive_scanILN6hipcub18BlockScanAlgorithmE1EEiLj64ELj11ELj100EEvPKT0_PS4_S4_,comdat
	.protected	_Z6kernelI14exclusive_scanILN6hipcub18BlockScanAlgorithmE1EEiLj64ELj11ELj100EEvPKT0_PS4_S4_ ; -- Begin function _Z6kernelI14exclusive_scanILN6hipcub18BlockScanAlgorithmE1EEiLj64ELj11ELj100EEvPKT0_PS4_S4_
	.globl	_Z6kernelI14exclusive_scanILN6hipcub18BlockScanAlgorithmE1EEiLj64ELj11ELj100EEvPKT0_PS4_S4_
	.p2align	8
	.type	_Z6kernelI14exclusive_scanILN6hipcub18BlockScanAlgorithmE1EEiLj64ELj11ELj100EEvPKT0_PS4_S4_,@function
_Z6kernelI14exclusive_scanILN6hipcub18BlockScanAlgorithmE1EEiLj64ELj11ELj100EEvPKT0_PS4_S4_: ; @_Z6kernelI14exclusive_scanILN6hipcub18BlockScanAlgorithmE1EEiLj64ELj11ELj100EEvPKT0_PS4_S4_
; %bb.0:
	s_load_dword s0, s[4:5], 0x24
	s_load_dwordx4 s[16:19], s[4:5], 0x0
	s_load_dword s20, s[4:5], 0x10
	v_mov_b32_e32 v18, 0
	v_cmp_eq_u32_e64 s[14:15], 0, v0
	s_waitcnt lgkmcnt(0)
	s_and_b32 s0, s0, 0xffff
	s_mul_i32 s6, s6, s0
	v_add_u32_e32 v1, s6, v0
	v_mul_lo_u32 v17, v1, 11
	v_mov_b32_e32 v2, s17
	v_mov_b32_e32 v25, s17
	v_lshlrev_b64 v[15:16], 2, v[17:18]
	v_add_u32_e32 v1, 1, v17
	v_add_co_u32_e32 v19, vcc, s16, v15
	v_addc_co_u32_e32 v20, vcc, v2, v16, vcc
	v_mov_b32_e32 v2, v18
	v_lshlrev_b64 v[13:14], 2, v[1:2]
	v_mov_b32_e32 v1, s17
	v_add_co_u32_e32 v21, vcc, s16, v13
	v_addc_co_u32_e32 v22, vcc, v1, v14, vcc
	v_add_u32_e32 v1, 2, v17
	v_lshlrev_b64 v[11:12], 2, v[1:2]
	v_mov_b32_e32 v1, s17
	v_add_co_u32_e32 v23, vcc, s16, v11
	v_addc_co_u32_e32 v24, vcc, v1, v12, vcc
	v_add_u32_e32 v1, 3, v17
	;; [unrolled: 5-line block ×6, first 2 shown]
	v_lshlrev_b64 v[1:2], 2, v[1:2]
	v_add_co_u32_e32 v41, vcc, s16, v1
	v_addc_co_u32_e32 v42, vcc, v25, v2, vcc
	global_load_dword v32, v[19:20], off
	global_load_dword v30, v[21:22], off
	;; [unrolled: 1-line block ×5, first 2 shown]
                                        ; kill: killed $vgpr21 killed $vgpr22
                                        ; kill: killed $vgpr23 killed $vgpr24
                                        ; kill: killed $vgpr35 killed $vgpr36
                                        ; kill: killed $vgpr19 killed $vgpr20
                                        ; kill: killed $vgpr33 killed $vgpr34
	global_load_dword v31, v[37:38], off
	global_load_dword v29, v[39:40], off
	;; [unrolled: 1-line block ×3, first 2 shown]
	v_add_u32_e32 v19, 8, v17
	v_mov_b32_e32 v20, v18
	v_lshlrev_b64 v[23:24], 2, v[19:20]
	v_mov_b32_e32 v19, s17
	v_add_co_u32_e32 v35, vcc, s16, v23
	v_addc_co_u32_e32 v36, vcc, v19, v24, vcc
	v_add_u32_e32 v19, 9, v17
	v_lshlrev_b64 v[21:22], 2, v[19:20]
	v_mov_b32_e32 v19, s17
	v_add_co_u32_e32 v37, vcc, s16, v21
	v_add_u32_e32 v17, 10, v17
	v_addc_co_u32_e32 v38, vcc, v19, v22, vcc
	v_lshlrev_b64 v[19:20], 2, v[17:18]
	v_mov_b32_e32 v33, s17
	v_add_co_u32_e32 v39, vcc, s16, v19
	v_addc_co_u32_e32 v40, vcc, v33, v20, vcc
	global_load_dword v34, v[35:36], off
	global_load_dword v33, v[37:38], off
                                        ; kill: killed $vgpr37 killed $vgpr38
                                        ; kill: killed $vgpr35 killed $vgpr36
	global_load_dword v17, v[39:40], off
	v_mbcnt_lo_u32_b32 v35, -1, 0
	v_mbcnt_hi_u32_b32 v35, -1, v35
	v_and_b32_e32 v36, 15, v35
	v_cmp_eq_u32_e32 vcc, 0, v36
	v_cmp_lt_u32_e64 s[0:1], 1, v36
	v_cmp_lt_u32_e64 s[2:3], 3, v36
	v_cmp_lt_u32_e64 s[4:5], 7, v36
	v_and_b32_e32 v36, 16, v35
	v_cmp_eq_u32_e64 s[6:7], 0, v36
	v_subrev_co_u32_e64 v36, s[12:13], 1, v35
	v_and_b32_e32 v37, 64, v35
	v_cmp_lt_i32_e64 s[10:11], v36, v37
	v_cmp_lt_u32_e64 s[8:9], 31, v35
	v_cndmask_b32_e64 v35, v36, v35, s[10:11]
	v_cmp_eq_u32_e64 s[10:11], 63, v0
	v_lshlrev_b32_e32 v0, 2, v35
	s_or_b64 s[12:13], s[14:15], s[12:13]
	s_movk_i32 s16, 0x64
.LBB112_1:                              ; =>This Inner Loop Header: Depth=1
	s_waitcnt vmcnt(0)
	v_add3_u32 v17, v33, v17, v34
	v_add3_u32 v17, v17, v27, v29
	;; [unrolled: 1-line block ×5, first 2 shown]
	s_nop 1
	v_mov_b32_dpp v35, v17 row_shr:1 row_mask:0xf bank_mask:0xf
	v_cndmask_b32_e64 v35, v35, 0, vcc
	v_add_u32_e32 v17, v17, v35
	s_nop 1
	v_mov_b32_dpp v35, v17 row_shr:2 row_mask:0xf bank_mask:0xf
	v_cndmask_b32_e64 v35, 0, v35, s[0:1]
	v_add_u32_e32 v17, v17, v35
	s_nop 1
	v_mov_b32_dpp v35, v17 row_shr:4 row_mask:0xf bank_mask:0xf
	v_cndmask_b32_e64 v35, 0, v35, s[2:3]
	;; [unrolled: 4-line block ×3, first 2 shown]
	v_add_u32_e32 v17, v17, v35
	s_nop 1
	v_mov_b32_dpp v35, v17 row_bcast:15 row_mask:0xf bank_mask:0xf
	v_cndmask_b32_e64 v35, v35, 0, s[6:7]
	v_add_u32_e32 v17, v17, v35
	s_nop 1
	v_mov_b32_dpp v35, v17 row_bcast:31 row_mask:0xf bank_mask:0xf
	v_cndmask_b32_e64 v35, 0, v35, s[8:9]
	v_add_u32_e32 v17, v17, v35
	s_and_saveexec_b64 s[14:15], s[10:11]
; %bb.2:                                ;   in Loop: Header=BB112_1 Depth=1
	ds_write_b32 v18, v17
; %bb.3:                                ;   in Loop: Header=BB112_1 Depth=1
	s_or_b64 exec, exec, s[14:15]
	v_add_u32_e32 v17, s20, v17
	ds_bpermute_b32 v17, v0, v17
	v_mov_b32_e32 v35, s20
	s_add_i32 s16, s16, -1
	s_cmp_lg_u32 s16, 0
	s_waitcnt lgkmcnt(0)
	v_cndmask_b32_e64 v39, v17, v35, s[12:13]
	v_add_u32_e32 v38, v39, v32
	v_add_u32_e32 v37, v38, v30
	;; [unrolled: 1-line block ×10, first 2 shown]
	; wave barrier
	s_cbranch_scc0 .LBB112_5
; %bb.4:                                ;   in Loop: Header=BB112_1 Depth=1
	v_mov_b32_e32 v33, v25
	v_mov_b32_e32 v34, v26
	;; [unrolled: 1-line block ×10, first 2 shown]
	s_branch .LBB112_1
.LBB112_5:
	v_mov_b32_e32 v0, s19
	v_add_co_u32_e32 v15, vcc, s18, v15
	v_addc_co_u32_e32 v16, vcc, v0, v16, vcc
	v_add_co_u32_e32 v13, vcc, s18, v13
	v_addc_co_u32_e32 v14, vcc, v0, v14, vcc
	;; [unrolled: 2-line block ×7, first 2 shown]
	global_store_dword v[3:4], v30, off
	v_mov_b32_e32 v3, s19
	v_add_co_u32_e32 v0, vcc, s18, v1
	v_addc_co_u32_e32 v1, vcc, v3, v2, vcc
	global_store_dword v[0:1], v28, off
	v_mov_b32_e32 v1, s19
	v_add_co_u32_e32 v0, vcc, s18, v23
	v_addc_co_u32_e32 v1, vcc, v1, v24, vcc
	;; [unrolled: 4-line block ×4, first 2 shown]
	global_store_dword v[15:16], v39, off
	global_store_dword v[13:14], v38, off
	;; [unrolled: 1-line block ×7, first 2 shown]
	s_endpgm
	.section	.rodata,"a",@progbits
	.p2align	6, 0x0
	.amdhsa_kernel _Z6kernelI14exclusive_scanILN6hipcub18BlockScanAlgorithmE1EEiLj64ELj11ELj100EEvPKT0_PS4_S4_
		.amdhsa_group_segment_fixed_size 4
		.amdhsa_private_segment_fixed_size 0
		.amdhsa_kernarg_size 280
		.amdhsa_user_sgpr_count 6
		.amdhsa_user_sgpr_private_segment_buffer 1
		.amdhsa_user_sgpr_dispatch_ptr 0
		.amdhsa_user_sgpr_queue_ptr 0
		.amdhsa_user_sgpr_kernarg_segment_ptr 1
		.amdhsa_user_sgpr_dispatch_id 0
		.amdhsa_user_sgpr_flat_scratch_init 0
		.amdhsa_user_sgpr_private_segment_size 0
		.amdhsa_uses_dynamic_stack 0
		.amdhsa_system_sgpr_private_segment_wavefront_offset 0
		.amdhsa_system_sgpr_workgroup_id_x 1
		.amdhsa_system_sgpr_workgroup_id_y 0
		.amdhsa_system_sgpr_workgroup_id_z 0
		.amdhsa_system_sgpr_workgroup_info 0
		.amdhsa_system_vgpr_workitem_id 0
		.amdhsa_next_free_vgpr 43
		.amdhsa_next_free_sgpr 21
		.amdhsa_reserve_vcc 1
		.amdhsa_reserve_flat_scratch 0
		.amdhsa_float_round_mode_32 0
		.amdhsa_float_round_mode_16_64 0
		.amdhsa_float_denorm_mode_32 3
		.amdhsa_float_denorm_mode_16_64 3
		.amdhsa_dx10_clamp 1
		.amdhsa_ieee_mode 1
		.amdhsa_fp16_overflow 0
		.amdhsa_exception_fp_ieee_invalid_op 0
		.amdhsa_exception_fp_denorm_src 0
		.amdhsa_exception_fp_ieee_div_zero 0
		.amdhsa_exception_fp_ieee_overflow 0
		.amdhsa_exception_fp_ieee_underflow 0
		.amdhsa_exception_fp_ieee_inexact 0
		.amdhsa_exception_int_div_zero 0
	.end_amdhsa_kernel
	.section	.text._Z6kernelI14exclusive_scanILN6hipcub18BlockScanAlgorithmE1EEiLj64ELj11ELj100EEvPKT0_PS4_S4_,"axG",@progbits,_Z6kernelI14exclusive_scanILN6hipcub18BlockScanAlgorithmE1EEiLj64ELj11ELj100EEvPKT0_PS4_S4_,comdat
.Lfunc_end112:
	.size	_Z6kernelI14exclusive_scanILN6hipcub18BlockScanAlgorithmE1EEiLj64ELj11ELj100EEvPKT0_PS4_S4_, .Lfunc_end112-_Z6kernelI14exclusive_scanILN6hipcub18BlockScanAlgorithmE1EEiLj64ELj11ELj100EEvPKT0_PS4_S4_
                                        ; -- End function
	.set _Z6kernelI14exclusive_scanILN6hipcub18BlockScanAlgorithmE1EEiLj64ELj11ELj100EEvPKT0_PS4_S4_.num_vgpr, 43
	.set _Z6kernelI14exclusive_scanILN6hipcub18BlockScanAlgorithmE1EEiLj64ELj11ELj100EEvPKT0_PS4_S4_.num_agpr, 0
	.set _Z6kernelI14exclusive_scanILN6hipcub18BlockScanAlgorithmE1EEiLj64ELj11ELj100EEvPKT0_PS4_S4_.numbered_sgpr, 21
	.set _Z6kernelI14exclusive_scanILN6hipcub18BlockScanAlgorithmE1EEiLj64ELj11ELj100EEvPKT0_PS4_S4_.num_named_barrier, 0
	.set _Z6kernelI14exclusive_scanILN6hipcub18BlockScanAlgorithmE1EEiLj64ELj11ELj100EEvPKT0_PS4_S4_.private_seg_size, 0
	.set _Z6kernelI14exclusive_scanILN6hipcub18BlockScanAlgorithmE1EEiLj64ELj11ELj100EEvPKT0_PS4_S4_.uses_vcc, 1
	.set _Z6kernelI14exclusive_scanILN6hipcub18BlockScanAlgorithmE1EEiLj64ELj11ELj100EEvPKT0_PS4_S4_.uses_flat_scratch, 0
	.set _Z6kernelI14exclusive_scanILN6hipcub18BlockScanAlgorithmE1EEiLj64ELj11ELj100EEvPKT0_PS4_S4_.has_dyn_sized_stack, 0
	.set _Z6kernelI14exclusive_scanILN6hipcub18BlockScanAlgorithmE1EEiLj64ELj11ELj100EEvPKT0_PS4_S4_.has_recursion, 0
	.set _Z6kernelI14exclusive_scanILN6hipcub18BlockScanAlgorithmE1EEiLj64ELj11ELj100EEvPKT0_PS4_S4_.has_indirect_call, 0
	.section	.AMDGPU.csdata,"",@progbits
; Kernel info:
; codeLenInByte = 1064
; TotalNumSgprs: 25
; NumVgprs: 43
; ScratchSize: 0
; MemoryBound: 0
; FloatMode: 240
; IeeeMode: 1
; LDSByteSize: 4 bytes/workgroup (compile time only)
; SGPRBlocks: 3
; VGPRBlocks: 10
; NumSGPRsForWavesPerEU: 25
; NumVGPRsForWavesPerEU: 43
; Occupancy: 5
; WaveLimiterHint : 0
; COMPUTE_PGM_RSRC2:SCRATCH_EN: 0
; COMPUTE_PGM_RSRC2:USER_SGPR: 6
; COMPUTE_PGM_RSRC2:TRAP_HANDLER: 0
; COMPUTE_PGM_RSRC2:TGID_X_EN: 1
; COMPUTE_PGM_RSRC2:TGID_Y_EN: 0
; COMPUTE_PGM_RSRC2:TGID_Z_EN: 0
; COMPUTE_PGM_RSRC2:TIDIG_COMP_CNT: 0
	.section	.text._Z6kernelI14exclusive_scanILN6hipcub18BlockScanAlgorithmE1EEiLj64ELj16ELj100EEvPKT0_PS4_S4_,"axG",@progbits,_Z6kernelI14exclusive_scanILN6hipcub18BlockScanAlgorithmE1EEiLj64ELj16ELj100EEvPKT0_PS4_S4_,comdat
	.protected	_Z6kernelI14exclusive_scanILN6hipcub18BlockScanAlgorithmE1EEiLj64ELj16ELj100EEvPKT0_PS4_S4_ ; -- Begin function _Z6kernelI14exclusive_scanILN6hipcub18BlockScanAlgorithmE1EEiLj64ELj16ELj100EEvPKT0_PS4_S4_
	.globl	_Z6kernelI14exclusive_scanILN6hipcub18BlockScanAlgorithmE1EEiLj64ELj16ELj100EEvPKT0_PS4_S4_
	.p2align	8
	.type	_Z6kernelI14exclusive_scanILN6hipcub18BlockScanAlgorithmE1EEiLj64ELj16ELj100EEvPKT0_PS4_S4_,@function
_Z6kernelI14exclusive_scanILN6hipcub18BlockScanAlgorithmE1EEiLj64ELj16ELj100EEvPKT0_PS4_S4_: ; @_Z6kernelI14exclusive_scanILN6hipcub18BlockScanAlgorithmE1EEiLj64ELj16ELj100EEvPKT0_PS4_S4_
; %bb.0:
	s_load_dword s0, s[4:5], 0x24
	s_load_dwordx4 s[16:19], s[4:5], 0x0
	s_load_dword s20, s[4:5], 0x10
	v_mov_b32_e32 v22, 0
	v_cmp_eq_u32_e64 s[10:11], 63, v0
	s_waitcnt lgkmcnt(0)
	s_and_b32 s0, s0, 0xffff
	s_mul_i32 s6, s6, s0
	v_add_lshl_u32 v21, s6, v0, 4
	v_lshlrev_b64 v[20:21], 2, v[21:22]
	v_mov_b32_e32 v1, s17
	v_add_co_u32_e32 v16, vcc, s16, v20
	v_addc_co_u32_e32 v17, vcc, v1, v21, vcc
	v_mbcnt_lo_u32_b32 v1, -1, 0
	v_mbcnt_hi_u32_b32 v1, -1, v1
	v_and_b32_e32 v2, 15, v1
	v_cmp_eq_u32_e32 vcc, 0, v2
	v_cmp_lt_u32_e64 s[0:1], 1, v2
	v_cmp_lt_u32_e64 s[2:3], 3, v2
	;; [unrolled: 1-line block ×3, first 2 shown]
	v_and_b32_e32 v2, 16, v1
	v_cmp_eq_u32_e64 s[6:7], 0, v2
	v_subrev_co_u32_e64 v2, s[12:13], 1, v1
	v_and_b32_e32 v3, 64, v1
	v_cmp_lt_i32_e64 s[14:15], v2, v3
	v_cmp_lt_u32_e64 s[8:9], 31, v1
	v_cndmask_b32_e64 v1, v2, v1, s[14:15]
	global_load_dwordx4 v[8:11], v[16:17], off
	global_load_dwordx4 v[4:7], v[16:17], off offset:16
	v_lshlrev_b32_e32 v23, 2, v1
	v_cmp_eq_u32_e64 s[14:15], 0, v0
	global_load_dwordx4 v[12:15], v[16:17], off offset:32
	global_load_dwordx4 v[0:3], v[16:17], off offset:48
	s_or_b64 s[12:13], s[14:15], s[12:13]
	s_movk_i32 s16, 0x64
.LBB113_1:                              ; =>This Inner Loop Header: Depth=1
	s_waitcnt vmcnt(0)
	v_add_u32_e32 v3, v2, v3
	v_add3_u32 v3, v3, v1, v0
	v_add3_u32 v3, v3, v15, v14
	;; [unrolled: 1-line block ×7, first 2 shown]
	s_nop 1
	v_mov_b32_dpp v16, v3 row_shr:1 row_mask:0xf bank_mask:0xf
	v_cndmask_b32_e64 v16, v16, 0, vcc
	v_add_u32_e32 v3, v3, v16
	s_nop 1
	v_mov_b32_dpp v16, v3 row_shr:2 row_mask:0xf bank_mask:0xf
	v_cndmask_b32_e64 v16, 0, v16, s[0:1]
	v_add_u32_e32 v3, v3, v16
	s_nop 1
	v_mov_b32_dpp v16, v3 row_shr:4 row_mask:0xf bank_mask:0xf
	v_cndmask_b32_e64 v16, 0, v16, s[2:3]
	;; [unrolled: 4-line block ×3, first 2 shown]
	v_add_u32_e32 v3, v3, v16
	s_nop 1
	v_mov_b32_dpp v16, v3 row_bcast:15 row_mask:0xf bank_mask:0xf
	v_cndmask_b32_e64 v16, v16, 0, s[6:7]
	v_add_u32_e32 v3, v3, v16
	s_nop 1
	v_mov_b32_dpp v16, v3 row_bcast:31 row_mask:0xf bank_mask:0xf
	v_cndmask_b32_e64 v16, 0, v16, s[8:9]
	v_add_u32_e32 v3, v3, v16
	s_and_saveexec_b64 s[14:15], s[10:11]
; %bb.2:                                ;   in Loop: Header=BB113_1 Depth=1
	ds_write_b32 v22, v3
; %bb.3:                                ;   in Loop: Header=BB113_1 Depth=1
	s_or_b64 exec, exec, s[14:15]
	v_add_u32_e32 v3, s20, v3
	ds_bpermute_b32 v3, v23, v3
	v_mov_b32_e32 v16, s20
	s_add_i32 s16, s16, -1
	s_cmp_lg_u32 s16, 0
	s_waitcnt lgkmcnt(0)
	v_cndmask_b32_e64 v16, v3, v16, s[12:13]
	v_add_u32_e32 v17, v16, v8
	v_add_u32_e32 v18, v17, v9
	;; [unrolled: 1-line block ×15, first 2 shown]
	; wave barrier
	s_cbranch_scc0 .LBB113_5
; %bb.4:                                ;   in Loop: Header=BB113_1 Depth=1
	v_mov_b32_e32 v2, v14
	v_mov_b32_e32 v1, v13
	;; [unrolled: 1-line block ×15, first 2 shown]
	s_branch .LBB113_1
.LBB113_5:
	v_mov_b32_e32 v1, s19
	v_add_co_u32_e32 v0, vcc, s18, v20
	v_addc_co_u32_e32 v1, vcc, v1, v21, vcc
	v_mov_b32_e32 v15, v3
	global_store_dwordx4 v[0:1], v[16:19], off
	global_store_dwordx4 v[0:1], v[8:11], off offset:16
	global_store_dwordx4 v[0:1], v[4:7], off offset:32
	global_store_dwordx4 v[0:1], v[12:15], off offset:48
	s_endpgm
	.section	.rodata,"a",@progbits
	.p2align	6, 0x0
	.amdhsa_kernel _Z6kernelI14exclusive_scanILN6hipcub18BlockScanAlgorithmE1EEiLj64ELj16ELj100EEvPKT0_PS4_S4_
		.amdhsa_group_segment_fixed_size 4
		.amdhsa_private_segment_fixed_size 0
		.amdhsa_kernarg_size 280
		.amdhsa_user_sgpr_count 6
		.amdhsa_user_sgpr_private_segment_buffer 1
		.amdhsa_user_sgpr_dispatch_ptr 0
		.amdhsa_user_sgpr_queue_ptr 0
		.amdhsa_user_sgpr_kernarg_segment_ptr 1
		.amdhsa_user_sgpr_dispatch_id 0
		.amdhsa_user_sgpr_flat_scratch_init 0
		.amdhsa_user_sgpr_private_segment_size 0
		.amdhsa_uses_dynamic_stack 0
		.amdhsa_system_sgpr_private_segment_wavefront_offset 0
		.amdhsa_system_sgpr_workgroup_id_x 1
		.amdhsa_system_sgpr_workgroup_id_y 0
		.amdhsa_system_sgpr_workgroup_id_z 0
		.amdhsa_system_sgpr_workgroup_info 0
		.amdhsa_system_vgpr_workitem_id 0
		.amdhsa_next_free_vgpr 24
		.amdhsa_next_free_sgpr 21
		.amdhsa_reserve_vcc 1
		.amdhsa_reserve_flat_scratch 0
		.amdhsa_float_round_mode_32 0
		.amdhsa_float_round_mode_16_64 0
		.amdhsa_float_denorm_mode_32 3
		.amdhsa_float_denorm_mode_16_64 3
		.amdhsa_dx10_clamp 1
		.amdhsa_ieee_mode 1
		.amdhsa_fp16_overflow 0
		.amdhsa_exception_fp_ieee_invalid_op 0
		.amdhsa_exception_fp_denorm_src 0
		.amdhsa_exception_fp_ieee_div_zero 0
		.amdhsa_exception_fp_ieee_overflow 0
		.amdhsa_exception_fp_ieee_underflow 0
		.amdhsa_exception_fp_ieee_inexact 0
		.amdhsa_exception_int_div_zero 0
	.end_amdhsa_kernel
	.section	.text._Z6kernelI14exclusive_scanILN6hipcub18BlockScanAlgorithmE1EEiLj64ELj16ELj100EEvPKT0_PS4_S4_,"axG",@progbits,_Z6kernelI14exclusive_scanILN6hipcub18BlockScanAlgorithmE1EEiLj64ELj16ELj100EEvPKT0_PS4_S4_,comdat
.Lfunc_end113:
	.size	_Z6kernelI14exclusive_scanILN6hipcub18BlockScanAlgorithmE1EEiLj64ELj16ELj100EEvPKT0_PS4_S4_, .Lfunc_end113-_Z6kernelI14exclusive_scanILN6hipcub18BlockScanAlgorithmE1EEiLj64ELj16ELj100EEvPKT0_PS4_S4_
                                        ; -- End function
	.set _Z6kernelI14exclusive_scanILN6hipcub18BlockScanAlgorithmE1EEiLj64ELj16ELj100EEvPKT0_PS4_S4_.num_vgpr, 24
	.set _Z6kernelI14exclusive_scanILN6hipcub18BlockScanAlgorithmE1EEiLj64ELj16ELj100EEvPKT0_PS4_S4_.num_agpr, 0
	.set _Z6kernelI14exclusive_scanILN6hipcub18BlockScanAlgorithmE1EEiLj64ELj16ELj100EEvPKT0_PS4_S4_.numbered_sgpr, 21
	.set _Z6kernelI14exclusive_scanILN6hipcub18BlockScanAlgorithmE1EEiLj64ELj16ELj100EEvPKT0_PS4_S4_.num_named_barrier, 0
	.set _Z6kernelI14exclusive_scanILN6hipcub18BlockScanAlgorithmE1EEiLj64ELj16ELj100EEvPKT0_PS4_S4_.private_seg_size, 0
	.set _Z6kernelI14exclusive_scanILN6hipcub18BlockScanAlgorithmE1EEiLj64ELj16ELj100EEvPKT0_PS4_S4_.uses_vcc, 1
	.set _Z6kernelI14exclusive_scanILN6hipcub18BlockScanAlgorithmE1EEiLj64ELj16ELj100EEvPKT0_PS4_S4_.uses_flat_scratch, 0
	.set _Z6kernelI14exclusive_scanILN6hipcub18BlockScanAlgorithmE1EEiLj64ELj16ELj100EEvPKT0_PS4_S4_.has_dyn_sized_stack, 0
	.set _Z6kernelI14exclusive_scanILN6hipcub18BlockScanAlgorithmE1EEiLj64ELj16ELj100EEvPKT0_PS4_S4_.has_recursion, 0
	.set _Z6kernelI14exclusive_scanILN6hipcub18BlockScanAlgorithmE1EEiLj64ELj16ELj100EEvPKT0_PS4_S4_.has_indirect_call, 0
	.section	.AMDGPU.csdata,"",@progbits
; Kernel info:
; codeLenInByte = 668
; TotalNumSgprs: 25
; NumVgprs: 24
; ScratchSize: 0
; MemoryBound: 0
; FloatMode: 240
; IeeeMode: 1
; LDSByteSize: 4 bytes/workgroup (compile time only)
; SGPRBlocks: 3
; VGPRBlocks: 5
; NumSGPRsForWavesPerEU: 25
; NumVGPRsForWavesPerEU: 24
; Occupancy: 10
; WaveLimiterHint : 0
; COMPUTE_PGM_RSRC2:SCRATCH_EN: 0
; COMPUTE_PGM_RSRC2:USER_SGPR: 6
; COMPUTE_PGM_RSRC2:TRAP_HANDLER: 0
; COMPUTE_PGM_RSRC2:TGID_X_EN: 1
; COMPUTE_PGM_RSRC2:TGID_Y_EN: 0
; COMPUTE_PGM_RSRC2:TGID_Z_EN: 0
; COMPUTE_PGM_RSRC2:TIDIG_COMP_CNT: 0
	.section	.text._Z6kernelI14exclusive_scanILN6hipcub18BlockScanAlgorithmE1EEfLj64ELj1ELj100EEvPKT0_PS4_S4_,"axG",@progbits,_Z6kernelI14exclusive_scanILN6hipcub18BlockScanAlgorithmE1EEfLj64ELj1ELj100EEvPKT0_PS4_S4_,comdat
	.protected	_Z6kernelI14exclusive_scanILN6hipcub18BlockScanAlgorithmE1EEfLj64ELj1ELj100EEvPKT0_PS4_S4_ ; -- Begin function _Z6kernelI14exclusive_scanILN6hipcub18BlockScanAlgorithmE1EEfLj64ELj1ELj100EEvPKT0_PS4_S4_
	.globl	_Z6kernelI14exclusive_scanILN6hipcub18BlockScanAlgorithmE1EEfLj64ELj1ELj100EEvPKT0_PS4_S4_
	.p2align	8
	.type	_Z6kernelI14exclusive_scanILN6hipcub18BlockScanAlgorithmE1EEfLj64ELj1ELj100EEvPKT0_PS4_S4_,@function
_Z6kernelI14exclusive_scanILN6hipcub18BlockScanAlgorithmE1EEfLj64ELj1ELj100EEvPKT0_PS4_S4_: ; @_Z6kernelI14exclusive_scanILN6hipcub18BlockScanAlgorithmE1EEfLj64ELj1ELj100EEvPKT0_PS4_S4_
; %bb.0:
	s_load_dword s0, s[4:5], 0x24
	s_load_dwordx4 s[16:19], s[4:5], 0x0
	s_load_dword s20, s[4:5], 0x10
	v_mov_b32_e32 v3, 0
	v_cmp_eq_u32_e64 s[10:11], 63, v0
	s_waitcnt lgkmcnt(0)
	s_and_b32 s0, s0, 0xffff
	s_mul_i32 s6, s6, s0
	v_add_u32_e32 v2, s6, v0
	v_lshlrev_b64 v[1:2], 2, v[2:3]
	v_mov_b32_e32 v5, s17
	v_add_co_u32_e32 v4, vcc, s16, v1
	v_addc_co_u32_e32 v5, vcc, v5, v2, vcc
	global_load_dword v5, v[4:5], off
	v_mbcnt_lo_u32_b32 v4, -1, 0
	v_mbcnt_hi_u32_b32 v4, -1, v4
	v_and_b32_e32 v6, 15, v4
	v_cmp_eq_u32_e32 vcc, 0, v6
	v_cmp_lt_u32_e64 s[0:1], 1, v6
	v_cmp_lt_u32_e64 s[2:3], 3, v6
	;; [unrolled: 1-line block ×3, first 2 shown]
	v_and_b32_e32 v6, 16, v4
	v_cmp_eq_u32_e64 s[6:7], 0, v6
	v_subrev_co_u32_e64 v0, s[12:13], 1, v4
	v_and_b32_e32 v6, 64, v4
	v_cmp_lt_i32_e64 s[14:15], v0, v6
	v_cndmask_b32_e64 v0, v0, v4, s[14:15]
	v_cmp_lt_u32_e64 s[8:9], 31, v4
	v_lshlrev_b32_e32 v0, 2, v0
	s_movk_i32 s16, 0x64
	v_mov_b32_e32 v4, s20
	s_branch .LBB114_2
.LBB114_1:                              ;   in Loop: Header=BB114_2 Depth=1
	s_or_b64 exec, exec, s[14:15]
	v_add_f32_e32 v5, s20, v5
	ds_bpermute_b32 v5, v0, v5
	s_add_i32 s16, s16, -1
	s_cmp_lg_u32 s16, 0
	s_waitcnt lgkmcnt(0)
	; wave barrier
	v_cndmask_b32_e64 v5, v5, v4, s[12:13]
	s_cbranch_scc0 .LBB114_4
.LBB114_2:                              ; =>This Inner Loop Header: Depth=1
	s_waitcnt vmcnt(0)
	v_mov_b32_dpp v6, v5 row_shr:1 row_mask:0xf bank_mask:0xf
	v_add_f32_e32 v6, v5, v6
	v_cndmask_b32_e32 v5, v6, v5, vcc
	s_nop 1
	v_mov_b32_dpp v6, v5 row_shr:2 row_mask:0xf bank_mask:0xf
	v_add_f32_e32 v6, v5, v6
	v_cndmask_b32_e64 v5, v5, v6, s[0:1]
	s_nop 1
	v_mov_b32_dpp v6, v5 row_shr:4 row_mask:0xf bank_mask:0xf
	v_add_f32_e32 v6, v5, v6
	v_cndmask_b32_e64 v5, v5, v6, s[2:3]
	;; [unrolled: 4-line block ×3, first 2 shown]
	s_nop 1
	v_mov_b32_dpp v6, v5 row_bcast:15 row_mask:0xf bank_mask:0xf
	v_add_f32_e32 v6, v5, v6
	v_cndmask_b32_e64 v5, v6, v5, s[6:7]
	s_nop 1
	v_mov_b32_dpp v6, v5 row_bcast:31 row_mask:0xf bank_mask:0xf
	v_add_f32_e32 v6, v5, v6
	v_cndmask_b32_e64 v5, v5, v6, s[8:9]
	s_and_saveexec_b64 s[14:15], s[10:11]
	s_cbranch_execz .LBB114_1
; %bb.3:                                ;   in Loop: Header=BB114_2 Depth=1
	ds_write_b32 v3, v5
	s_branch .LBB114_1
.LBB114_4:
	v_mov_b32_e32 v3, s19
	v_add_co_u32_e32 v0, vcc, s18, v1
	v_addc_co_u32_e32 v1, vcc, v3, v2, vcc
	global_store_dword v[0:1], v5, off
	s_endpgm
	.section	.rodata,"a",@progbits
	.p2align	6, 0x0
	.amdhsa_kernel _Z6kernelI14exclusive_scanILN6hipcub18BlockScanAlgorithmE1EEfLj64ELj1ELj100EEvPKT0_PS4_S4_
		.amdhsa_group_segment_fixed_size 4
		.amdhsa_private_segment_fixed_size 0
		.amdhsa_kernarg_size 280
		.amdhsa_user_sgpr_count 6
		.amdhsa_user_sgpr_private_segment_buffer 1
		.amdhsa_user_sgpr_dispatch_ptr 0
		.amdhsa_user_sgpr_queue_ptr 0
		.amdhsa_user_sgpr_kernarg_segment_ptr 1
		.amdhsa_user_sgpr_dispatch_id 0
		.amdhsa_user_sgpr_flat_scratch_init 0
		.amdhsa_user_sgpr_private_segment_size 0
		.amdhsa_uses_dynamic_stack 0
		.amdhsa_system_sgpr_private_segment_wavefront_offset 0
		.amdhsa_system_sgpr_workgroup_id_x 1
		.amdhsa_system_sgpr_workgroup_id_y 0
		.amdhsa_system_sgpr_workgroup_id_z 0
		.amdhsa_system_sgpr_workgroup_info 0
		.amdhsa_system_vgpr_workitem_id 0
		.amdhsa_next_free_vgpr 7
		.amdhsa_next_free_sgpr 21
		.amdhsa_reserve_vcc 1
		.amdhsa_reserve_flat_scratch 0
		.amdhsa_float_round_mode_32 0
		.amdhsa_float_round_mode_16_64 0
		.amdhsa_float_denorm_mode_32 3
		.amdhsa_float_denorm_mode_16_64 3
		.amdhsa_dx10_clamp 1
		.amdhsa_ieee_mode 1
		.amdhsa_fp16_overflow 0
		.amdhsa_exception_fp_ieee_invalid_op 0
		.amdhsa_exception_fp_denorm_src 0
		.amdhsa_exception_fp_ieee_div_zero 0
		.amdhsa_exception_fp_ieee_overflow 0
		.amdhsa_exception_fp_ieee_underflow 0
		.amdhsa_exception_fp_ieee_inexact 0
		.amdhsa_exception_int_div_zero 0
	.end_amdhsa_kernel
	.section	.text._Z6kernelI14exclusive_scanILN6hipcub18BlockScanAlgorithmE1EEfLj64ELj1ELj100EEvPKT0_PS4_S4_,"axG",@progbits,_Z6kernelI14exclusive_scanILN6hipcub18BlockScanAlgorithmE1EEfLj64ELj1ELj100EEvPKT0_PS4_S4_,comdat
.Lfunc_end114:
	.size	_Z6kernelI14exclusive_scanILN6hipcub18BlockScanAlgorithmE1EEfLj64ELj1ELj100EEvPKT0_PS4_S4_, .Lfunc_end114-_Z6kernelI14exclusive_scanILN6hipcub18BlockScanAlgorithmE1EEfLj64ELj1ELj100EEvPKT0_PS4_S4_
                                        ; -- End function
	.set _Z6kernelI14exclusive_scanILN6hipcub18BlockScanAlgorithmE1EEfLj64ELj1ELj100EEvPKT0_PS4_S4_.num_vgpr, 7
	.set _Z6kernelI14exclusive_scanILN6hipcub18BlockScanAlgorithmE1EEfLj64ELj1ELj100EEvPKT0_PS4_S4_.num_agpr, 0
	.set _Z6kernelI14exclusive_scanILN6hipcub18BlockScanAlgorithmE1EEfLj64ELj1ELj100EEvPKT0_PS4_S4_.numbered_sgpr, 21
	.set _Z6kernelI14exclusive_scanILN6hipcub18BlockScanAlgorithmE1EEfLj64ELj1ELj100EEvPKT0_PS4_S4_.num_named_barrier, 0
	.set _Z6kernelI14exclusive_scanILN6hipcub18BlockScanAlgorithmE1EEfLj64ELj1ELj100EEvPKT0_PS4_S4_.private_seg_size, 0
	.set _Z6kernelI14exclusive_scanILN6hipcub18BlockScanAlgorithmE1EEfLj64ELj1ELj100EEvPKT0_PS4_S4_.uses_vcc, 1
	.set _Z6kernelI14exclusive_scanILN6hipcub18BlockScanAlgorithmE1EEfLj64ELj1ELj100EEvPKT0_PS4_S4_.uses_flat_scratch, 0
	.set _Z6kernelI14exclusive_scanILN6hipcub18BlockScanAlgorithmE1EEfLj64ELj1ELj100EEvPKT0_PS4_S4_.has_dyn_sized_stack, 0
	.set _Z6kernelI14exclusive_scanILN6hipcub18BlockScanAlgorithmE1EEfLj64ELj1ELj100EEvPKT0_PS4_S4_.has_recursion, 0
	.set _Z6kernelI14exclusive_scanILN6hipcub18BlockScanAlgorithmE1EEfLj64ELj1ELj100EEvPKT0_PS4_S4_.has_indirect_call, 0
	.section	.AMDGPU.csdata,"",@progbits
; Kernel info:
; codeLenInByte = 420
; TotalNumSgprs: 25
; NumVgprs: 7
; ScratchSize: 0
; MemoryBound: 0
; FloatMode: 240
; IeeeMode: 1
; LDSByteSize: 4 bytes/workgroup (compile time only)
; SGPRBlocks: 3
; VGPRBlocks: 1
; NumSGPRsForWavesPerEU: 25
; NumVGPRsForWavesPerEU: 7
; Occupancy: 10
; WaveLimiterHint : 0
; COMPUTE_PGM_RSRC2:SCRATCH_EN: 0
; COMPUTE_PGM_RSRC2:USER_SGPR: 6
; COMPUTE_PGM_RSRC2:TRAP_HANDLER: 0
; COMPUTE_PGM_RSRC2:TGID_X_EN: 1
; COMPUTE_PGM_RSRC2:TGID_Y_EN: 0
; COMPUTE_PGM_RSRC2:TGID_Z_EN: 0
; COMPUTE_PGM_RSRC2:TIDIG_COMP_CNT: 0
	.section	.text._Z6kernelI14exclusive_scanILN6hipcub18BlockScanAlgorithmE1EEfLj64ELj3ELj100EEvPKT0_PS4_S4_,"axG",@progbits,_Z6kernelI14exclusive_scanILN6hipcub18BlockScanAlgorithmE1EEfLj64ELj3ELj100EEvPKT0_PS4_S4_,comdat
	.protected	_Z6kernelI14exclusive_scanILN6hipcub18BlockScanAlgorithmE1EEfLj64ELj3ELj100EEvPKT0_PS4_S4_ ; -- Begin function _Z6kernelI14exclusive_scanILN6hipcub18BlockScanAlgorithmE1EEfLj64ELj3ELj100EEvPKT0_PS4_S4_
	.globl	_Z6kernelI14exclusive_scanILN6hipcub18BlockScanAlgorithmE1EEfLj64ELj3ELj100EEvPKT0_PS4_S4_
	.p2align	8
	.type	_Z6kernelI14exclusive_scanILN6hipcub18BlockScanAlgorithmE1EEfLj64ELj3ELj100EEvPKT0_PS4_S4_,@function
_Z6kernelI14exclusive_scanILN6hipcub18BlockScanAlgorithmE1EEfLj64ELj3ELj100EEvPKT0_PS4_S4_: ; @_Z6kernelI14exclusive_scanILN6hipcub18BlockScanAlgorithmE1EEfLj64ELj3ELj100EEvPKT0_PS4_S4_
; %bb.0:
	s_load_dword s0, s[4:5], 0x24
	s_load_dwordx4 s[16:19], s[4:5], 0x0
	s_load_dword s20, s[4:5], 0x10
	v_mov_b32_e32 v4, 0
	v_mov_b32_e32 v6, v4
	s_waitcnt lgkmcnt(0)
	s_and_b32 s0, s0, 0xffff
	s_mul_i32 s6, s6, s0
	v_add_u32_e32 v1, s6, v0
	v_lshl_add_u32 v3, v1, 1, v1
	v_lshlrev_b64 v[1:2], 2, v[3:4]
	v_mov_b32_e32 v5, s17
	v_add_co_u32_e32 v12, vcc, s16, v1
	v_addc_co_u32_e32 v13, vcc, v5, v2, vcc
	v_add_u32_e32 v5, 1, v3
	v_lshlrev_b64 v[5:6], 2, v[5:6]
	v_mov_b32_e32 v7, s17
	v_add_co_u32_e32 v14, vcc, s16, v5
	v_add_u32_e32 v3, 2, v3
	v_addc_co_u32_e32 v15, vcc, v7, v6, vcc
	v_lshlrev_b64 v[7:8], 2, v[3:4]
	v_mov_b32_e32 v3, s17
	v_add_co_u32_e32 v16, vcc, s16, v7
	v_addc_co_u32_e32 v17, vcc, v3, v8, vcc
	global_load_dword v3, v[12:13], off
	global_load_dword v9, v[14:15], off
	;; [unrolled: 1-line block ×3, first 2 shown]
	v_mbcnt_lo_u32_b32 v10, -1, 0
	v_mbcnt_hi_u32_b32 v10, -1, v10
	v_and_b32_e32 v12, 15, v10
	v_cmp_eq_u32_e32 vcc, 0, v12
	v_cmp_lt_u32_e64 s[0:1], 1, v12
	v_cmp_lt_u32_e64 s[2:3], 3, v12
	;; [unrolled: 1-line block ×3, first 2 shown]
	v_and_b32_e32 v12, 16, v10
	v_cmp_eq_u32_e64 s[6:7], 0, v12
	v_subrev_co_u32_e64 v12, s[12:13], 1, v10
	v_and_b32_e32 v13, 64, v10
	v_cmp_lt_i32_e64 s[14:15], v12, v13
	v_cmp_lt_u32_e64 s[8:9], 31, v10
	v_cndmask_b32_e64 v10, v12, v10, s[14:15]
	v_cmp_eq_u32_e64 s[14:15], 0, v0
	v_cmp_eq_u32_e64 s[10:11], 63, v0
	v_lshlrev_b32_e32 v10, 2, v10
	s_or_b64 s[12:13], s[14:15], s[12:13]
	s_movk_i32 s16, 0x64
.LBB115_1:                              ; =>This Inner Loop Header: Depth=1
	s_waitcnt vmcnt(1)
	v_add_f32_e32 v0, v3, v9
	s_waitcnt vmcnt(0)
	v_add_f32_e32 v0, v11, v0
	s_nop 1
	v_mov_b32_dpp v11, v0 row_shr:1 row_mask:0xf bank_mask:0xf
	v_add_f32_e32 v11, v0, v11
	v_cndmask_b32_e32 v0, v11, v0, vcc
	s_nop 1
	v_mov_b32_dpp v11, v0 row_shr:2 row_mask:0xf bank_mask:0xf
	v_add_f32_e32 v11, v0, v11
	v_cndmask_b32_e64 v0, v0, v11, s[0:1]
	s_nop 1
	v_mov_b32_dpp v11, v0 row_shr:4 row_mask:0xf bank_mask:0xf
	v_add_f32_e32 v11, v0, v11
	v_cndmask_b32_e64 v0, v0, v11, s[2:3]
	;; [unrolled: 4-line block ×3, first 2 shown]
	s_nop 1
	v_mov_b32_dpp v11, v0 row_bcast:15 row_mask:0xf bank_mask:0xf
	v_add_f32_e32 v11, v0, v11
	v_cndmask_b32_e64 v0, v11, v0, s[6:7]
	s_nop 1
	v_mov_b32_dpp v11, v0 row_bcast:31 row_mask:0xf bank_mask:0xf
	v_add_f32_e32 v11, v0, v11
	v_cndmask_b32_e64 v0, v0, v11, s[8:9]
	s_and_saveexec_b64 s[14:15], s[10:11]
; %bb.2:                                ;   in Loop: Header=BB115_1 Depth=1
	ds_write_b32 v4, v0
; %bb.3:                                ;   in Loop: Header=BB115_1 Depth=1
	s_or_b64 exec, exec, s[14:15]
	v_add_f32_e32 v0, s20, v0
	ds_bpermute_b32 v0, v10, v0
	v_mov_b32_e32 v11, s20
	s_add_i32 s16, s16, -1
	s_cmp_lg_u32 s16, 0
	s_waitcnt lgkmcnt(0)
	v_cndmask_b32_e64 v12, v0, v11, s[12:13]
	v_add_f32_e32 v0, v3, v12
	v_add_f32_e32 v11, v9, v0
	; wave barrier
	s_cbranch_scc0 .LBB115_5
; %bb.4:                                ;   in Loop: Header=BB115_1 Depth=1
	v_mov_b32_e32 v3, v12
	v_mov_b32_e32 v9, v0
	s_branch .LBB115_1
.LBB115_5:
	v_mov_b32_e32 v3, s19
	v_add_co_u32_e32 v1, vcc, s18, v1
	v_addc_co_u32_e32 v2, vcc, v3, v2, vcc
	global_store_dword v[1:2], v12, off
	v_mov_b32_e32 v2, s19
	v_add_co_u32_e32 v1, vcc, s18, v5
	v_addc_co_u32_e32 v2, vcc, v2, v6, vcc
	global_store_dword v[1:2], v0, off
	;; [unrolled: 4-line block ×3, first 2 shown]
	s_endpgm
	.section	.rodata,"a",@progbits
	.p2align	6, 0x0
	.amdhsa_kernel _Z6kernelI14exclusive_scanILN6hipcub18BlockScanAlgorithmE1EEfLj64ELj3ELj100EEvPKT0_PS4_S4_
		.amdhsa_group_segment_fixed_size 4
		.amdhsa_private_segment_fixed_size 0
		.amdhsa_kernarg_size 280
		.amdhsa_user_sgpr_count 6
		.amdhsa_user_sgpr_private_segment_buffer 1
		.amdhsa_user_sgpr_dispatch_ptr 0
		.amdhsa_user_sgpr_queue_ptr 0
		.amdhsa_user_sgpr_kernarg_segment_ptr 1
		.amdhsa_user_sgpr_dispatch_id 0
		.amdhsa_user_sgpr_flat_scratch_init 0
		.amdhsa_user_sgpr_private_segment_size 0
		.amdhsa_uses_dynamic_stack 0
		.amdhsa_system_sgpr_private_segment_wavefront_offset 0
		.amdhsa_system_sgpr_workgroup_id_x 1
		.amdhsa_system_sgpr_workgroup_id_y 0
		.amdhsa_system_sgpr_workgroup_id_z 0
		.amdhsa_system_sgpr_workgroup_info 0
		.amdhsa_system_vgpr_workitem_id 0
		.amdhsa_next_free_vgpr 18
		.amdhsa_next_free_sgpr 21
		.amdhsa_reserve_vcc 1
		.amdhsa_reserve_flat_scratch 0
		.amdhsa_float_round_mode_32 0
		.amdhsa_float_round_mode_16_64 0
		.amdhsa_float_denorm_mode_32 3
		.amdhsa_float_denorm_mode_16_64 3
		.amdhsa_dx10_clamp 1
		.amdhsa_ieee_mode 1
		.amdhsa_fp16_overflow 0
		.amdhsa_exception_fp_ieee_invalid_op 0
		.amdhsa_exception_fp_denorm_src 0
		.amdhsa_exception_fp_ieee_div_zero 0
		.amdhsa_exception_fp_ieee_overflow 0
		.amdhsa_exception_fp_ieee_underflow 0
		.amdhsa_exception_fp_ieee_inexact 0
		.amdhsa_exception_int_div_zero 0
	.end_amdhsa_kernel
	.section	.text._Z6kernelI14exclusive_scanILN6hipcub18BlockScanAlgorithmE1EEfLj64ELj3ELj100EEvPKT0_PS4_S4_,"axG",@progbits,_Z6kernelI14exclusive_scanILN6hipcub18BlockScanAlgorithmE1EEfLj64ELj3ELj100EEvPKT0_PS4_S4_,comdat
.Lfunc_end115:
	.size	_Z6kernelI14exclusive_scanILN6hipcub18BlockScanAlgorithmE1EEfLj64ELj3ELj100EEvPKT0_PS4_S4_, .Lfunc_end115-_Z6kernelI14exclusive_scanILN6hipcub18BlockScanAlgorithmE1EEfLj64ELj3ELj100EEvPKT0_PS4_S4_
                                        ; -- End function
	.set _Z6kernelI14exclusive_scanILN6hipcub18BlockScanAlgorithmE1EEfLj64ELj3ELj100EEvPKT0_PS4_S4_.num_vgpr, 18
	.set _Z6kernelI14exclusive_scanILN6hipcub18BlockScanAlgorithmE1EEfLj64ELj3ELj100EEvPKT0_PS4_S4_.num_agpr, 0
	.set _Z6kernelI14exclusive_scanILN6hipcub18BlockScanAlgorithmE1EEfLj64ELj3ELj100EEvPKT0_PS4_S4_.numbered_sgpr, 21
	.set _Z6kernelI14exclusive_scanILN6hipcub18BlockScanAlgorithmE1EEfLj64ELj3ELj100EEvPKT0_PS4_S4_.num_named_barrier, 0
	.set _Z6kernelI14exclusive_scanILN6hipcub18BlockScanAlgorithmE1EEfLj64ELj3ELj100EEvPKT0_PS4_S4_.private_seg_size, 0
	.set _Z6kernelI14exclusive_scanILN6hipcub18BlockScanAlgorithmE1EEfLj64ELj3ELj100EEvPKT0_PS4_S4_.uses_vcc, 1
	.set _Z6kernelI14exclusive_scanILN6hipcub18BlockScanAlgorithmE1EEfLj64ELj3ELj100EEvPKT0_PS4_S4_.uses_flat_scratch, 0
	.set _Z6kernelI14exclusive_scanILN6hipcub18BlockScanAlgorithmE1EEfLj64ELj3ELj100EEvPKT0_PS4_S4_.has_dyn_sized_stack, 0
	.set _Z6kernelI14exclusive_scanILN6hipcub18BlockScanAlgorithmE1EEfLj64ELj3ELj100EEvPKT0_PS4_S4_.has_recursion, 0
	.set _Z6kernelI14exclusive_scanILN6hipcub18BlockScanAlgorithmE1EEfLj64ELj3ELj100EEvPKT0_PS4_S4_.has_indirect_call, 0
	.section	.AMDGPU.csdata,"",@progbits
; Kernel info:
; codeLenInByte = 572
; TotalNumSgprs: 25
; NumVgprs: 18
; ScratchSize: 0
; MemoryBound: 0
; FloatMode: 240
; IeeeMode: 1
; LDSByteSize: 4 bytes/workgroup (compile time only)
; SGPRBlocks: 3
; VGPRBlocks: 4
; NumSGPRsForWavesPerEU: 25
; NumVGPRsForWavesPerEU: 18
; Occupancy: 10
; WaveLimiterHint : 0
; COMPUTE_PGM_RSRC2:SCRATCH_EN: 0
; COMPUTE_PGM_RSRC2:USER_SGPR: 6
; COMPUTE_PGM_RSRC2:TRAP_HANDLER: 0
; COMPUTE_PGM_RSRC2:TGID_X_EN: 1
; COMPUTE_PGM_RSRC2:TGID_Y_EN: 0
; COMPUTE_PGM_RSRC2:TGID_Z_EN: 0
; COMPUTE_PGM_RSRC2:TIDIG_COMP_CNT: 0
	.section	.text._Z6kernelI14exclusive_scanILN6hipcub18BlockScanAlgorithmE1EEfLj64ELj4ELj100EEvPKT0_PS4_S4_,"axG",@progbits,_Z6kernelI14exclusive_scanILN6hipcub18BlockScanAlgorithmE1EEfLj64ELj4ELj100EEvPKT0_PS4_S4_,comdat
	.protected	_Z6kernelI14exclusive_scanILN6hipcub18BlockScanAlgorithmE1EEfLj64ELj4ELj100EEvPKT0_PS4_S4_ ; -- Begin function _Z6kernelI14exclusive_scanILN6hipcub18BlockScanAlgorithmE1EEfLj64ELj4ELj100EEvPKT0_PS4_S4_
	.globl	_Z6kernelI14exclusive_scanILN6hipcub18BlockScanAlgorithmE1EEfLj64ELj4ELj100EEvPKT0_PS4_S4_
	.p2align	8
	.type	_Z6kernelI14exclusive_scanILN6hipcub18BlockScanAlgorithmE1EEfLj64ELj4ELj100EEvPKT0_PS4_S4_,@function
_Z6kernelI14exclusive_scanILN6hipcub18BlockScanAlgorithmE1EEfLj64ELj4ELj100EEvPKT0_PS4_S4_: ; @_Z6kernelI14exclusive_scanILN6hipcub18BlockScanAlgorithmE1EEfLj64ELj4ELj100EEvPKT0_PS4_S4_
; %bb.0:
	s_load_dword s0, s[4:5], 0x24
	s_load_dwordx4 s[16:19], s[4:5], 0x0
	s_load_dword s20, s[4:5], 0x10
	v_mov_b32_e32 v10, 0
	v_mbcnt_lo_u32_b32 v5, -1, 0
	s_waitcnt lgkmcnt(0)
	s_and_b32 s0, s0, 0xffff
	s_mul_i32 s6, s6, s0
	v_add_lshl_u32 v9, s6, v0, 2
	v_lshlrev_b64 v[8:9], 2, v[9:10]
	v_mov_b32_e32 v2, s17
	v_add_co_u32_e32 v1, vcc, s16, v8
	v_addc_co_u32_e32 v2, vcc, v2, v9, vcc
	global_load_dwordx4 v[1:4], v[1:2], off
	v_mbcnt_hi_u32_b32 v5, -1, v5
	v_and_b32_e32 v6, 15, v5
	v_cmp_eq_u32_e32 vcc, 0, v6
	v_cmp_lt_u32_e64 s[0:1], 1, v6
	v_cmp_lt_u32_e64 s[2:3], 3, v6
	;; [unrolled: 1-line block ×3, first 2 shown]
	v_and_b32_e32 v6, 16, v5
	v_cmp_eq_u32_e64 s[6:7], 0, v6
	v_subrev_co_u32_e64 v6, s[12:13], 1, v5
	v_and_b32_e32 v7, 64, v5
	v_cmp_lt_i32_e64 s[14:15], v6, v7
	v_cmp_lt_u32_e64 s[8:9], 31, v5
	v_cndmask_b32_e64 v5, v6, v5, s[14:15]
	v_cmp_eq_u32_e64 s[14:15], 0, v0
	v_cmp_eq_u32_e64 s[10:11], 63, v0
	v_lshlrev_b32_e32 v11, 2, v5
	s_or_b64 s[12:13], s[14:15], s[12:13]
	s_movk_i32 s16, 0x64
.LBB116_1:                              ; =>This Inner Loop Header: Depth=1
	s_waitcnt vmcnt(0)
	v_add_f32_e32 v0, v1, v2
	v_add_f32_e32 v0, v3, v0
	;; [unrolled: 1-line block ×3, first 2 shown]
	s_nop 1
	v_mov_b32_dpp v4, v0 row_shr:1 row_mask:0xf bank_mask:0xf
	v_add_f32_e32 v4, v0, v4
	v_cndmask_b32_e32 v0, v4, v0, vcc
	s_nop 1
	v_mov_b32_dpp v4, v0 row_shr:2 row_mask:0xf bank_mask:0xf
	v_add_f32_e32 v4, v0, v4
	v_cndmask_b32_e64 v0, v0, v4, s[0:1]
	s_nop 1
	v_mov_b32_dpp v4, v0 row_shr:4 row_mask:0xf bank_mask:0xf
	v_add_f32_e32 v4, v0, v4
	v_cndmask_b32_e64 v0, v0, v4, s[2:3]
	;; [unrolled: 4-line block ×3, first 2 shown]
	s_nop 1
	v_mov_b32_dpp v4, v0 row_bcast:15 row_mask:0xf bank_mask:0xf
	v_add_f32_e32 v4, v0, v4
	v_cndmask_b32_e64 v0, v4, v0, s[6:7]
	s_nop 1
	v_mov_b32_dpp v4, v0 row_bcast:31 row_mask:0xf bank_mask:0xf
	v_add_f32_e32 v4, v0, v4
	v_cndmask_b32_e64 v0, v0, v4, s[8:9]
	s_and_saveexec_b64 s[14:15], s[10:11]
; %bb.2:                                ;   in Loop: Header=BB116_1 Depth=1
	ds_write_b32 v10, v0
; %bb.3:                                ;   in Loop: Header=BB116_1 Depth=1
	s_or_b64 exec, exec, s[14:15]
	v_add_f32_e32 v0, s20, v0
	ds_bpermute_b32 v0, v11, v0
	v_mov_b32_e32 v4, s20
	s_add_i32 s16, s16, -1
	s_cmp_lg_u32 s16, 0
	s_waitcnt lgkmcnt(0)
	v_cndmask_b32_e64 v5, v0, v4, s[12:13]
	v_add_f32_e32 v6, v1, v5
	v_add_f32_e32 v7, v2, v6
	v_add_f32_e32 v4, v3, v7
	; wave barrier
	s_cbranch_scc0 .LBB116_5
; %bb.4:                                ;   in Loop: Header=BB116_1 Depth=1
	v_mov_b32_e32 v1, v5
	v_mov_b32_e32 v2, v6
	;; [unrolled: 1-line block ×3, first 2 shown]
	s_branch .LBB116_1
.LBB116_5:
	v_mov_b32_e32 v1, s19
	v_add_co_u32_e32 v0, vcc, s18, v8
	v_addc_co_u32_e32 v1, vcc, v1, v9, vcc
	v_mov_b32_e32 v8, v4
	global_store_dwordx4 v[0:1], v[5:8], off
	s_endpgm
	.section	.rodata,"a",@progbits
	.p2align	6, 0x0
	.amdhsa_kernel _Z6kernelI14exclusive_scanILN6hipcub18BlockScanAlgorithmE1EEfLj64ELj4ELj100EEvPKT0_PS4_S4_
		.amdhsa_group_segment_fixed_size 4
		.amdhsa_private_segment_fixed_size 0
		.amdhsa_kernarg_size 280
		.amdhsa_user_sgpr_count 6
		.amdhsa_user_sgpr_private_segment_buffer 1
		.amdhsa_user_sgpr_dispatch_ptr 0
		.amdhsa_user_sgpr_queue_ptr 0
		.amdhsa_user_sgpr_kernarg_segment_ptr 1
		.amdhsa_user_sgpr_dispatch_id 0
		.amdhsa_user_sgpr_flat_scratch_init 0
		.amdhsa_user_sgpr_private_segment_size 0
		.amdhsa_uses_dynamic_stack 0
		.amdhsa_system_sgpr_private_segment_wavefront_offset 0
		.amdhsa_system_sgpr_workgroup_id_x 1
		.amdhsa_system_sgpr_workgroup_id_y 0
		.amdhsa_system_sgpr_workgroup_id_z 0
		.amdhsa_system_sgpr_workgroup_info 0
		.amdhsa_system_vgpr_workitem_id 0
		.amdhsa_next_free_vgpr 12
		.amdhsa_next_free_sgpr 21
		.amdhsa_reserve_vcc 1
		.amdhsa_reserve_flat_scratch 0
		.amdhsa_float_round_mode_32 0
		.amdhsa_float_round_mode_16_64 0
		.amdhsa_float_denorm_mode_32 3
		.amdhsa_float_denorm_mode_16_64 3
		.amdhsa_dx10_clamp 1
		.amdhsa_ieee_mode 1
		.amdhsa_fp16_overflow 0
		.amdhsa_exception_fp_ieee_invalid_op 0
		.amdhsa_exception_fp_denorm_src 0
		.amdhsa_exception_fp_ieee_div_zero 0
		.amdhsa_exception_fp_ieee_overflow 0
		.amdhsa_exception_fp_ieee_underflow 0
		.amdhsa_exception_fp_ieee_inexact 0
		.amdhsa_exception_int_div_zero 0
	.end_amdhsa_kernel
	.section	.text._Z6kernelI14exclusive_scanILN6hipcub18BlockScanAlgorithmE1EEfLj64ELj4ELj100EEvPKT0_PS4_S4_,"axG",@progbits,_Z6kernelI14exclusive_scanILN6hipcub18BlockScanAlgorithmE1EEfLj64ELj4ELj100EEvPKT0_PS4_S4_,comdat
.Lfunc_end116:
	.size	_Z6kernelI14exclusive_scanILN6hipcub18BlockScanAlgorithmE1EEfLj64ELj4ELj100EEvPKT0_PS4_S4_, .Lfunc_end116-_Z6kernelI14exclusive_scanILN6hipcub18BlockScanAlgorithmE1EEfLj64ELj4ELj100EEvPKT0_PS4_S4_
                                        ; -- End function
	.set _Z6kernelI14exclusive_scanILN6hipcub18BlockScanAlgorithmE1EEfLj64ELj4ELj100EEvPKT0_PS4_S4_.num_vgpr, 12
	.set _Z6kernelI14exclusive_scanILN6hipcub18BlockScanAlgorithmE1EEfLj64ELj4ELj100EEvPKT0_PS4_S4_.num_agpr, 0
	.set _Z6kernelI14exclusive_scanILN6hipcub18BlockScanAlgorithmE1EEfLj64ELj4ELj100EEvPKT0_PS4_S4_.numbered_sgpr, 21
	.set _Z6kernelI14exclusive_scanILN6hipcub18BlockScanAlgorithmE1EEfLj64ELj4ELj100EEvPKT0_PS4_S4_.num_named_barrier, 0
	.set _Z6kernelI14exclusive_scanILN6hipcub18BlockScanAlgorithmE1EEfLj64ELj4ELj100EEvPKT0_PS4_S4_.private_seg_size, 0
	.set _Z6kernelI14exclusive_scanILN6hipcub18BlockScanAlgorithmE1EEfLj64ELj4ELj100EEvPKT0_PS4_S4_.uses_vcc, 1
	.set _Z6kernelI14exclusive_scanILN6hipcub18BlockScanAlgorithmE1EEfLj64ELj4ELj100EEvPKT0_PS4_S4_.uses_flat_scratch, 0
	.set _Z6kernelI14exclusive_scanILN6hipcub18BlockScanAlgorithmE1EEfLj64ELj4ELj100EEvPKT0_PS4_S4_.has_dyn_sized_stack, 0
	.set _Z6kernelI14exclusive_scanILN6hipcub18BlockScanAlgorithmE1EEfLj64ELj4ELj100EEvPKT0_PS4_S4_.has_recursion, 0
	.set _Z6kernelI14exclusive_scanILN6hipcub18BlockScanAlgorithmE1EEfLj64ELj4ELj100EEvPKT0_PS4_S4_.has_indirect_call, 0
	.section	.AMDGPU.csdata,"",@progbits
; Kernel info:
; codeLenInByte = 472
; TotalNumSgprs: 25
; NumVgprs: 12
; ScratchSize: 0
; MemoryBound: 0
; FloatMode: 240
; IeeeMode: 1
; LDSByteSize: 4 bytes/workgroup (compile time only)
; SGPRBlocks: 3
; VGPRBlocks: 2
; NumSGPRsForWavesPerEU: 25
; NumVGPRsForWavesPerEU: 12
; Occupancy: 10
; WaveLimiterHint : 0
; COMPUTE_PGM_RSRC2:SCRATCH_EN: 0
; COMPUTE_PGM_RSRC2:USER_SGPR: 6
; COMPUTE_PGM_RSRC2:TRAP_HANDLER: 0
; COMPUTE_PGM_RSRC2:TGID_X_EN: 1
; COMPUTE_PGM_RSRC2:TGID_Y_EN: 0
; COMPUTE_PGM_RSRC2:TGID_Z_EN: 0
; COMPUTE_PGM_RSRC2:TIDIG_COMP_CNT: 0
	.section	.text._Z6kernelI14exclusive_scanILN6hipcub18BlockScanAlgorithmE1EEfLj64ELj8ELj100EEvPKT0_PS4_S4_,"axG",@progbits,_Z6kernelI14exclusive_scanILN6hipcub18BlockScanAlgorithmE1EEfLj64ELj8ELj100EEvPKT0_PS4_S4_,comdat
	.protected	_Z6kernelI14exclusive_scanILN6hipcub18BlockScanAlgorithmE1EEfLj64ELj8ELj100EEvPKT0_PS4_S4_ ; -- Begin function _Z6kernelI14exclusive_scanILN6hipcub18BlockScanAlgorithmE1EEfLj64ELj8ELj100EEvPKT0_PS4_S4_
	.globl	_Z6kernelI14exclusive_scanILN6hipcub18BlockScanAlgorithmE1EEfLj64ELj8ELj100EEvPKT0_PS4_S4_
	.p2align	8
	.type	_Z6kernelI14exclusive_scanILN6hipcub18BlockScanAlgorithmE1EEfLj64ELj8ELj100EEvPKT0_PS4_S4_,@function
_Z6kernelI14exclusive_scanILN6hipcub18BlockScanAlgorithmE1EEfLj64ELj8ELj100EEvPKT0_PS4_S4_: ; @_Z6kernelI14exclusive_scanILN6hipcub18BlockScanAlgorithmE1EEfLj64ELj8ELj100EEvPKT0_PS4_S4_
; %bb.0:
	s_load_dword s0, s[4:5], 0x24
	s_load_dwordx4 s[16:19], s[4:5], 0x0
	s_load_dword s20, s[4:5], 0x10
	v_mov_b32_e32 v18, 0
	v_cmp_eq_u32_e64 s[10:11], 63, v0
	s_waitcnt lgkmcnt(0)
	s_and_b32 s0, s0, 0xffff
	s_mul_i32 s6, s6, s0
	v_add_lshl_u32 v17, s6, v0, 3
	v_lshlrev_b64 v[16:17], 2, v[17:18]
	v_mov_b32_e32 v1, s17
	v_add_co_u32_e32 v9, vcc, s16, v16
	v_addc_co_u32_e32 v10, vcc, v1, v17, vcc
	global_load_dwordx4 v[5:8], v[9:10], off
	global_load_dwordx4 v[1:4], v[9:10], off offset:16
	v_mbcnt_lo_u32_b32 v9, -1, 0
	v_mbcnt_hi_u32_b32 v9, -1, v9
	v_and_b32_e32 v10, 15, v9
	v_cmp_eq_u32_e32 vcc, 0, v10
	v_cmp_lt_u32_e64 s[0:1], 1, v10
	v_cmp_lt_u32_e64 s[2:3], 3, v10
	;; [unrolled: 1-line block ×3, first 2 shown]
	v_and_b32_e32 v10, 16, v9
	v_cmp_eq_u32_e64 s[6:7], 0, v10
	v_subrev_co_u32_e64 v10, s[12:13], 1, v9
	v_and_b32_e32 v11, 64, v9
	v_cmp_lt_i32_e64 s[14:15], v10, v11
	v_cmp_lt_u32_e64 s[8:9], 31, v9
	v_cndmask_b32_e64 v9, v10, v9, s[14:15]
	v_cmp_eq_u32_e64 s[14:15], 0, v0
	v_lshlrev_b32_e32 v19, 2, v9
	s_or_b64 s[12:13], s[14:15], s[12:13]
	s_movk_i32 s16, 0x64
.LBB117_1:                              ; =>This Inner Loop Header: Depth=1
	s_waitcnt vmcnt(1)
	v_add_f32_e32 v0, v5, v6
	v_add_f32_e32 v0, v7, v0
	;; [unrolled: 1-line block ×3, first 2 shown]
	s_waitcnt vmcnt(0)
	v_add_f32_e32 v0, v1, v0
	v_add_f32_e32 v0, v2, v0
	;; [unrolled: 1-line block ×4, first 2 shown]
	s_nop 1
	v_mov_b32_dpp v4, v0 row_shr:1 row_mask:0xf bank_mask:0xf
	v_add_f32_e32 v4, v0, v4
	v_cndmask_b32_e32 v0, v4, v0, vcc
	s_nop 1
	v_mov_b32_dpp v4, v0 row_shr:2 row_mask:0xf bank_mask:0xf
	v_add_f32_e32 v4, v0, v4
	v_cndmask_b32_e64 v0, v0, v4, s[0:1]
	s_nop 1
	v_mov_b32_dpp v4, v0 row_shr:4 row_mask:0xf bank_mask:0xf
	v_add_f32_e32 v4, v0, v4
	v_cndmask_b32_e64 v0, v0, v4, s[2:3]
	;; [unrolled: 4-line block ×3, first 2 shown]
	s_nop 1
	v_mov_b32_dpp v4, v0 row_bcast:15 row_mask:0xf bank_mask:0xf
	v_add_f32_e32 v4, v0, v4
	v_cndmask_b32_e64 v0, v4, v0, s[6:7]
	s_nop 1
	v_mov_b32_dpp v4, v0 row_bcast:31 row_mask:0xf bank_mask:0xf
	v_add_f32_e32 v4, v0, v4
	v_cndmask_b32_e64 v0, v0, v4, s[8:9]
	s_and_saveexec_b64 s[14:15], s[10:11]
; %bb.2:                                ;   in Loop: Header=BB117_1 Depth=1
	ds_write_b32 v18, v0
; %bb.3:                                ;   in Loop: Header=BB117_1 Depth=1
	s_or_b64 exec, exec, s[14:15]
	v_add_f32_e32 v0, s20, v0
	ds_bpermute_b32 v0, v19, v0
	v_mov_b32_e32 v4, s20
	s_add_i32 s16, s16, -1
	s_cmp_lg_u32 s16, 0
	s_waitcnt lgkmcnt(0)
	v_cndmask_b32_e64 v12, v0, v4, s[12:13]
	v_add_f32_e32 v13, v5, v12
	v_add_f32_e32 v14, v6, v13
	;; [unrolled: 1-line block ×7, first 2 shown]
	; wave barrier
	s_cbranch_scc0 .LBB117_5
; %bb.4:                                ;   in Loop: Header=BB117_1 Depth=1
	v_mov_b32_e32 v5, v12
	v_mov_b32_e32 v6, v13
	;; [unrolled: 1-line block ×7, first 2 shown]
	s_branch .LBB117_1
.LBB117_5:
	v_mov_b32_e32 v1, s19
	v_add_co_u32_e32 v0, vcc, s18, v16
	v_addc_co_u32_e32 v1, vcc, v1, v17, vcc
	global_store_dwordx4 v[0:1], v[12:15], off
	s_nop 0
	v_mov_b32_e32 v12, v4
	global_store_dwordx4 v[0:1], v[9:12], off offset:16
	s_endpgm
	.section	.rodata,"a",@progbits
	.p2align	6, 0x0
	.amdhsa_kernel _Z6kernelI14exclusive_scanILN6hipcub18BlockScanAlgorithmE1EEfLj64ELj8ELj100EEvPKT0_PS4_S4_
		.amdhsa_group_segment_fixed_size 4
		.amdhsa_private_segment_fixed_size 0
		.amdhsa_kernarg_size 280
		.amdhsa_user_sgpr_count 6
		.amdhsa_user_sgpr_private_segment_buffer 1
		.amdhsa_user_sgpr_dispatch_ptr 0
		.amdhsa_user_sgpr_queue_ptr 0
		.amdhsa_user_sgpr_kernarg_segment_ptr 1
		.amdhsa_user_sgpr_dispatch_id 0
		.amdhsa_user_sgpr_flat_scratch_init 0
		.amdhsa_user_sgpr_private_segment_size 0
		.amdhsa_uses_dynamic_stack 0
		.amdhsa_system_sgpr_private_segment_wavefront_offset 0
		.amdhsa_system_sgpr_workgroup_id_x 1
		.amdhsa_system_sgpr_workgroup_id_y 0
		.amdhsa_system_sgpr_workgroup_id_z 0
		.amdhsa_system_sgpr_workgroup_info 0
		.amdhsa_system_vgpr_workitem_id 0
		.amdhsa_next_free_vgpr 20
		.amdhsa_next_free_sgpr 21
		.amdhsa_reserve_vcc 1
		.amdhsa_reserve_flat_scratch 0
		.amdhsa_float_round_mode_32 0
		.amdhsa_float_round_mode_16_64 0
		.amdhsa_float_denorm_mode_32 3
		.amdhsa_float_denorm_mode_16_64 3
		.amdhsa_dx10_clamp 1
		.amdhsa_ieee_mode 1
		.amdhsa_fp16_overflow 0
		.amdhsa_exception_fp_ieee_invalid_op 0
		.amdhsa_exception_fp_denorm_src 0
		.amdhsa_exception_fp_ieee_div_zero 0
		.amdhsa_exception_fp_ieee_overflow 0
		.amdhsa_exception_fp_ieee_underflow 0
		.amdhsa_exception_fp_ieee_inexact 0
		.amdhsa_exception_int_div_zero 0
	.end_amdhsa_kernel
	.section	.text._Z6kernelI14exclusive_scanILN6hipcub18BlockScanAlgorithmE1EEfLj64ELj8ELj100EEvPKT0_PS4_S4_,"axG",@progbits,_Z6kernelI14exclusive_scanILN6hipcub18BlockScanAlgorithmE1EEfLj64ELj8ELj100EEvPKT0_PS4_S4_,comdat
.Lfunc_end117:
	.size	_Z6kernelI14exclusive_scanILN6hipcub18BlockScanAlgorithmE1EEfLj64ELj8ELj100EEvPKT0_PS4_S4_, .Lfunc_end117-_Z6kernelI14exclusive_scanILN6hipcub18BlockScanAlgorithmE1EEfLj64ELj8ELj100EEvPKT0_PS4_S4_
                                        ; -- End function
	.set _Z6kernelI14exclusive_scanILN6hipcub18BlockScanAlgorithmE1EEfLj64ELj8ELj100EEvPKT0_PS4_S4_.num_vgpr, 20
	.set _Z6kernelI14exclusive_scanILN6hipcub18BlockScanAlgorithmE1EEfLj64ELj8ELj100EEvPKT0_PS4_S4_.num_agpr, 0
	.set _Z6kernelI14exclusive_scanILN6hipcub18BlockScanAlgorithmE1EEfLj64ELj8ELj100EEvPKT0_PS4_S4_.numbered_sgpr, 21
	.set _Z6kernelI14exclusive_scanILN6hipcub18BlockScanAlgorithmE1EEfLj64ELj8ELj100EEvPKT0_PS4_S4_.num_named_barrier, 0
	.set _Z6kernelI14exclusive_scanILN6hipcub18BlockScanAlgorithmE1EEfLj64ELj8ELj100EEvPKT0_PS4_S4_.private_seg_size, 0
	.set _Z6kernelI14exclusive_scanILN6hipcub18BlockScanAlgorithmE1EEfLj64ELj8ELj100EEvPKT0_PS4_S4_.uses_vcc, 1
	.set _Z6kernelI14exclusive_scanILN6hipcub18BlockScanAlgorithmE1EEfLj64ELj8ELj100EEvPKT0_PS4_S4_.uses_flat_scratch, 0
	.set _Z6kernelI14exclusive_scanILN6hipcub18BlockScanAlgorithmE1EEfLj64ELj8ELj100EEvPKT0_PS4_S4_.has_dyn_sized_stack, 0
	.set _Z6kernelI14exclusive_scanILN6hipcub18BlockScanAlgorithmE1EEfLj64ELj8ELj100EEvPKT0_PS4_S4_.has_recursion, 0
	.set _Z6kernelI14exclusive_scanILN6hipcub18BlockScanAlgorithmE1EEfLj64ELj8ELj100EEvPKT0_PS4_S4_.has_indirect_call, 0
	.section	.AMDGPU.csdata,"",@progbits
; Kernel info:
; codeLenInByte = 544
; TotalNumSgprs: 25
; NumVgprs: 20
; ScratchSize: 0
; MemoryBound: 0
; FloatMode: 240
; IeeeMode: 1
; LDSByteSize: 4 bytes/workgroup (compile time only)
; SGPRBlocks: 3
; VGPRBlocks: 4
; NumSGPRsForWavesPerEU: 25
; NumVGPRsForWavesPerEU: 20
; Occupancy: 10
; WaveLimiterHint : 0
; COMPUTE_PGM_RSRC2:SCRATCH_EN: 0
; COMPUTE_PGM_RSRC2:USER_SGPR: 6
; COMPUTE_PGM_RSRC2:TRAP_HANDLER: 0
; COMPUTE_PGM_RSRC2:TGID_X_EN: 1
; COMPUTE_PGM_RSRC2:TGID_Y_EN: 0
; COMPUTE_PGM_RSRC2:TGID_Z_EN: 0
; COMPUTE_PGM_RSRC2:TIDIG_COMP_CNT: 0
	.section	.text._Z6kernelI14exclusive_scanILN6hipcub18BlockScanAlgorithmE1EEfLj64ELj11ELj100EEvPKT0_PS4_S4_,"axG",@progbits,_Z6kernelI14exclusive_scanILN6hipcub18BlockScanAlgorithmE1EEfLj64ELj11ELj100EEvPKT0_PS4_S4_,comdat
	.protected	_Z6kernelI14exclusive_scanILN6hipcub18BlockScanAlgorithmE1EEfLj64ELj11ELj100EEvPKT0_PS4_S4_ ; -- Begin function _Z6kernelI14exclusive_scanILN6hipcub18BlockScanAlgorithmE1EEfLj64ELj11ELj100EEvPKT0_PS4_S4_
	.globl	_Z6kernelI14exclusive_scanILN6hipcub18BlockScanAlgorithmE1EEfLj64ELj11ELj100EEvPKT0_PS4_S4_
	.p2align	8
	.type	_Z6kernelI14exclusive_scanILN6hipcub18BlockScanAlgorithmE1EEfLj64ELj11ELj100EEvPKT0_PS4_S4_,@function
_Z6kernelI14exclusive_scanILN6hipcub18BlockScanAlgorithmE1EEfLj64ELj11ELj100EEvPKT0_PS4_S4_: ; @_Z6kernelI14exclusive_scanILN6hipcub18BlockScanAlgorithmE1EEfLj64ELj11ELj100EEvPKT0_PS4_S4_
; %bb.0:
	s_load_dword s0, s[4:5], 0x24
	s_load_dwordx4 s[16:19], s[4:5], 0x0
	s_load_dword s20, s[4:5], 0x10
	v_mov_b32_e32 v18, 0
	v_cmp_eq_u32_e64 s[14:15], 0, v0
	s_waitcnt lgkmcnt(0)
	s_and_b32 s0, s0, 0xffff
	s_mul_i32 s6, s6, s0
	v_add_u32_e32 v1, s6, v0
	v_mul_lo_u32 v17, v1, 11
	v_mov_b32_e32 v2, s17
	v_mov_b32_e32 v25, s17
	v_lshlrev_b64 v[15:16], 2, v[17:18]
	v_add_u32_e32 v1, 1, v17
	v_add_co_u32_e32 v19, vcc, s16, v15
	v_addc_co_u32_e32 v20, vcc, v2, v16, vcc
	v_mov_b32_e32 v2, v18
	v_lshlrev_b64 v[13:14], 2, v[1:2]
	v_mov_b32_e32 v1, s17
	v_add_co_u32_e32 v21, vcc, s16, v13
	v_addc_co_u32_e32 v22, vcc, v1, v14, vcc
	v_add_u32_e32 v1, 2, v17
	v_lshlrev_b64 v[11:12], 2, v[1:2]
	v_mov_b32_e32 v1, s17
	v_add_co_u32_e32 v23, vcc, s16, v11
	v_addc_co_u32_e32 v24, vcc, v1, v12, vcc
	v_add_u32_e32 v1, 3, v17
	;; [unrolled: 5-line block ×6, first 2 shown]
	v_lshlrev_b64 v[1:2], 2, v[1:2]
	v_add_co_u32_e32 v41, vcc, s16, v1
	v_addc_co_u32_e32 v42, vcc, v25, v2, vcc
	global_load_dword v32, v[19:20], off
	global_load_dword v30, v[21:22], off
	;; [unrolled: 1-line block ×5, first 2 shown]
                                        ; kill: killed $vgpr21 killed $vgpr22
                                        ; kill: killed $vgpr23 killed $vgpr24
                                        ; kill: killed $vgpr35 killed $vgpr36
                                        ; kill: killed $vgpr19 killed $vgpr20
                                        ; kill: killed $vgpr33 killed $vgpr34
	global_load_dword v31, v[37:38], off
	global_load_dword v29, v[39:40], off
	;; [unrolled: 1-line block ×3, first 2 shown]
	v_add_u32_e32 v19, 8, v17
	v_mov_b32_e32 v20, v18
	v_lshlrev_b64 v[23:24], 2, v[19:20]
	v_mov_b32_e32 v19, s17
	v_add_co_u32_e32 v35, vcc, s16, v23
	v_addc_co_u32_e32 v36, vcc, v19, v24, vcc
	v_add_u32_e32 v19, 9, v17
	v_lshlrev_b64 v[21:22], 2, v[19:20]
	v_mov_b32_e32 v19, s17
	v_add_co_u32_e32 v37, vcc, s16, v21
	v_add_u32_e32 v17, 10, v17
	v_addc_co_u32_e32 v38, vcc, v19, v22, vcc
	v_lshlrev_b64 v[19:20], 2, v[17:18]
	v_mov_b32_e32 v33, s17
	v_add_co_u32_e32 v39, vcc, s16, v19
	v_addc_co_u32_e32 v40, vcc, v33, v20, vcc
	global_load_dword v34, v[35:36], off
	global_load_dword v33, v[37:38], off
                                        ; kill: killed $vgpr37 killed $vgpr38
                                        ; kill: killed $vgpr35 killed $vgpr36
	global_load_dword v17, v[39:40], off
	v_mbcnt_lo_u32_b32 v35, -1, 0
	v_mbcnt_hi_u32_b32 v35, -1, v35
	v_and_b32_e32 v36, 15, v35
	v_cmp_eq_u32_e32 vcc, 0, v36
	v_cmp_lt_u32_e64 s[0:1], 1, v36
	v_cmp_lt_u32_e64 s[2:3], 3, v36
	;; [unrolled: 1-line block ×3, first 2 shown]
	v_and_b32_e32 v36, 16, v35
	v_cmp_eq_u32_e64 s[6:7], 0, v36
	v_subrev_co_u32_e64 v36, s[12:13], 1, v35
	v_and_b32_e32 v37, 64, v35
	v_cmp_lt_i32_e64 s[10:11], v36, v37
	v_cmp_lt_u32_e64 s[8:9], 31, v35
	v_cndmask_b32_e64 v35, v36, v35, s[10:11]
	v_cmp_eq_u32_e64 s[10:11], 63, v0
	v_lshlrev_b32_e32 v0, 2, v35
	s_or_b64 s[12:13], s[14:15], s[12:13]
	s_movk_i32 s16, 0x64
.LBB118_1:                              ; =>This Inner Loop Header: Depth=1
	s_waitcnt vmcnt(9)
	v_add_f32_e32 v35, v30, v32
	s_waitcnt vmcnt(8)
	v_add_f32_e32 v35, v28, v35
	;; [unrolled: 2-line block ×10, first 2 shown]
	s_nop 1
	v_mov_b32_dpp v35, v17 row_shr:1 row_mask:0xf bank_mask:0xf
	v_add_f32_e32 v35, v17, v35
	v_cndmask_b32_e32 v17, v35, v17, vcc
	s_nop 1
	v_mov_b32_dpp v35, v17 row_shr:2 row_mask:0xf bank_mask:0xf
	v_add_f32_e32 v35, v17, v35
	v_cndmask_b32_e64 v17, v17, v35, s[0:1]
	s_nop 1
	v_mov_b32_dpp v35, v17 row_shr:4 row_mask:0xf bank_mask:0xf
	v_add_f32_e32 v35, v17, v35
	v_cndmask_b32_e64 v17, v17, v35, s[2:3]
	;; [unrolled: 4-line block ×3, first 2 shown]
	s_nop 1
	v_mov_b32_dpp v35, v17 row_bcast:15 row_mask:0xf bank_mask:0xf
	v_add_f32_e32 v35, v17, v35
	v_cndmask_b32_e64 v17, v35, v17, s[6:7]
	s_nop 1
	v_mov_b32_dpp v35, v17 row_bcast:31 row_mask:0xf bank_mask:0xf
	v_add_f32_e32 v35, v17, v35
	v_cndmask_b32_e64 v17, v17, v35, s[8:9]
	s_and_saveexec_b64 s[14:15], s[10:11]
; %bb.2:                                ;   in Loop: Header=BB118_1 Depth=1
	ds_write_b32 v18, v17
; %bb.3:                                ;   in Loop: Header=BB118_1 Depth=1
	s_or_b64 exec, exec, s[14:15]
	v_add_f32_e32 v17, s20, v17
	ds_bpermute_b32 v17, v0, v17
	v_mov_b32_e32 v35, s20
	s_add_i32 s16, s16, -1
	s_cmp_lg_u32 s16, 0
	s_waitcnt lgkmcnt(0)
	v_cndmask_b32_e64 v39, v17, v35, s[12:13]
	v_add_f32_e32 v38, v32, v39
	v_add_f32_e32 v37, v30, v38
	;; [unrolled: 1-line block ×10, first 2 shown]
	; wave barrier
	s_cbranch_scc0 .LBB118_5
; %bb.4:                                ;   in Loop: Header=BB118_1 Depth=1
	v_mov_b32_e32 v33, v25
	v_mov_b32_e32 v34, v26
	;; [unrolled: 1-line block ×10, first 2 shown]
	s_branch .LBB118_1
.LBB118_5:
	v_mov_b32_e32 v0, s19
	v_add_co_u32_e32 v15, vcc, s18, v15
	v_addc_co_u32_e32 v16, vcc, v0, v16, vcc
	v_add_co_u32_e32 v13, vcc, s18, v13
	v_addc_co_u32_e32 v14, vcc, v0, v14, vcc
	v_add_co_u32_e32 v11, vcc, s18, v11
	v_addc_co_u32_e32 v12, vcc, v0, v12, vcc
	v_add_co_u32_e32 v9, vcc, s18, v9
	v_addc_co_u32_e32 v10, vcc, v0, v10, vcc
	v_add_co_u32_e32 v7, vcc, s18, v7
	v_addc_co_u32_e32 v8, vcc, v0, v8, vcc
	v_add_co_u32_e32 v5, vcc, s18, v5
	v_addc_co_u32_e32 v6, vcc, v0, v6, vcc
	v_add_co_u32_e32 v3, vcc, s18, v3
	v_addc_co_u32_e32 v4, vcc, v0, v4, vcc
	global_store_dword v[3:4], v30, off
	v_mov_b32_e32 v3, s19
	v_add_co_u32_e32 v0, vcc, s18, v1
	v_addc_co_u32_e32 v1, vcc, v3, v2, vcc
	global_store_dword v[0:1], v28, off
	v_mov_b32_e32 v1, s19
	v_add_co_u32_e32 v0, vcc, s18, v23
	v_addc_co_u32_e32 v1, vcc, v1, v24, vcc
	;; [unrolled: 4-line block ×4, first 2 shown]
	global_store_dword v[15:16], v39, off
	global_store_dword v[13:14], v38, off
	;; [unrolled: 1-line block ×7, first 2 shown]
	s_endpgm
	.section	.rodata,"a",@progbits
	.p2align	6, 0x0
	.amdhsa_kernel _Z6kernelI14exclusive_scanILN6hipcub18BlockScanAlgorithmE1EEfLj64ELj11ELj100EEvPKT0_PS4_S4_
		.amdhsa_group_segment_fixed_size 4
		.amdhsa_private_segment_fixed_size 0
		.amdhsa_kernarg_size 280
		.amdhsa_user_sgpr_count 6
		.amdhsa_user_sgpr_private_segment_buffer 1
		.amdhsa_user_sgpr_dispatch_ptr 0
		.amdhsa_user_sgpr_queue_ptr 0
		.amdhsa_user_sgpr_kernarg_segment_ptr 1
		.amdhsa_user_sgpr_dispatch_id 0
		.amdhsa_user_sgpr_flat_scratch_init 0
		.amdhsa_user_sgpr_private_segment_size 0
		.amdhsa_uses_dynamic_stack 0
		.amdhsa_system_sgpr_private_segment_wavefront_offset 0
		.amdhsa_system_sgpr_workgroup_id_x 1
		.amdhsa_system_sgpr_workgroup_id_y 0
		.amdhsa_system_sgpr_workgroup_id_z 0
		.amdhsa_system_sgpr_workgroup_info 0
		.amdhsa_system_vgpr_workitem_id 0
		.amdhsa_next_free_vgpr 43
		.amdhsa_next_free_sgpr 21
		.amdhsa_reserve_vcc 1
		.amdhsa_reserve_flat_scratch 0
		.amdhsa_float_round_mode_32 0
		.amdhsa_float_round_mode_16_64 0
		.amdhsa_float_denorm_mode_32 3
		.amdhsa_float_denorm_mode_16_64 3
		.amdhsa_dx10_clamp 1
		.amdhsa_ieee_mode 1
		.amdhsa_fp16_overflow 0
		.amdhsa_exception_fp_ieee_invalid_op 0
		.amdhsa_exception_fp_denorm_src 0
		.amdhsa_exception_fp_ieee_div_zero 0
		.amdhsa_exception_fp_ieee_overflow 0
		.amdhsa_exception_fp_ieee_underflow 0
		.amdhsa_exception_fp_ieee_inexact 0
		.amdhsa_exception_int_div_zero 0
	.end_amdhsa_kernel
	.section	.text._Z6kernelI14exclusive_scanILN6hipcub18BlockScanAlgorithmE1EEfLj64ELj11ELj100EEvPKT0_PS4_S4_,"axG",@progbits,_Z6kernelI14exclusive_scanILN6hipcub18BlockScanAlgorithmE1EEfLj64ELj11ELj100EEvPKT0_PS4_S4_,comdat
.Lfunc_end118:
	.size	_Z6kernelI14exclusive_scanILN6hipcub18BlockScanAlgorithmE1EEfLj64ELj11ELj100EEvPKT0_PS4_S4_, .Lfunc_end118-_Z6kernelI14exclusive_scanILN6hipcub18BlockScanAlgorithmE1EEfLj64ELj11ELj100EEvPKT0_PS4_S4_
                                        ; -- End function
	.set _Z6kernelI14exclusive_scanILN6hipcub18BlockScanAlgorithmE1EEfLj64ELj11ELj100EEvPKT0_PS4_S4_.num_vgpr, 43
	.set _Z6kernelI14exclusive_scanILN6hipcub18BlockScanAlgorithmE1EEfLj64ELj11ELj100EEvPKT0_PS4_S4_.num_agpr, 0
	.set _Z6kernelI14exclusive_scanILN6hipcub18BlockScanAlgorithmE1EEfLj64ELj11ELj100EEvPKT0_PS4_S4_.numbered_sgpr, 21
	.set _Z6kernelI14exclusive_scanILN6hipcub18BlockScanAlgorithmE1EEfLj64ELj11ELj100EEvPKT0_PS4_S4_.num_named_barrier, 0
	.set _Z6kernelI14exclusive_scanILN6hipcub18BlockScanAlgorithmE1EEfLj64ELj11ELj100EEvPKT0_PS4_S4_.private_seg_size, 0
	.set _Z6kernelI14exclusive_scanILN6hipcub18BlockScanAlgorithmE1EEfLj64ELj11ELj100EEvPKT0_PS4_S4_.uses_vcc, 1
	.set _Z6kernelI14exclusive_scanILN6hipcub18BlockScanAlgorithmE1EEfLj64ELj11ELj100EEvPKT0_PS4_S4_.uses_flat_scratch, 0
	.set _Z6kernelI14exclusive_scanILN6hipcub18BlockScanAlgorithmE1EEfLj64ELj11ELj100EEvPKT0_PS4_S4_.has_dyn_sized_stack, 0
	.set _Z6kernelI14exclusive_scanILN6hipcub18BlockScanAlgorithmE1EEfLj64ELj11ELj100EEvPKT0_PS4_S4_.has_recursion, 0
	.set _Z6kernelI14exclusive_scanILN6hipcub18BlockScanAlgorithmE1EEfLj64ELj11ELj100EEvPKT0_PS4_S4_.has_indirect_call, 0
	.section	.AMDGPU.csdata,"",@progbits
; Kernel info:
; codeLenInByte = 1096
; TotalNumSgprs: 25
; NumVgprs: 43
; ScratchSize: 0
; MemoryBound: 0
; FloatMode: 240
; IeeeMode: 1
; LDSByteSize: 4 bytes/workgroup (compile time only)
; SGPRBlocks: 3
; VGPRBlocks: 10
; NumSGPRsForWavesPerEU: 25
; NumVGPRsForWavesPerEU: 43
; Occupancy: 5
; WaveLimiterHint : 0
; COMPUTE_PGM_RSRC2:SCRATCH_EN: 0
; COMPUTE_PGM_RSRC2:USER_SGPR: 6
; COMPUTE_PGM_RSRC2:TRAP_HANDLER: 0
; COMPUTE_PGM_RSRC2:TGID_X_EN: 1
; COMPUTE_PGM_RSRC2:TGID_Y_EN: 0
; COMPUTE_PGM_RSRC2:TGID_Z_EN: 0
; COMPUTE_PGM_RSRC2:TIDIG_COMP_CNT: 0
	.section	.text._Z6kernelI14exclusive_scanILN6hipcub18BlockScanAlgorithmE1EEfLj64ELj16ELj100EEvPKT0_PS4_S4_,"axG",@progbits,_Z6kernelI14exclusive_scanILN6hipcub18BlockScanAlgorithmE1EEfLj64ELj16ELj100EEvPKT0_PS4_S4_,comdat
	.protected	_Z6kernelI14exclusive_scanILN6hipcub18BlockScanAlgorithmE1EEfLj64ELj16ELj100EEvPKT0_PS4_S4_ ; -- Begin function _Z6kernelI14exclusive_scanILN6hipcub18BlockScanAlgorithmE1EEfLj64ELj16ELj100EEvPKT0_PS4_S4_
	.globl	_Z6kernelI14exclusive_scanILN6hipcub18BlockScanAlgorithmE1EEfLj64ELj16ELj100EEvPKT0_PS4_S4_
	.p2align	8
	.type	_Z6kernelI14exclusive_scanILN6hipcub18BlockScanAlgorithmE1EEfLj64ELj16ELj100EEvPKT0_PS4_S4_,@function
_Z6kernelI14exclusive_scanILN6hipcub18BlockScanAlgorithmE1EEfLj64ELj16ELj100EEvPKT0_PS4_S4_: ; @_Z6kernelI14exclusive_scanILN6hipcub18BlockScanAlgorithmE1EEfLj64ELj16ELj100EEvPKT0_PS4_S4_
; %bb.0:
	s_load_dword s0, s[4:5], 0x24
	s_load_dwordx4 s[16:19], s[4:5], 0x0
	s_load_dword s20, s[4:5], 0x10
	v_mov_b32_e32 v22, 0
	v_cmp_eq_u32_e64 s[10:11], 63, v0
	s_waitcnt lgkmcnt(0)
	s_and_b32 s0, s0, 0xffff
	s_mul_i32 s6, s6, s0
	v_add_lshl_u32 v21, s6, v0, 4
	v_lshlrev_b64 v[20:21], 2, v[21:22]
	v_mov_b32_e32 v1, s17
	v_add_co_u32_e32 v16, vcc, s16, v20
	v_addc_co_u32_e32 v17, vcc, v1, v21, vcc
	v_mbcnt_lo_u32_b32 v1, -1, 0
	v_mbcnt_hi_u32_b32 v1, -1, v1
	v_and_b32_e32 v2, 15, v1
	v_cmp_eq_u32_e32 vcc, 0, v2
	v_cmp_lt_u32_e64 s[0:1], 1, v2
	v_cmp_lt_u32_e64 s[2:3], 3, v2
	;; [unrolled: 1-line block ×3, first 2 shown]
	v_and_b32_e32 v2, 16, v1
	v_cmp_eq_u32_e64 s[6:7], 0, v2
	v_subrev_co_u32_e64 v2, s[12:13], 1, v1
	v_and_b32_e32 v3, 64, v1
	v_cmp_lt_i32_e64 s[14:15], v2, v3
	v_cmp_lt_u32_e64 s[8:9], 31, v1
	v_cndmask_b32_e64 v1, v2, v1, s[14:15]
	global_load_dwordx4 v[8:11], v[16:17], off
	global_load_dwordx4 v[4:7], v[16:17], off offset:16
	v_lshlrev_b32_e32 v23, 2, v1
	v_cmp_eq_u32_e64 s[14:15], 0, v0
	global_load_dwordx4 v[12:15], v[16:17], off offset:32
	global_load_dwordx4 v[0:3], v[16:17], off offset:48
	s_or_b64 s[12:13], s[14:15], s[12:13]
	s_movk_i32 s16, 0x64
.LBB119_1:                              ; =>This Inner Loop Header: Depth=1
	s_waitcnt vmcnt(3)
	v_add_f32_e32 v16, v9, v8
	v_add_f32_e32 v16, v10, v16
	v_add_f32_e32 v16, v11, v16
	s_waitcnt vmcnt(2)
	v_add_f32_e32 v16, v4, v16
	v_add_f32_e32 v16, v5, v16
	v_add_f32_e32 v16, v6, v16
	v_add_f32_e32 v16, v7, v16
	s_waitcnt vmcnt(1)
	v_add_f32_e32 v16, v12, v16
	;; [unrolled: 5-line block ×3, first 2 shown]
	v_add_f32_e32 v16, v1, v16
	v_add_f32_e32 v16, v2, v16
	;; [unrolled: 1-line block ×3, first 2 shown]
	s_nop 1
	v_mov_b32_dpp v16, v3 row_shr:1 row_mask:0xf bank_mask:0xf
	v_add_f32_e32 v16, v3, v16
	v_cndmask_b32_e32 v3, v16, v3, vcc
	s_nop 1
	v_mov_b32_dpp v16, v3 row_shr:2 row_mask:0xf bank_mask:0xf
	v_add_f32_e32 v16, v3, v16
	v_cndmask_b32_e64 v3, v3, v16, s[0:1]
	s_nop 1
	v_mov_b32_dpp v16, v3 row_shr:4 row_mask:0xf bank_mask:0xf
	v_add_f32_e32 v16, v3, v16
	v_cndmask_b32_e64 v3, v3, v16, s[2:3]
	;; [unrolled: 4-line block ×3, first 2 shown]
	s_nop 1
	v_mov_b32_dpp v16, v3 row_bcast:15 row_mask:0xf bank_mask:0xf
	v_add_f32_e32 v16, v3, v16
	v_cndmask_b32_e64 v3, v16, v3, s[6:7]
	s_nop 1
	v_mov_b32_dpp v16, v3 row_bcast:31 row_mask:0xf bank_mask:0xf
	v_add_f32_e32 v16, v3, v16
	v_cndmask_b32_e64 v3, v3, v16, s[8:9]
	s_and_saveexec_b64 s[14:15], s[10:11]
; %bb.2:                                ;   in Loop: Header=BB119_1 Depth=1
	ds_write_b32 v22, v3
; %bb.3:                                ;   in Loop: Header=BB119_1 Depth=1
	s_or_b64 exec, exec, s[14:15]
	v_add_f32_e32 v3, s20, v3
	ds_bpermute_b32 v3, v23, v3
	v_mov_b32_e32 v16, s20
	s_add_i32 s16, s16, -1
	s_cmp_lg_u32 s16, 0
	s_waitcnt lgkmcnt(0)
	v_cndmask_b32_e64 v16, v3, v16, s[12:13]
	v_add_f32_e32 v17, v8, v16
	v_add_f32_e32 v18, v9, v17
	;; [unrolled: 1-line block ×15, first 2 shown]
	; wave barrier
	s_cbranch_scc0 .LBB119_5
; %bb.4:                                ;   in Loop: Header=BB119_1 Depth=1
	v_mov_b32_e32 v2, v14
	v_mov_b32_e32 v1, v13
	;; [unrolled: 1-line block ×15, first 2 shown]
	s_branch .LBB119_1
.LBB119_5:
	v_mov_b32_e32 v1, s19
	v_add_co_u32_e32 v0, vcc, s18, v20
	v_addc_co_u32_e32 v1, vcc, v1, v21, vcc
	v_mov_b32_e32 v15, v3
	global_store_dwordx4 v[0:1], v[16:19], off
	global_store_dwordx4 v[0:1], v[8:11], off offset:16
	global_store_dwordx4 v[0:1], v[4:7], off offset:32
	;; [unrolled: 1-line block ×3, first 2 shown]
	s_endpgm
	.section	.rodata,"a",@progbits
	.p2align	6, 0x0
	.amdhsa_kernel _Z6kernelI14exclusive_scanILN6hipcub18BlockScanAlgorithmE1EEfLj64ELj16ELj100EEvPKT0_PS4_S4_
		.amdhsa_group_segment_fixed_size 4
		.amdhsa_private_segment_fixed_size 0
		.amdhsa_kernarg_size 280
		.amdhsa_user_sgpr_count 6
		.amdhsa_user_sgpr_private_segment_buffer 1
		.amdhsa_user_sgpr_dispatch_ptr 0
		.amdhsa_user_sgpr_queue_ptr 0
		.amdhsa_user_sgpr_kernarg_segment_ptr 1
		.amdhsa_user_sgpr_dispatch_id 0
		.amdhsa_user_sgpr_flat_scratch_init 0
		.amdhsa_user_sgpr_private_segment_size 0
		.amdhsa_uses_dynamic_stack 0
		.amdhsa_system_sgpr_private_segment_wavefront_offset 0
		.amdhsa_system_sgpr_workgroup_id_x 1
		.amdhsa_system_sgpr_workgroup_id_y 0
		.amdhsa_system_sgpr_workgroup_id_z 0
		.amdhsa_system_sgpr_workgroup_info 0
		.amdhsa_system_vgpr_workitem_id 0
		.amdhsa_next_free_vgpr 24
		.amdhsa_next_free_sgpr 21
		.amdhsa_reserve_vcc 1
		.amdhsa_reserve_flat_scratch 0
		.amdhsa_float_round_mode_32 0
		.amdhsa_float_round_mode_16_64 0
		.amdhsa_float_denorm_mode_32 3
		.amdhsa_float_denorm_mode_16_64 3
		.amdhsa_dx10_clamp 1
		.amdhsa_ieee_mode 1
		.amdhsa_fp16_overflow 0
		.amdhsa_exception_fp_ieee_invalid_op 0
		.amdhsa_exception_fp_denorm_src 0
		.amdhsa_exception_fp_ieee_div_zero 0
		.amdhsa_exception_fp_ieee_overflow 0
		.amdhsa_exception_fp_ieee_underflow 0
		.amdhsa_exception_fp_ieee_inexact 0
		.amdhsa_exception_int_div_zero 0
	.end_amdhsa_kernel
	.section	.text._Z6kernelI14exclusive_scanILN6hipcub18BlockScanAlgorithmE1EEfLj64ELj16ELj100EEvPKT0_PS4_S4_,"axG",@progbits,_Z6kernelI14exclusive_scanILN6hipcub18BlockScanAlgorithmE1EEfLj64ELj16ELj100EEvPKT0_PS4_S4_,comdat
.Lfunc_end119:
	.size	_Z6kernelI14exclusive_scanILN6hipcub18BlockScanAlgorithmE1EEfLj64ELj16ELj100EEvPKT0_PS4_S4_, .Lfunc_end119-_Z6kernelI14exclusive_scanILN6hipcub18BlockScanAlgorithmE1EEfLj64ELj16ELj100EEvPKT0_PS4_S4_
                                        ; -- End function
	.set _Z6kernelI14exclusive_scanILN6hipcub18BlockScanAlgorithmE1EEfLj64ELj16ELj100EEvPKT0_PS4_S4_.num_vgpr, 24
	.set _Z6kernelI14exclusive_scanILN6hipcub18BlockScanAlgorithmE1EEfLj64ELj16ELj100EEvPKT0_PS4_S4_.num_agpr, 0
	.set _Z6kernelI14exclusive_scanILN6hipcub18BlockScanAlgorithmE1EEfLj64ELj16ELj100EEvPKT0_PS4_S4_.numbered_sgpr, 21
	.set _Z6kernelI14exclusive_scanILN6hipcub18BlockScanAlgorithmE1EEfLj64ELj16ELj100EEvPKT0_PS4_S4_.num_named_barrier, 0
	.set _Z6kernelI14exclusive_scanILN6hipcub18BlockScanAlgorithmE1EEfLj64ELj16ELj100EEvPKT0_PS4_S4_.private_seg_size, 0
	.set _Z6kernelI14exclusive_scanILN6hipcub18BlockScanAlgorithmE1EEfLj64ELj16ELj100EEvPKT0_PS4_S4_.uses_vcc, 1
	.set _Z6kernelI14exclusive_scanILN6hipcub18BlockScanAlgorithmE1EEfLj64ELj16ELj100EEvPKT0_PS4_S4_.uses_flat_scratch, 0
	.set _Z6kernelI14exclusive_scanILN6hipcub18BlockScanAlgorithmE1EEfLj64ELj16ELj100EEvPKT0_PS4_S4_.has_dyn_sized_stack, 0
	.set _Z6kernelI14exclusive_scanILN6hipcub18BlockScanAlgorithmE1EEfLj64ELj16ELj100EEvPKT0_PS4_S4_.has_recursion, 0
	.set _Z6kernelI14exclusive_scanILN6hipcub18BlockScanAlgorithmE1EEfLj64ELj16ELj100EEvPKT0_PS4_S4_.has_indirect_call, 0
	.section	.AMDGPU.csdata,"",@progbits
; Kernel info:
; codeLenInByte = 676
; TotalNumSgprs: 25
; NumVgprs: 24
; ScratchSize: 0
; MemoryBound: 0
; FloatMode: 240
; IeeeMode: 1
; LDSByteSize: 4 bytes/workgroup (compile time only)
; SGPRBlocks: 3
; VGPRBlocks: 5
; NumSGPRsForWavesPerEU: 25
; NumVGPRsForWavesPerEU: 24
; Occupancy: 10
; WaveLimiterHint : 0
; COMPUTE_PGM_RSRC2:SCRATCH_EN: 0
; COMPUTE_PGM_RSRC2:USER_SGPR: 6
; COMPUTE_PGM_RSRC2:TRAP_HANDLER: 0
; COMPUTE_PGM_RSRC2:TGID_X_EN: 1
; COMPUTE_PGM_RSRC2:TGID_Y_EN: 0
; COMPUTE_PGM_RSRC2:TGID_Z_EN: 0
; COMPUTE_PGM_RSRC2:TIDIG_COMP_CNT: 0
	.section	.text._Z6kernelI14exclusive_scanILN6hipcub18BlockScanAlgorithmE1EEdLj64ELj1ELj100EEvPKT0_PS4_S4_,"axG",@progbits,_Z6kernelI14exclusive_scanILN6hipcub18BlockScanAlgorithmE1EEdLj64ELj1ELj100EEvPKT0_PS4_S4_,comdat
	.protected	_Z6kernelI14exclusive_scanILN6hipcub18BlockScanAlgorithmE1EEdLj64ELj1ELj100EEvPKT0_PS4_S4_ ; -- Begin function _Z6kernelI14exclusive_scanILN6hipcub18BlockScanAlgorithmE1EEdLj64ELj1ELj100EEvPKT0_PS4_S4_
	.globl	_Z6kernelI14exclusive_scanILN6hipcub18BlockScanAlgorithmE1EEdLj64ELj1ELj100EEvPKT0_PS4_S4_
	.p2align	8
	.type	_Z6kernelI14exclusive_scanILN6hipcub18BlockScanAlgorithmE1EEdLj64ELj1ELj100EEvPKT0_PS4_S4_,@function
_Z6kernelI14exclusive_scanILN6hipcub18BlockScanAlgorithmE1EEdLj64ELj1ELj100EEvPKT0_PS4_S4_: ; @_Z6kernelI14exclusive_scanILN6hipcub18BlockScanAlgorithmE1EEdLj64ELj1ELj100EEvPKT0_PS4_S4_
; %bb.0:
	s_load_dword s0, s[4:5], 0x24
	s_load_dwordx4 s[16:19], s[4:5], 0x0
	s_load_dwordx2 s[20:21], s[4:5], 0x10
	v_mov_b32_e32 v3, 0
	v_mbcnt_lo_u32_b32 v6, -1, 0
	s_waitcnt lgkmcnt(0)
	s_and_b32 s0, s0, 0xffff
	s_mul_i32 s6, s6, s0
	v_add_u32_e32 v2, s6, v0
	v_lshlrev_b64 v[1:2], 3, v[2:3]
	v_mov_b32_e32 v5, s17
	v_add_co_u32_e32 v4, vcc, s16, v1
	v_addc_co_u32_e32 v5, vcc, v5, v2, vcc
	global_load_dwordx2 v[4:5], v[4:5], off
	v_mbcnt_hi_u32_b32 v6, -1, v6
	v_and_b32_e32 v7, 15, v6
	v_cmp_ne_u32_e32 vcc, 0, v7
	v_cmp_lt_u32_e64 s[0:1], 1, v7
	v_cmp_lt_u32_e64 s[2:3], 3, v7
	;; [unrolled: 1-line block ×3, first 2 shown]
	v_and_b32_e32 v7, 16, v6
	v_cmp_ne_u32_e64 s[6:7], 0, v7
	v_cmp_eq_u32_e64 s[10:11], 63, v0
	v_subrev_co_u32_e64 v0, s[12:13], 1, v6
	v_and_b32_e32 v7, 64, v6
	v_cmp_lt_i32_e64 s[14:15], v0, v7
	v_cndmask_b32_e64 v0, v0, v6, s[14:15]
	v_cmp_lt_u32_e64 s[8:9], 31, v6
	v_lshlrev_b32_e32 v0, 2, v0
	s_movk_i32 s16, 0x64
	s_branch .LBB120_2
.LBB120_1:                              ;   in Loop: Header=BB120_2 Depth=1
	s_or_b64 exec, exec, s[14:15]
	v_add_f64 v[4:5], s[20:21], v[4:5]
	v_mov_b32_e32 v6, s21
	v_mov_b32_e32 v7, s20
	s_add_i32 s16, s16, -1
	s_cmp_lg_u32 s16, 0
	s_waitcnt lgkmcnt(0)
	; wave barrier
	ds_bpermute_b32 v5, v0, v5
	ds_bpermute_b32 v4, v0, v4
	s_waitcnt lgkmcnt(1)
	v_cndmask_b32_e64 v5, v5, v6, s[12:13]
	s_waitcnt lgkmcnt(0)
	v_cndmask_b32_e64 v4, v4, v7, s[12:13]
	s_cbranch_scc0 .LBB120_14
.LBB120_2:                              ; =>This Inner Loop Header: Depth=1
	s_waitcnt vmcnt(0)
	v_mov_b32_dpp v6, v4 row_shr:1 row_mask:0xf bank_mask:0xf
	v_mov_b32_dpp v7, v5 row_shr:1 row_mask:0xf bank_mask:0xf
	s_and_saveexec_b64 s[14:15], vcc
; %bb.3:                                ;   in Loop: Header=BB120_2 Depth=1
	v_add_f64 v[4:5], v[4:5], v[6:7]
; %bb.4:                                ;   in Loop: Header=BB120_2 Depth=1
	s_or_b64 exec, exec, s[14:15]
	s_nop 0
	v_mov_b32_dpp v6, v4 row_shr:2 row_mask:0xf bank_mask:0xf
	v_mov_b32_dpp v7, v5 row_shr:2 row_mask:0xf bank_mask:0xf
	s_and_saveexec_b64 s[14:15], s[0:1]
; %bb.5:                                ;   in Loop: Header=BB120_2 Depth=1
	v_add_f64 v[4:5], v[4:5], v[6:7]
; %bb.6:                                ;   in Loop: Header=BB120_2 Depth=1
	s_or_b64 exec, exec, s[14:15]
	s_nop 0
	v_mov_b32_dpp v6, v4 row_shr:4 row_mask:0xf bank_mask:0xf
	v_mov_b32_dpp v7, v5 row_shr:4 row_mask:0xf bank_mask:0xf
	s_and_saveexec_b64 s[14:15], s[2:3]
	;; [unrolled: 8-line block ×3, first 2 shown]
; %bb.9:                                ;   in Loop: Header=BB120_2 Depth=1
	v_add_f64 v[4:5], v[4:5], v[6:7]
; %bb.10:                               ;   in Loop: Header=BB120_2 Depth=1
	s_or_b64 exec, exec, s[14:15]
	s_nop 0
	v_mov_b32_dpp v6, v4 row_bcast:15 row_mask:0xf bank_mask:0xf
	v_mov_b32_dpp v7, v5 row_bcast:15 row_mask:0xf bank_mask:0xf
	s_and_saveexec_b64 s[14:15], s[6:7]
; %bb.11:                               ;   in Loop: Header=BB120_2 Depth=1
	v_add_f64 v[4:5], v[4:5], v[6:7]
; %bb.12:                               ;   in Loop: Header=BB120_2 Depth=1
	s_or_b64 exec, exec, s[14:15]
	s_nop 0
	v_mov_b32_dpp v6, v4 row_bcast:31 row_mask:0xf bank_mask:0xf
	v_mov_b32_dpp v7, v5 row_bcast:31 row_mask:0xf bank_mask:0xf
	v_add_f64 v[6:7], v[4:5], v[6:7]
	v_cndmask_b32_e64 v5, v5, v7, s[8:9]
	v_cndmask_b32_e64 v4, v4, v6, s[8:9]
	s_and_saveexec_b64 s[14:15], s[10:11]
	s_cbranch_execz .LBB120_1
; %bb.13:                               ;   in Loop: Header=BB120_2 Depth=1
	ds_write_b64 v3, v[4:5]
	s_branch .LBB120_1
.LBB120_14:
	v_mov_b32_e32 v3, s19
	v_add_co_u32_e32 v0, vcc, s18, v1
	v_addc_co_u32_e32 v1, vcc, v3, v2, vcc
	global_store_dwordx2 v[0:1], v[4:5], off
	s_endpgm
	.section	.rodata,"a",@progbits
	.p2align	6, 0x0
	.amdhsa_kernel _Z6kernelI14exclusive_scanILN6hipcub18BlockScanAlgorithmE1EEdLj64ELj1ELj100EEvPKT0_PS4_S4_
		.amdhsa_group_segment_fixed_size 8
		.amdhsa_private_segment_fixed_size 0
		.amdhsa_kernarg_size 280
		.amdhsa_user_sgpr_count 6
		.amdhsa_user_sgpr_private_segment_buffer 1
		.amdhsa_user_sgpr_dispatch_ptr 0
		.amdhsa_user_sgpr_queue_ptr 0
		.amdhsa_user_sgpr_kernarg_segment_ptr 1
		.amdhsa_user_sgpr_dispatch_id 0
		.amdhsa_user_sgpr_flat_scratch_init 0
		.amdhsa_user_sgpr_private_segment_size 0
		.amdhsa_uses_dynamic_stack 0
		.amdhsa_system_sgpr_private_segment_wavefront_offset 0
		.amdhsa_system_sgpr_workgroup_id_x 1
		.amdhsa_system_sgpr_workgroup_id_y 0
		.amdhsa_system_sgpr_workgroup_id_z 0
		.amdhsa_system_sgpr_workgroup_info 0
		.amdhsa_system_vgpr_workitem_id 0
		.amdhsa_next_free_vgpr 8
		.amdhsa_next_free_sgpr 22
		.amdhsa_reserve_vcc 1
		.amdhsa_reserve_flat_scratch 0
		.amdhsa_float_round_mode_32 0
		.amdhsa_float_round_mode_16_64 0
		.amdhsa_float_denorm_mode_32 3
		.amdhsa_float_denorm_mode_16_64 3
		.amdhsa_dx10_clamp 1
		.amdhsa_ieee_mode 1
		.amdhsa_fp16_overflow 0
		.amdhsa_exception_fp_ieee_invalid_op 0
		.amdhsa_exception_fp_denorm_src 0
		.amdhsa_exception_fp_ieee_div_zero 0
		.amdhsa_exception_fp_ieee_overflow 0
		.amdhsa_exception_fp_ieee_underflow 0
		.amdhsa_exception_fp_ieee_inexact 0
		.amdhsa_exception_int_div_zero 0
	.end_amdhsa_kernel
	.section	.text._Z6kernelI14exclusive_scanILN6hipcub18BlockScanAlgorithmE1EEdLj64ELj1ELj100EEvPKT0_PS4_S4_,"axG",@progbits,_Z6kernelI14exclusive_scanILN6hipcub18BlockScanAlgorithmE1EEdLj64ELj1ELj100EEvPKT0_PS4_S4_,comdat
.Lfunc_end120:
	.size	_Z6kernelI14exclusive_scanILN6hipcub18BlockScanAlgorithmE1EEdLj64ELj1ELj100EEvPKT0_PS4_S4_, .Lfunc_end120-_Z6kernelI14exclusive_scanILN6hipcub18BlockScanAlgorithmE1EEdLj64ELj1ELj100EEvPKT0_PS4_S4_
                                        ; -- End function
	.set _Z6kernelI14exclusive_scanILN6hipcub18BlockScanAlgorithmE1EEdLj64ELj1ELj100EEvPKT0_PS4_S4_.num_vgpr, 8
	.set _Z6kernelI14exclusive_scanILN6hipcub18BlockScanAlgorithmE1EEdLj64ELj1ELj100EEvPKT0_PS4_S4_.num_agpr, 0
	.set _Z6kernelI14exclusive_scanILN6hipcub18BlockScanAlgorithmE1EEdLj64ELj1ELj100EEvPKT0_PS4_S4_.numbered_sgpr, 22
	.set _Z6kernelI14exclusive_scanILN6hipcub18BlockScanAlgorithmE1EEdLj64ELj1ELj100EEvPKT0_PS4_S4_.num_named_barrier, 0
	.set _Z6kernelI14exclusive_scanILN6hipcub18BlockScanAlgorithmE1EEdLj64ELj1ELj100EEvPKT0_PS4_S4_.private_seg_size, 0
	.set _Z6kernelI14exclusive_scanILN6hipcub18BlockScanAlgorithmE1EEdLj64ELj1ELj100EEvPKT0_PS4_S4_.uses_vcc, 1
	.set _Z6kernelI14exclusive_scanILN6hipcub18BlockScanAlgorithmE1EEdLj64ELj1ELj100EEvPKT0_PS4_S4_.uses_flat_scratch, 0
	.set _Z6kernelI14exclusive_scanILN6hipcub18BlockScanAlgorithmE1EEdLj64ELj1ELj100EEvPKT0_PS4_S4_.has_dyn_sized_stack, 0
	.set _Z6kernelI14exclusive_scanILN6hipcub18BlockScanAlgorithmE1EEdLj64ELj1ELj100EEvPKT0_PS4_S4_.has_recursion, 0
	.set _Z6kernelI14exclusive_scanILN6hipcub18BlockScanAlgorithmE1EEdLj64ELj1ELj100EEvPKT0_PS4_S4_.has_indirect_call, 0
	.section	.AMDGPU.csdata,"",@progbits
; Kernel info:
; codeLenInByte = 536
; TotalNumSgprs: 26
; NumVgprs: 8
; ScratchSize: 0
; MemoryBound: 0
; FloatMode: 240
; IeeeMode: 1
; LDSByteSize: 8 bytes/workgroup (compile time only)
; SGPRBlocks: 3
; VGPRBlocks: 1
; NumSGPRsForWavesPerEU: 26
; NumVGPRsForWavesPerEU: 8
; Occupancy: 10
; WaveLimiterHint : 0
; COMPUTE_PGM_RSRC2:SCRATCH_EN: 0
; COMPUTE_PGM_RSRC2:USER_SGPR: 6
; COMPUTE_PGM_RSRC2:TRAP_HANDLER: 0
; COMPUTE_PGM_RSRC2:TGID_X_EN: 1
; COMPUTE_PGM_RSRC2:TGID_Y_EN: 0
; COMPUTE_PGM_RSRC2:TGID_Z_EN: 0
; COMPUTE_PGM_RSRC2:TIDIG_COMP_CNT: 0
	.section	.text._Z6kernelI14exclusive_scanILN6hipcub18BlockScanAlgorithmE1EEdLj64ELj3ELj100EEvPKT0_PS4_S4_,"axG",@progbits,_Z6kernelI14exclusive_scanILN6hipcub18BlockScanAlgorithmE1EEdLj64ELj3ELj100EEvPKT0_PS4_S4_,comdat
	.protected	_Z6kernelI14exclusive_scanILN6hipcub18BlockScanAlgorithmE1EEdLj64ELj3ELj100EEvPKT0_PS4_S4_ ; -- Begin function _Z6kernelI14exclusive_scanILN6hipcub18BlockScanAlgorithmE1EEdLj64ELj3ELj100EEvPKT0_PS4_S4_
	.globl	_Z6kernelI14exclusive_scanILN6hipcub18BlockScanAlgorithmE1EEdLj64ELj3ELj100EEvPKT0_PS4_S4_
	.p2align	8
	.type	_Z6kernelI14exclusive_scanILN6hipcub18BlockScanAlgorithmE1EEdLj64ELj3ELj100EEvPKT0_PS4_S4_,@function
_Z6kernelI14exclusive_scanILN6hipcub18BlockScanAlgorithmE1EEdLj64ELj3ELj100EEvPKT0_PS4_S4_: ; @_Z6kernelI14exclusive_scanILN6hipcub18BlockScanAlgorithmE1EEdLj64ELj3ELj100EEvPKT0_PS4_S4_
; %bb.0:
	s_load_dword s0, s[4:5], 0x24
	s_load_dwordx4 s[16:19], s[4:5], 0x0
	s_load_dwordx2 s[20:21], s[4:5], 0x10
	v_mov_b32_e32 v4, 0
	v_mov_b32_e32 v6, v4
	s_waitcnt lgkmcnt(0)
	s_and_b32 s0, s0, 0xffff
	s_mul_i32 s6, s6, s0
	v_add_u32_e32 v1, s6, v0
	v_lshl_add_u32 v3, v1, 1, v1
	v_lshlrev_b64 v[1:2], 3, v[3:4]
	v_mov_b32_e32 v5, s17
	v_add_co_u32_e32 v15, vcc, s16, v1
	v_addc_co_u32_e32 v16, vcc, v5, v2, vcc
	v_add_u32_e32 v5, 1, v3
	v_lshlrev_b64 v[5:6], 3, v[5:6]
	v_mov_b32_e32 v7, s17
	v_add_co_u32_e32 v17, vcc, s16, v5
	v_add_u32_e32 v3, 2, v3
	v_addc_co_u32_e32 v18, vcc, v7, v6, vcc
	v_lshlrev_b64 v[7:8], 3, v[3:4]
	v_mov_b32_e32 v3, s17
	v_add_co_u32_e32 v19, vcc, s16, v7
	v_addc_co_u32_e32 v20, vcc, v3, v8, vcc
	global_load_dwordx2 v[9:10], v[15:16], off
	global_load_dwordx2 v[11:12], v[17:18], off
	global_load_dwordx2 v[13:14], v[19:20], off
	v_mbcnt_lo_u32_b32 v3, -1, 0
	v_mbcnt_hi_u32_b32 v3, -1, v3
	v_and_b32_e32 v15, 15, v3
	v_cmp_ne_u32_e32 vcc, 0, v15
	v_cmp_lt_u32_e64 s[0:1], 1, v15
	v_cmp_lt_u32_e64 s[2:3], 3, v15
	;; [unrolled: 1-line block ×3, first 2 shown]
	v_and_b32_e32 v15, 16, v3
	v_cmp_ne_u32_e64 s[6:7], 0, v15
	v_subrev_co_u32_e64 v15, s[12:13], 1, v3
	v_and_b32_e32 v16, 64, v3
	v_cmp_lt_i32_e64 s[14:15], v15, v16
	v_cmp_lt_u32_e64 s[8:9], 31, v3
	v_cndmask_b32_e64 v3, v15, v3, s[14:15]
	v_cmp_eq_u32_e64 s[14:15], 0, v0
	v_cmp_eq_u32_e64 s[10:11], 63, v0
	v_lshlrev_b32_e32 v3, 2, v3
	s_or_b64 s[12:13], s[14:15], s[12:13]
	s_movk_i32 s16, 0x64
.LBB121_1:                              ; =>This Inner Loop Header: Depth=1
	s_waitcnt vmcnt(1)
	v_add_f64 v[15:16], v[9:10], v[11:12]
	s_waitcnt vmcnt(0)
	v_add_f64 v[13:14], v[13:14], v[15:16]
	s_nop 1
	v_mov_b32_dpp v15, v13 row_shr:1 row_mask:0xf bank_mask:0xf
	v_mov_b32_dpp v16, v14 row_shr:1 row_mask:0xf bank_mask:0xf
	s_and_saveexec_b64 s[14:15], vcc
; %bb.2:                                ;   in Loop: Header=BB121_1 Depth=1
	v_add_f64 v[13:14], v[13:14], v[15:16]
; %bb.3:                                ;   in Loop: Header=BB121_1 Depth=1
	s_or_b64 exec, exec, s[14:15]
	s_nop 0
	v_mov_b32_dpp v15, v13 row_shr:2 row_mask:0xf bank_mask:0xf
	v_mov_b32_dpp v16, v14 row_shr:2 row_mask:0xf bank_mask:0xf
	s_and_saveexec_b64 s[14:15], s[0:1]
; %bb.4:                                ;   in Loop: Header=BB121_1 Depth=1
	v_add_f64 v[13:14], v[13:14], v[15:16]
; %bb.5:                                ;   in Loop: Header=BB121_1 Depth=1
	s_or_b64 exec, exec, s[14:15]
	s_nop 0
	v_mov_b32_dpp v15, v13 row_shr:4 row_mask:0xf bank_mask:0xf
	v_mov_b32_dpp v16, v14 row_shr:4 row_mask:0xf bank_mask:0xf
	s_and_saveexec_b64 s[14:15], s[2:3]
	;; [unrolled: 8-line block ×3, first 2 shown]
; %bb.8:                                ;   in Loop: Header=BB121_1 Depth=1
	v_add_f64 v[13:14], v[13:14], v[15:16]
; %bb.9:                                ;   in Loop: Header=BB121_1 Depth=1
	s_or_b64 exec, exec, s[14:15]
	s_nop 0
	v_mov_b32_dpp v15, v13 row_bcast:15 row_mask:0xf bank_mask:0xf
	v_mov_b32_dpp v16, v14 row_bcast:15 row_mask:0xf bank_mask:0xf
	s_and_saveexec_b64 s[14:15], s[6:7]
; %bb.10:                               ;   in Loop: Header=BB121_1 Depth=1
	v_add_f64 v[13:14], v[13:14], v[15:16]
; %bb.11:                               ;   in Loop: Header=BB121_1 Depth=1
	s_or_b64 exec, exec, s[14:15]
	s_nop 0
	v_mov_b32_dpp v15, v13 row_bcast:31 row_mask:0xf bank_mask:0xf
	v_mov_b32_dpp v16, v14 row_bcast:31 row_mask:0xf bank_mask:0xf
	v_add_f64 v[15:16], v[13:14], v[15:16]
	v_cndmask_b32_e64 v14, v14, v16, s[8:9]
	v_cndmask_b32_e64 v13, v13, v15, s[8:9]
	s_and_saveexec_b64 s[14:15], s[10:11]
; %bb.12:                               ;   in Loop: Header=BB121_1 Depth=1
	ds_write_b64 v4, v[13:14]
; %bb.13:                               ;   in Loop: Header=BB121_1 Depth=1
	s_or_b64 exec, exec, s[14:15]
	v_add_f64 v[13:14], s[20:21], v[13:14]
	v_mov_b32_e32 v15, s20
	s_add_i32 s16, s16, -1
	s_cmp_lg_u32 s16, 0
	s_waitcnt lgkmcnt(0)
	; wave barrier
	ds_bpermute_b32 v0, v3, v14
	ds_bpermute_b32 v13, v3, v13
	v_mov_b32_e32 v14, s21
	s_waitcnt lgkmcnt(1)
	v_cndmask_b32_e64 v18, v0, v14, s[12:13]
	s_waitcnt lgkmcnt(0)
	v_cndmask_b32_e64 v17, v13, v15, s[12:13]
	v_add_f64 v[15:16], v[9:10], v[17:18]
	v_add_f64 v[13:14], v[11:12], v[15:16]
	s_cbranch_scc0 .LBB121_15
; %bb.14:                               ;   in Loop: Header=BB121_1 Depth=1
	v_mov_b32_e32 v9, v17
	v_mov_b32_e32 v11, v15
	;; [unrolled: 1-line block ×4, first 2 shown]
	s_branch .LBB121_1
.LBB121_15:
	v_mov_b32_e32 v3, s19
	v_add_co_u32_e32 v0, vcc, s18, v1
	v_addc_co_u32_e32 v1, vcc, v3, v2, vcc
	global_store_dwordx2 v[0:1], v[17:18], off
	v_mov_b32_e32 v1, s19
	v_add_co_u32_e32 v0, vcc, s18, v5
	v_addc_co_u32_e32 v1, vcc, v1, v6, vcc
	global_store_dwordx2 v[0:1], v[15:16], off
	v_mov_b32_e32 v1, s19
	v_add_co_u32_e32 v0, vcc, s18, v7
	v_addc_co_u32_e32 v1, vcc, v1, v8, vcc
	global_store_dwordx2 v[0:1], v[13:14], off
	s_endpgm
	.section	.rodata,"a",@progbits
	.p2align	6, 0x0
	.amdhsa_kernel _Z6kernelI14exclusive_scanILN6hipcub18BlockScanAlgorithmE1EEdLj64ELj3ELj100EEvPKT0_PS4_S4_
		.amdhsa_group_segment_fixed_size 8
		.amdhsa_private_segment_fixed_size 0
		.amdhsa_kernarg_size 280
		.amdhsa_user_sgpr_count 6
		.amdhsa_user_sgpr_private_segment_buffer 1
		.amdhsa_user_sgpr_dispatch_ptr 0
		.amdhsa_user_sgpr_queue_ptr 0
		.amdhsa_user_sgpr_kernarg_segment_ptr 1
		.amdhsa_user_sgpr_dispatch_id 0
		.amdhsa_user_sgpr_flat_scratch_init 0
		.amdhsa_user_sgpr_private_segment_size 0
		.amdhsa_uses_dynamic_stack 0
		.amdhsa_system_sgpr_private_segment_wavefront_offset 0
		.amdhsa_system_sgpr_workgroup_id_x 1
		.amdhsa_system_sgpr_workgroup_id_y 0
		.amdhsa_system_sgpr_workgroup_id_z 0
		.amdhsa_system_sgpr_workgroup_info 0
		.amdhsa_system_vgpr_workitem_id 0
		.amdhsa_next_free_vgpr 21
		.amdhsa_next_free_sgpr 22
		.amdhsa_reserve_vcc 1
		.amdhsa_reserve_flat_scratch 0
		.amdhsa_float_round_mode_32 0
		.amdhsa_float_round_mode_16_64 0
		.amdhsa_float_denorm_mode_32 3
		.amdhsa_float_denorm_mode_16_64 3
		.amdhsa_dx10_clamp 1
		.amdhsa_ieee_mode 1
		.amdhsa_fp16_overflow 0
		.amdhsa_exception_fp_ieee_invalid_op 0
		.amdhsa_exception_fp_denorm_src 0
		.amdhsa_exception_fp_ieee_div_zero 0
		.amdhsa_exception_fp_ieee_overflow 0
		.amdhsa_exception_fp_ieee_underflow 0
		.amdhsa_exception_fp_ieee_inexact 0
		.amdhsa_exception_int_div_zero 0
	.end_amdhsa_kernel
	.section	.text._Z6kernelI14exclusive_scanILN6hipcub18BlockScanAlgorithmE1EEdLj64ELj3ELj100EEvPKT0_PS4_S4_,"axG",@progbits,_Z6kernelI14exclusive_scanILN6hipcub18BlockScanAlgorithmE1EEdLj64ELj3ELj100EEvPKT0_PS4_S4_,comdat
.Lfunc_end121:
	.size	_Z6kernelI14exclusive_scanILN6hipcub18BlockScanAlgorithmE1EEdLj64ELj3ELj100EEvPKT0_PS4_S4_, .Lfunc_end121-_Z6kernelI14exclusive_scanILN6hipcub18BlockScanAlgorithmE1EEdLj64ELj3ELj100EEvPKT0_PS4_S4_
                                        ; -- End function
	.set _Z6kernelI14exclusive_scanILN6hipcub18BlockScanAlgorithmE1EEdLj64ELj3ELj100EEvPKT0_PS4_S4_.num_vgpr, 21
	.set _Z6kernelI14exclusive_scanILN6hipcub18BlockScanAlgorithmE1EEdLj64ELj3ELj100EEvPKT0_PS4_S4_.num_agpr, 0
	.set _Z6kernelI14exclusive_scanILN6hipcub18BlockScanAlgorithmE1EEdLj64ELj3ELj100EEvPKT0_PS4_S4_.numbered_sgpr, 22
	.set _Z6kernelI14exclusive_scanILN6hipcub18BlockScanAlgorithmE1EEdLj64ELj3ELj100EEvPKT0_PS4_S4_.num_named_barrier, 0
	.set _Z6kernelI14exclusive_scanILN6hipcub18BlockScanAlgorithmE1EEdLj64ELj3ELj100EEvPKT0_PS4_S4_.private_seg_size, 0
	.set _Z6kernelI14exclusive_scanILN6hipcub18BlockScanAlgorithmE1EEdLj64ELj3ELj100EEvPKT0_PS4_S4_.uses_vcc, 1
	.set _Z6kernelI14exclusive_scanILN6hipcub18BlockScanAlgorithmE1EEdLj64ELj3ELj100EEvPKT0_PS4_S4_.uses_flat_scratch, 0
	.set _Z6kernelI14exclusive_scanILN6hipcub18BlockScanAlgorithmE1EEdLj64ELj3ELj100EEvPKT0_PS4_S4_.has_dyn_sized_stack, 0
	.set _Z6kernelI14exclusive_scanILN6hipcub18BlockScanAlgorithmE1EEdLj64ELj3ELj100EEvPKT0_PS4_S4_.has_recursion, 0
	.set _Z6kernelI14exclusive_scanILN6hipcub18BlockScanAlgorithmE1EEdLj64ELj3ELj100EEvPKT0_PS4_S4_.has_indirect_call, 0
	.section	.AMDGPU.csdata,"",@progbits
; Kernel info:
; codeLenInByte = 712
; TotalNumSgprs: 26
; NumVgprs: 21
; ScratchSize: 0
; MemoryBound: 0
; FloatMode: 240
; IeeeMode: 1
; LDSByteSize: 8 bytes/workgroup (compile time only)
; SGPRBlocks: 3
; VGPRBlocks: 5
; NumSGPRsForWavesPerEU: 26
; NumVGPRsForWavesPerEU: 21
; Occupancy: 10
; WaveLimiterHint : 0
; COMPUTE_PGM_RSRC2:SCRATCH_EN: 0
; COMPUTE_PGM_RSRC2:USER_SGPR: 6
; COMPUTE_PGM_RSRC2:TRAP_HANDLER: 0
; COMPUTE_PGM_RSRC2:TGID_X_EN: 1
; COMPUTE_PGM_RSRC2:TGID_Y_EN: 0
; COMPUTE_PGM_RSRC2:TGID_Z_EN: 0
; COMPUTE_PGM_RSRC2:TIDIG_COMP_CNT: 0
	.section	.text._Z6kernelI14exclusive_scanILN6hipcub18BlockScanAlgorithmE1EEdLj64ELj4ELj100EEvPKT0_PS4_S4_,"axG",@progbits,_Z6kernelI14exclusive_scanILN6hipcub18BlockScanAlgorithmE1EEdLj64ELj4ELj100EEvPKT0_PS4_S4_,comdat
	.protected	_Z6kernelI14exclusive_scanILN6hipcub18BlockScanAlgorithmE1EEdLj64ELj4ELj100EEvPKT0_PS4_S4_ ; -- Begin function _Z6kernelI14exclusive_scanILN6hipcub18BlockScanAlgorithmE1EEdLj64ELj4ELj100EEvPKT0_PS4_S4_
	.globl	_Z6kernelI14exclusive_scanILN6hipcub18BlockScanAlgorithmE1EEdLj64ELj4ELj100EEvPKT0_PS4_S4_
	.p2align	8
	.type	_Z6kernelI14exclusive_scanILN6hipcub18BlockScanAlgorithmE1EEdLj64ELj4ELj100EEvPKT0_PS4_S4_,@function
_Z6kernelI14exclusive_scanILN6hipcub18BlockScanAlgorithmE1EEdLj64ELj4ELj100EEvPKT0_PS4_S4_: ; @_Z6kernelI14exclusive_scanILN6hipcub18BlockScanAlgorithmE1EEdLj64ELj4ELj100EEvPKT0_PS4_S4_
; %bb.0:
	s_load_dword s0, s[4:5], 0x24
	s_load_dwordx4 s[16:19], s[4:5], 0x0
	s_load_dwordx2 s[20:21], s[4:5], 0x10
	v_mov_b32_e32 v17, 0
	v_cmp_eq_u32_e64 s[10:11], 63, v0
	s_waitcnt lgkmcnt(0)
	s_and_b32 s0, s0, 0xffff
	s_mul_i32 s6, s6, s0
	v_add_lshl_u32 v16, s6, v0, 2
	v_lshlrev_b64 v[15:16], 3, v[16:17]
	v_mov_b32_e32 v1, s17
	v_add_co_u32_e32 v9, vcc, s16, v15
	v_addc_co_u32_e32 v10, vcc, v1, v16, vcc
	global_load_dwordx4 v[1:4], v[9:10], off offset:16
	global_load_dwordx4 v[5:8], v[9:10], off
	v_mbcnt_lo_u32_b32 v9, -1, 0
	v_mbcnt_hi_u32_b32 v9, -1, v9
	v_and_b32_e32 v10, 15, v9
	v_cmp_ne_u32_e32 vcc, 0, v10
	v_cmp_lt_u32_e64 s[0:1], 1, v10
	v_cmp_lt_u32_e64 s[2:3], 3, v10
	;; [unrolled: 1-line block ×3, first 2 shown]
	v_and_b32_e32 v10, 16, v9
	v_cmp_ne_u32_e64 s[6:7], 0, v10
	v_subrev_co_u32_e64 v10, s[12:13], 1, v9
	v_and_b32_e32 v11, 64, v9
	v_cmp_lt_i32_e64 s[14:15], v10, v11
	v_cmp_lt_u32_e64 s[8:9], 31, v9
	v_cndmask_b32_e64 v9, v10, v9, s[14:15]
	v_cmp_eq_u32_e64 s[14:15], 0, v0
	v_lshlrev_b32_e32 v18, 2, v9
	s_or_b64 s[12:13], s[14:15], s[12:13]
	s_movk_i32 s16, 0x64
.LBB122_1:                              ; =>This Inner Loop Header: Depth=1
	s_waitcnt vmcnt(0)
	v_add_f64 v[9:10], v[5:6], v[7:8]
	v_add_f64 v[9:10], v[1:2], v[9:10]
	;; [unrolled: 1-line block ×3, first 2 shown]
	s_nop 1
	v_mov_b32_dpp v9, v3 row_shr:1 row_mask:0xf bank_mask:0xf
	v_mov_b32_dpp v10, v4 row_shr:1 row_mask:0xf bank_mask:0xf
	s_and_saveexec_b64 s[14:15], vcc
; %bb.2:                                ;   in Loop: Header=BB122_1 Depth=1
	v_add_f64 v[3:4], v[3:4], v[9:10]
; %bb.3:                                ;   in Loop: Header=BB122_1 Depth=1
	s_or_b64 exec, exec, s[14:15]
	s_nop 0
	v_mov_b32_dpp v9, v3 row_shr:2 row_mask:0xf bank_mask:0xf
	v_mov_b32_dpp v10, v4 row_shr:2 row_mask:0xf bank_mask:0xf
	s_and_saveexec_b64 s[14:15], s[0:1]
; %bb.4:                                ;   in Loop: Header=BB122_1 Depth=1
	v_add_f64 v[3:4], v[3:4], v[9:10]
; %bb.5:                                ;   in Loop: Header=BB122_1 Depth=1
	s_or_b64 exec, exec, s[14:15]
	s_nop 0
	v_mov_b32_dpp v9, v3 row_shr:4 row_mask:0xf bank_mask:0xf
	v_mov_b32_dpp v10, v4 row_shr:4 row_mask:0xf bank_mask:0xf
	s_and_saveexec_b64 s[14:15], s[2:3]
	;; [unrolled: 8-line block ×3, first 2 shown]
; %bb.8:                                ;   in Loop: Header=BB122_1 Depth=1
	v_add_f64 v[3:4], v[3:4], v[9:10]
; %bb.9:                                ;   in Loop: Header=BB122_1 Depth=1
	s_or_b64 exec, exec, s[14:15]
	s_nop 0
	v_mov_b32_dpp v9, v3 row_bcast:15 row_mask:0xf bank_mask:0xf
	v_mov_b32_dpp v10, v4 row_bcast:15 row_mask:0xf bank_mask:0xf
	s_and_saveexec_b64 s[14:15], s[6:7]
; %bb.10:                               ;   in Loop: Header=BB122_1 Depth=1
	v_add_f64 v[3:4], v[3:4], v[9:10]
; %bb.11:                               ;   in Loop: Header=BB122_1 Depth=1
	s_or_b64 exec, exec, s[14:15]
	s_nop 0
	v_mov_b32_dpp v9, v3 row_bcast:31 row_mask:0xf bank_mask:0xf
	v_mov_b32_dpp v10, v4 row_bcast:31 row_mask:0xf bank_mask:0xf
	v_add_f64 v[9:10], v[3:4], v[9:10]
	v_cndmask_b32_e64 v4, v4, v10, s[8:9]
	v_cndmask_b32_e64 v3, v3, v9, s[8:9]
	s_and_saveexec_b64 s[14:15], s[10:11]
; %bb.12:                               ;   in Loop: Header=BB122_1 Depth=1
	ds_write_b64 v17, v[3:4]
; %bb.13:                               ;   in Loop: Header=BB122_1 Depth=1
	s_or_b64 exec, exec, s[14:15]
	v_add_f64 v[3:4], s[20:21], v[3:4]
	v_mov_b32_e32 v9, s20
	s_add_i32 s16, s16, -1
	s_cmp_lg_u32 s16, 0
	s_waitcnt lgkmcnt(0)
	; wave barrier
	ds_bpermute_b32 v0, v18, v4
	ds_bpermute_b32 v3, v18, v3
	v_mov_b32_e32 v4, s21
	s_waitcnt lgkmcnt(1)
	v_cndmask_b32_e64 v12, v0, v4, s[12:13]
	s_waitcnt lgkmcnt(0)
	v_cndmask_b32_e64 v11, v3, v9, s[12:13]
	v_add_f64 v[13:14], v[5:6], v[11:12]
	v_add_f64 v[9:10], v[7:8], v[13:14]
	;; [unrolled: 1-line block ×3, first 2 shown]
	s_cbranch_scc0 .LBB122_15
; %bb.14:                               ;   in Loop: Header=BB122_1 Depth=1
	v_mov_b32_e32 v5, v11
	v_mov_b32_e32 v7, v13
	;; [unrolled: 1-line block ×6, first 2 shown]
	s_branch .LBB122_1
.LBB122_15:
	v_mov_b32_e32 v1, s19
	v_add_co_u32_e32 v0, vcc, s18, v15
	v_addc_co_u32_e32 v1, vcc, v1, v16, vcc
	global_store_dwordx4 v[0:1], v[11:14], off
	s_nop 0
	v_mov_b32_e32 v11, v3
	v_mov_b32_e32 v12, v4
	global_store_dwordx4 v[0:1], v[9:12], off offset:16
	s_endpgm
	.section	.rodata,"a",@progbits
	.p2align	6, 0x0
	.amdhsa_kernel _Z6kernelI14exclusive_scanILN6hipcub18BlockScanAlgorithmE1EEdLj64ELj4ELj100EEvPKT0_PS4_S4_
		.amdhsa_group_segment_fixed_size 8
		.amdhsa_private_segment_fixed_size 0
		.amdhsa_kernarg_size 280
		.amdhsa_user_sgpr_count 6
		.amdhsa_user_sgpr_private_segment_buffer 1
		.amdhsa_user_sgpr_dispatch_ptr 0
		.amdhsa_user_sgpr_queue_ptr 0
		.amdhsa_user_sgpr_kernarg_segment_ptr 1
		.amdhsa_user_sgpr_dispatch_id 0
		.amdhsa_user_sgpr_flat_scratch_init 0
		.amdhsa_user_sgpr_private_segment_size 0
		.amdhsa_uses_dynamic_stack 0
		.amdhsa_system_sgpr_private_segment_wavefront_offset 0
		.amdhsa_system_sgpr_workgroup_id_x 1
		.amdhsa_system_sgpr_workgroup_id_y 0
		.amdhsa_system_sgpr_workgroup_id_z 0
		.amdhsa_system_sgpr_workgroup_info 0
		.amdhsa_system_vgpr_workitem_id 0
		.amdhsa_next_free_vgpr 19
		.amdhsa_next_free_sgpr 22
		.amdhsa_reserve_vcc 1
		.amdhsa_reserve_flat_scratch 0
		.amdhsa_float_round_mode_32 0
		.amdhsa_float_round_mode_16_64 0
		.amdhsa_float_denorm_mode_32 3
		.amdhsa_float_denorm_mode_16_64 3
		.amdhsa_dx10_clamp 1
		.amdhsa_ieee_mode 1
		.amdhsa_fp16_overflow 0
		.amdhsa_exception_fp_ieee_invalid_op 0
		.amdhsa_exception_fp_denorm_src 0
		.amdhsa_exception_fp_ieee_div_zero 0
		.amdhsa_exception_fp_ieee_overflow 0
		.amdhsa_exception_fp_ieee_underflow 0
		.amdhsa_exception_fp_ieee_inexact 0
		.amdhsa_exception_int_div_zero 0
	.end_amdhsa_kernel
	.section	.text._Z6kernelI14exclusive_scanILN6hipcub18BlockScanAlgorithmE1EEdLj64ELj4ELj100EEvPKT0_PS4_S4_,"axG",@progbits,_Z6kernelI14exclusive_scanILN6hipcub18BlockScanAlgorithmE1EEdLj64ELj4ELj100EEvPKT0_PS4_S4_,comdat
.Lfunc_end122:
	.size	_Z6kernelI14exclusive_scanILN6hipcub18BlockScanAlgorithmE1EEdLj64ELj4ELj100EEvPKT0_PS4_S4_, .Lfunc_end122-_Z6kernelI14exclusive_scanILN6hipcub18BlockScanAlgorithmE1EEdLj64ELj4ELj100EEvPKT0_PS4_S4_
                                        ; -- End function
	.set _Z6kernelI14exclusive_scanILN6hipcub18BlockScanAlgorithmE1EEdLj64ELj4ELj100EEvPKT0_PS4_S4_.num_vgpr, 19
	.set _Z6kernelI14exclusive_scanILN6hipcub18BlockScanAlgorithmE1EEdLj64ELj4ELj100EEvPKT0_PS4_S4_.num_agpr, 0
	.set _Z6kernelI14exclusive_scanILN6hipcub18BlockScanAlgorithmE1EEdLj64ELj4ELj100EEvPKT0_PS4_S4_.numbered_sgpr, 22
	.set _Z6kernelI14exclusive_scanILN6hipcub18BlockScanAlgorithmE1EEdLj64ELj4ELj100EEvPKT0_PS4_S4_.num_named_barrier, 0
	.set _Z6kernelI14exclusive_scanILN6hipcub18BlockScanAlgorithmE1EEdLj64ELj4ELj100EEvPKT0_PS4_S4_.private_seg_size, 0
	.set _Z6kernelI14exclusive_scanILN6hipcub18BlockScanAlgorithmE1EEdLj64ELj4ELj100EEvPKT0_PS4_S4_.uses_vcc, 1
	.set _Z6kernelI14exclusive_scanILN6hipcub18BlockScanAlgorithmE1EEdLj64ELj4ELj100EEvPKT0_PS4_S4_.uses_flat_scratch, 0
	.set _Z6kernelI14exclusive_scanILN6hipcub18BlockScanAlgorithmE1EEdLj64ELj4ELj100EEvPKT0_PS4_S4_.has_dyn_sized_stack, 0
	.set _Z6kernelI14exclusive_scanILN6hipcub18BlockScanAlgorithmE1EEdLj64ELj4ELj100EEvPKT0_PS4_S4_.has_recursion, 0
	.set _Z6kernelI14exclusive_scanILN6hipcub18BlockScanAlgorithmE1EEdLj64ELj4ELj100EEvPKT0_PS4_S4_.has_indirect_call, 0
	.section	.AMDGPU.csdata,"",@progbits
; Kernel info:
; codeLenInByte = 648
; TotalNumSgprs: 26
; NumVgprs: 19
; ScratchSize: 0
; MemoryBound: 0
; FloatMode: 240
; IeeeMode: 1
; LDSByteSize: 8 bytes/workgroup (compile time only)
; SGPRBlocks: 3
; VGPRBlocks: 4
; NumSGPRsForWavesPerEU: 26
; NumVGPRsForWavesPerEU: 19
; Occupancy: 10
; WaveLimiterHint : 0
; COMPUTE_PGM_RSRC2:SCRATCH_EN: 0
; COMPUTE_PGM_RSRC2:USER_SGPR: 6
; COMPUTE_PGM_RSRC2:TRAP_HANDLER: 0
; COMPUTE_PGM_RSRC2:TGID_X_EN: 1
; COMPUTE_PGM_RSRC2:TGID_Y_EN: 0
; COMPUTE_PGM_RSRC2:TGID_Z_EN: 0
; COMPUTE_PGM_RSRC2:TIDIG_COMP_CNT: 0
	.section	.text._Z6kernelI14exclusive_scanILN6hipcub18BlockScanAlgorithmE1EEdLj64ELj8ELj100EEvPKT0_PS4_S4_,"axG",@progbits,_Z6kernelI14exclusive_scanILN6hipcub18BlockScanAlgorithmE1EEdLj64ELj8ELj100EEvPKT0_PS4_S4_,comdat
	.protected	_Z6kernelI14exclusive_scanILN6hipcub18BlockScanAlgorithmE1EEdLj64ELj8ELj100EEvPKT0_PS4_S4_ ; -- Begin function _Z6kernelI14exclusive_scanILN6hipcub18BlockScanAlgorithmE1EEdLj64ELj8ELj100EEvPKT0_PS4_S4_
	.globl	_Z6kernelI14exclusive_scanILN6hipcub18BlockScanAlgorithmE1EEdLj64ELj8ELj100EEvPKT0_PS4_S4_
	.p2align	8
	.type	_Z6kernelI14exclusive_scanILN6hipcub18BlockScanAlgorithmE1EEdLj64ELj8ELj100EEvPKT0_PS4_S4_,@function
_Z6kernelI14exclusive_scanILN6hipcub18BlockScanAlgorithmE1EEdLj64ELj8ELj100EEvPKT0_PS4_S4_: ; @_Z6kernelI14exclusive_scanILN6hipcub18BlockScanAlgorithmE1EEdLj64ELj8ELj100EEvPKT0_PS4_S4_
; %bb.0:
	s_load_dword s0, s[4:5], 0x24
	s_load_dwordx4 s[16:19], s[4:5], 0x0
	s_load_dwordx2 s[20:21], s[4:5], 0x10
	v_mov_b32_e32 v23, 0
	v_mbcnt_lo_u32_b32 v9, -1, 0
	s_waitcnt lgkmcnt(0)
	s_and_b32 s0, s0, 0xffff
	s_mul_i32 s6, s6, s0
	v_add_lshl_u32 v22, s6, v0, 3
	v_lshlrev_b64 v[21:22], 3, v[22:23]
	v_mov_b32_e32 v1, s17
	v_add_co_u32_e32 v17, vcc, s16, v21
	v_mbcnt_hi_u32_b32 v9, -1, v9
	v_addc_co_u32_e32 v18, vcc, v1, v22, vcc
	v_and_b32_e32 v10, 15, v9
	v_cmp_ne_u32_e32 vcc, 0, v10
	v_cmp_lt_u32_e64 s[0:1], 1, v10
	v_cmp_lt_u32_e64 s[2:3], 3, v10
	;; [unrolled: 1-line block ×3, first 2 shown]
	v_and_b32_e32 v10, 16, v9
	v_cmp_ne_u32_e64 s[6:7], 0, v10
	v_subrev_co_u32_e64 v10, s[12:13], 1, v9
	v_and_b32_e32 v11, 64, v9
	v_cmp_lt_i32_e64 s[14:15], v10, v11
	v_cmp_lt_u32_e64 s[8:9], 31, v9
	v_cndmask_b32_e64 v9, v10, v9, s[14:15]
	global_load_dwordx4 v[1:4], v[17:18], off offset:48
	global_load_dwordx4 v[5:8], v[17:18], off offset:32
	v_lshlrev_b32_e32 v24, 2, v9
	global_load_dwordx4 v[9:12], v[17:18], off offset:16
	global_load_dwordx4 v[13:16], v[17:18], off
	v_cmp_eq_u32_e64 s[14:15], 0, v0
	v_cmp_eq_u32_e64 s[10:11], 63, v0
	s_or_b64 s[12:13], s[14:15], s[12:13]
	s_movk_i32 s16, 0x64
.LBB123_1:                              ; =>This Inner Loop Header: Depth=1
	s_waitcnt vmcnt(0)
	v_add_f64 v[17:18], v[15:16], v[13:14]
	v_add_f64 v[17:18], v[9:10], v[17:18]
	;; [unrolled: 1-line block ×7, first 2 shown]
	s_nop 1
	v_mov_b32_dpp v17, v3 row_shr:1 row_mask:0xf bank_mask:0xf
	v_mov_b32_dpp v18, v4 row_shr:1 row_mask:0xf bank_mask:0xf
	s_and_saveexec_b64 s[14:15], vcc
; %bb.2:                                ;   in Loop: Header=BB123_1 Depth=1
	v_add_f64 v[3:4], v[3:4], v[17:18]
; %bb.3:                                ;   in Loop: Header=BB123_1 Depth=1
	s_or_b64 exec, exec, s[14:15]
	s_nop 0
	v_mov_b32_dpp v17, v3 row_shr:2 row_mask:0xf bank_mask:0xf
	v_mov_b32_dpp v18, v4 row_shr:2 row_mask:0xf bank_mask:0xf
	s_and_saveexec_b64 s[14:15], s[0:1]
; %bb.4:                                ;   in Loop: Header=BB123_1 Depth=1
	v_add_f64 v[3:4], v[3:4], v[17:18]
; %bb.5:                                ;   in Loop: Header=BB123_1 Depth=1
	s_or_b64 exec, exec, s[14:15]
	s_nop 0
	v_mov_b32_dpp v17, v3 row_shr:4 row_mask:0xf bank_mask:0xf
	v_mov_b32_dpp v18, v4 row_shr:4 row_mask:0xf bank_mask:0xf
	s_and_saveexec_b64 s[14:15], s[2:3]
	;; [unrolled: 8-line block ×3, first 2 shown]
; %bb.8:                                ;   in Loop: Header=BB123_1 Depth=1
	v_add_f64 v[3:4], v[3:4], v[17:18]
; %bb.9:                                ;   in Loop: Header=BB123_1 Depth=1
	s_or_b64 exec, exec, s[14:15]
	s_nop 0
	v_mov_b32_dpp v17, v3 row_bcast:15 row_mask:0xf bank_mask:0xf
	v_mov_b32_dpp v18, v4 row_bcast:15 row_mask:0xf bank_mask:0xf
	s_and_saveexec_b64 s[14:15], s[6:7]
; %bb.10:                               ;   in Loop: Header=BB123_1 Depth=1
	v_add_f64 v[3:4], v[3:4], v[17:18]
; %bb.11:                               ;   in Loop: Header=BB123_1 Depth=1
	s_or_b64 exec, exec, s[14:15]
	s_nop 0
	v_mov_b32_dpp v17, v3 row_bcast:31 row_mask:0xf bank_mask:0xf
	v_mov_b32_dpp v18, v4 row_bcast:31 row_mask:0xf bank_mask:0xf
	v_add_f64 v[17:18], v[3:4], v[17:18]
	v_cndmask_b32_e64 v4, v4, v18, s[8:9]
	v_cndmask_b32_e64 v3, v3, v17, s[8:9]
	s_and_saveexec_b64 s[14:15], s[10:11]
; %bb.12:                               ;   in Loop: Header=BB123_1 Depth=1
	ds_write_b64 v23, v[3:4]
; %bb.13:                               ;   in Loop: Header=BB123_1 Depth=1
	s_or_b64 exec, exec, s[14:15]
	v_add_f64 v[3:4], s[20:21], v[3:4]
	v_mov_b32_e32 v17, s20
	s_add_i32 s16, s16, -1
	s_cmp_lg_u32 s16, 0
	s_waitcnt lgkmcnt(0)
	; wave barrier
	ds_bpermute_b32 v0, v24, v4
	ds_bpermute_b32 v3, v24, v3
	v_mov_b32_e32 v4, s21
	s_waitcnt lgkmcnt(1)
	v_cndmask_b32_e64 v18, v0, v4, s[12:13]
	s_waitcnt lgkmcnt(0)
	v_cndmask_b32_e64 v17, v3, v17, s[12:13]
	v_add_f64 v[19:20], v[13:14], v[17:18]
	v_add_f64 v[13:14], v[15:16], v[19:20]
	;; [unrolled: 1-line block ×7, first 2 shown]
	s_cbranch_scc0 .LBB123_15
; %bb.14:                               ;   in Loop: Header=BB123_1 Depth=1
	v_mov_b32_e32 v1, v5
	v_mov_b32_e32 v2, v6
	;; [unrolled: 1-line block ×14, first 2 shown]
	s_branch .LBB123_1
.LBB123_15:
	v_mov_b32_e32 v1, s19
	v_add_co_u32_e32 v0, vcc, s18, v21
	v_addc_co_u32_e32 v1, vcc, v1, v22, vcc
	v_mov_b32_e32 v7, v3
	v_mov_b32_e32 v8, v4
	global_store_dwordx4 v[0:1], v[17:20], off
	global_store_dwordx4 v[0:1], v[13:16], off offset:16
	global_store_dwordx4 v[0:1], v[9:12], off offset:32
	;; [unrolled: 1-line block ×3, first 2 shown]
	s_endpgm
	.section	.rodata,"a",@progbits
	.p2align	6, 0x0
	.amdhsa_kernel _Z6kernelI14exclusive_scanILN6hipcub18BlockScanAlgorithmE1EEdLj64ELj8ELj100EEvPKT0_PS4_S4_
		.amdhsa_group_segment_fixed_size 8
		.amdhsa_private_segment_fixed_size 0
		.amdhsa_kernarg_size 280
		.amdhsa_user_sgpr_count 6
		.amdhsa_user_sgpr_private_segment_buffer 1
		.amdhsa_user_sgpr_dispatch_ptr 0
		.amdhsa_user_sgpr_queue_ptr 0
		.amdhsa_user_sgpr_kernarg_segment_ptr 1
		.amdhsa_user_sgpr_dispatch_id 0
		.amdhsa_user_sgpr_flat_scratch_init 0
		.amdhsa_user_sgpr_private_segment_size 0
		.amdhsa_uses_dynamic_stack 0
		.amdhsa_system_sgpr_private_segment_wavefront_offset 0
		.amdhsa_system_sgpr_workgroup_id_x 1
		.amdhsa_system_sgpr_workgroup_id_y 0
		.amdhsa_system_sgpr_workgroup_id_z 0
		.amdhsa_system_sgpr_workgroup_info 0
		.amdhsa_system_vgpr_workitem_id 0
		.amdhsa_next_free_vgpr 25
		.amdhsa_next_free_sgpr 22
		.amdhsa_reserve_vcc 1
		.amdhsa_reserve_flat_scratch 0
		.amdhsa_float_round_mode_32 0
		.amdhsa_float_round_mode_16_64 0
		.amdhsa_float_denorm_mode_32 3
		.amdhsa_float_denorm_mode_16_64 3
		.amdhsa_dx10_clamp 1
		.amdhsa_ieee_mode 1
		.amdhsa_fp16_overflow 0
		.amdhsa_exception_fp_ieee_invalid_op 0
		.amdhsa_exception_fp_denorm_src 0
		.amdhsa_exception_fp_ieee_div_zero 0
		.amdhsa_exception_fp_ieee_overflow 0
		.amdhsa_exception_fp_ieee_underflow 0
		.amdhsa_exception_fp_ieee_inexact 0
		.amdhsa_exception_int_div_zero 0
	.end_amdhsa_kernel
	.section	.text._Z6kernelI14exclusive_scanILN6hipcub18BlockScanAlgorithmE1EEdLj64ELj8ELj100EEvPKT0_PS4_S4_,"axG",@progbits,_Z6kernelI14exclusive_scanILN6hipcub18BlockScanAlgorithmE1EEdLj64ELj8ELj100EEvPKT0_PS4_S4_,comdat
.Lfunc_end123:
	.size	_Z6kernelI14exclusive_scanILN6hipcub18BlockScanAlgorithmE1EEdLj64ELj8ELj100EEvPKT0_PS4_S4_, .Lfunc_end123-_Z6kernelI14exclusive_scanILN6hipcub18BlockScanAlgorithmE1EEdLj64ELj8ELj100EEvPKT0_PS4_S4_
                                        ; -- End function
	.set _Z6kernelI14exclusive_scanILN6hipcub18BlockScanAlgorithmE1EEdLj64ELj8ELj100EEvPKT0_PS4_S4_.num_vgpr, 25
	.set _Z6kernelI14exclusive_scanILN6hipcub18BlockScanAlgorithmE1EEdLj64ELj8ELj100EEvPKT0_PS4_S4_.num_agpr, 0
	.set _Z6kernelI14exclusive_scanILN6hipcub18BlockScanAlgorithmE1EEdLj64ELj8ELj100EEvPKT0_PS4_S4_.numbered_sgpr, 22
	.set _Z6kernelI14exclusive_scanILN6hipcub18BlockScanAlgorithmE1EEdLj64ELj8ELj100EEvPKT0_PS4_S4_.num_named_barrier, 0
	.set _Z6kernelI14exclusive_scanILN6hipcub18BlockScanAlgorithmE1EEdLj64ELj8ELj100EEvPKT0_PS4_S4_.private_seg_size, 0
	.set _Z6kernelI14exclusive_scanILN6hipcub18BlockScanAlgorithmE1EEdLj64ELj8ELj100EEvPKT0_PS4_S4_.uses_vcc, 1
	.set _Z6kernelI14exclusive_scanILN6hipcub18BlockScanAlgorithmE1EEdLj64ELj8ELj100EEvPKT0_PS4_S4_.uses_flat_scratch, 0
	.set _Z6kernelI14exclusive_scanILN6hipcub18BlockScanAlgorithmE1EEdLj64ELj8ELj100EEvPKT0_PS4_S4_.has_dyn_sized_stack, 0
	.set _Z6kernelI14exclusive_scanILN6hipcub18BlockScanAlgorithmE1EEdLj64ELj8ELj100EEvPKT0_PS4_S4_.has_recursion, 0
	.set _Z6kernelI14exclusive_scanILN6hipcub18BlockScanAlgorithmE1EEdLj64ELj8ELj100EEvPKT0_PS4_S4_.has_indirect_call, 0
	.section	.AMDGPU.csdata,"",@progbits
; Kernel info:
; codeLenInByte = 772
; TotalNumSgprs: 26
; NumVgprs: 25
; ScratchSize: 0
; MemoryBound: 0
; FloatMode: 240
; IeeeMode: 1
; LDSByteSize: 8 bytes/workgroup (compile time only)
; SGPRBlocks: 3
; VGPRBlocks: 6
; NumSGPRsForWavesPerEU: 26
; NumVGPRsForWavesPerEU: 25
; Occupancy: 9
; WaveLimiterHint : 0
; COMPUTE_PGM_RSRC2:SCRATCH_EN: 0
; COMPUTE_PGM_RSRC2:USER_SGPR: 6
; COMPUTE_PGM_RSRC2:TRAP_HANDLER: 0
; COMPUTE_PGM_RSRC2:TGID_X_EN: 1
; COMPUTE_PGM_RSRC2:TGID_Y_EN: 0
; COMPUTE_PGM_RSRC2:TGID_Z_EN: 0
; COMPUTE_PGM_RSRC2:TIDIG_COMP_CNT: 0
	.section	.text._Z6kernelI14exclusive_scanILN6hipcub18BlockScanAlgorithmE1EEdLj64ELj11ELj100EEvPKT0_PS4_S4_,"axG",@progbits,_Z6kernelI14exclusive_scanILN6hipcub18BlockScanAlgorithmE1EEdLj64ELj11ELj100EEvPKT0_PS4_S4_,comdat
	.protected	_Z6kernelI14exclusive_scanILN6hipcub18BlockScanAlgorithmE1EEdLj64ELj11ELj100EEvPKT0_PS4_S4_ ; -- Begin function _Z6kernelI14exclusive_scanILN6hipcub18BlockScanAlgorithmE1EEdLj64ELj11ELj100EEvPKT0_PS4_S4_
	.globl	_Z6kernelI14exclusive_scanILN6hipcub18BlockScanAlgorithmE1EEdLj64ELj11ELj100EEvPKT0_PS4_S4_
	.p2align	8
	.type	_Z6kernelI14exclusive_scanILN6hipcub18BlockScanAlgorithmE1EEdLj64ELj11ELj100EEvPKT0_PS4_S4_,@function
_Z6kernelI14exclusive_scanILN6hipcub18BlockScanAlgorithmE1EEdLj64ELj11ELj100EEvPKT0_PS4_S4_: ; @_Z6kernelI14exclusive_scanILN6hipcub18BlockScanAlgorithmE1EEdLj64ELj11ELj100EEvPKT0_PS4_S4_
; %bb.0:
	s_load_dword s0, s[4:5], 0x24
	s_load_dwordx4 s[16:19], s[4:5], 0x0
	v_mov_b32_e32 v2, 0
	s_load_dwordx2 s[20:21], s[4:5], 0x10
	v_cmp_eq_u32_e64 s[14:15], 0, v0
	s_waitcnt lgkmcnt(0)
	s_and_b32 s0, s0, 0xffff
	s_mul_i32 s6, s6, s0
	v_add_u32_e32 v1, s6, v0
	v_mul_lo_u32 v1, v1, 11
	v_mov_b32_e32 v4, s17
	v_mov_b32_e32 v25, s17
	v_lshlrev_b64 v[23:24], 3, v[1:2]
	v_add_u32_e32 v3, 1, v1
	v_add_co_u32_e32 v41, vcc, s16, v23
	v_addc_co_u32_e32 v42, vcc, v4, v24, vcc
	v_mov_b32_e32 v4, v2
	v_lshlrev_b64 v[21:22], 3, v[3:4]
	v_mov_b32_e32 v3, s17
	v_add_co_u32_e32 v45, vcc, s16, v21
	v_addc_co_u32_e32 v46, vcc, v3, v22, vcc
	v_add_u32_e32 v3, 2, v1
	v_lshlrev_b64 v[19:20], 3, v[3:4]
	v_mov_b32_e32 v3, s17
	v_add_co_u32_e32 v47, vcc, s16, v19
	v_addc_co_u32_e32 v48, vcc, v3, v20, vcc
	v_add_u32_e32 v3, 3, v1
	;; [unrolled: 5-line block ×8, first 2 shown]
	v_lshlrev_b64 v[5:6], 3, v[3:4]
	v_mov_b32_e32 v3, s17
	v_add_co_u32_e32 v61, vcc, s16, v5
	v_add_u32_e32 v1, 10, v1
	v_addc_co_u32_e32 v62, vcc, v3, v6, vcc
	v_lshlrev_b64 v[3:4], 3, v[1:2]
	v_mbcnt_lo_u32_b32 v1, -1, 0
	v_add_co_u32_e32 v63, vcc, s16, v3
	v_addc_co_u32_e32 v64, vcc, v25, v4, vcc
	global_load_dwordx2 v[43:44], v[41:42], off
	global_load_dwordx2 v[39:40], v[45:46], off
	;; [unrolled: 1-line block ×9, first 2 shown]
                                        ; kill: killed $vgpr41 killed $vgpr42
                                        ; kill: killed $vgpr47 killed $vgpr48
                                        ; kill: killed $vgpr49 killed $vgpr50
                                        ; kill: killed $vgpr53 killed $vgpr54
                                        ; kill: killed $vgpr57 killed $vgpr58
                                        ; kill: killed $vgpr45 killed $vgpr46
                                        ; kill: killed $vgpr51 killed $vgpr52
                                        ; kill: killed $vgpr55 killed $vgpr56
                                        ; kill: killed $vgpr59 killed $vgpr60
	global_load_dwordx2 v[41:42], v[61:62], off
	global_load_dwordx2 v[45:46], v[63:64], off
	v_mbcnt_hi_u32_b32 v1, -1, v1
	v_and_b32_e32 v47, 15, v1
	v_cmp_ne_u32_e32 vcc, 0, v47
	v_cmp_lt_u32_e64 s[0:1], 1, v47
	v_cmp_lt_u32_e64 s[2:3], 3, v47
	;; [unrolled: 1-line block ×3, first 2 shown]
	v_and_b32_e32 v47, 16, v1
	v_cmp_ne_u32_e64 s[6:7], 0, v47
	v_subrev_co_u32_e64 v47, s[12:13], 1, v1
	v_and_b32_e32 v48, 64, v1
	v_cmp_lt_i32_e64 s[10:11], v47, v48
	v_cmp_lt_u32_e64 s[8:9], 31, v1
	v_cndmask_b32_e64 v1, v47, v1, s[10:11]
	v_cmp_eq_u32_e64 s[10:11], 63, v0
	v_lshlrev_b32_e32 v49, 2, v1
	s_or_b64 s[12:13], s[14:15], s[12:13]
	s_movk_i32 s16, 0x64
.LBB124_1:                              ; =>This Inner Loop Header: Depth=1
	s_waitcnt vmcnt(9)
	v_add_f64 v[0:1], v[39:40], v[43:44]
	s_waitcnt vmcnt(8)
	v_add_f64 v[0:1], v[37:38], v[0:1]
	;; [unrolled: 2-line block ×10, first 2 shown]
	s_nop 1
	v_mov_b32_dpp v45, v0 row_shr:1 row_mask:0xf bank_mask:0xf
	v_mov_b32_dpp v46, v1 row_shr:1 row_mask:0xf bank_mask:0xf
	s_and_saveexec_b64 s[14:15], vcc
; %bb.2:                                ;   in Loop: Header=BB124_1 Depth=1
	v_add_f64 v[0:1], v[0:1], v[45:46]
; %bb.3:                                ;   in Loop: Header=BB124_1 Depth=1
	s_or_b64 exec, exec, s[14:15]
	s_nop 0
	v_mov_b32_dpp v45, v0 row_shr:2 row_mask:0xf bank_mask:0xf
	v_mov_b32_dpp v46, v1 row_shr:2 row_mask:0xf bank_mask:0xf
	s_and_saveexec_b64 s[14:15], s[0:1]
; %bb.4:                                ;   in Loop: Header=BB124_1 Depth=1
	v_add_f64 v[0:1], v[0:1], v[45:46]
; %bb.5:                                ;   in Loop: Header=BB124_1 Depth=1
	s_or_b64 exec, exec, s[14:15]
	s_nop 0
	v_mov_b32_dpp v45, v0 row_shr:4 row_mask:0xf bank_mask:0xf
	v_mov_b32_dpp v46, v1 row_shr:4 row_mask:0xf bank_mask:0xf
	s_and_saveexec_b64 s[14:15], s[2:3]
	;; [unrolled: 8-line block ×3, first 2 shown]
; %bb.8:                                ;   in Loop: Header=BB124_1 Depth=1
	v_add_f64 v[0:1], v[0:1], v[45:46]
; %bb.9:                                ;   in Loop: Header=BB124_1 Depth=1
	s_or_b64 exec, exec, s[14:15]
	s_nop 0
	v_mov_b32_dpp v45, v0 row_bcast:15 row_mask:0xf bank_mask:0xf
	v_mov_b32_dpp v46, v1 row_bcast:15 row_mask:0xf bank_mask:0xf
	s_and_saveexec_b64 s[14:15], s[6:7]
; %bb.10:                               ;   in Loop: Header=BB124_1 Depth=1
	v_add_f64 v[0:1], v[0:1], v[45:46]
; %bb.11:                               ;   in Loop: Header=BB124_1 Depth=1
	s_or_b64 exec, exec, s[14:15]
	s_nop 0
	v_mov_b32_dpp v45, v0 row_bcast:31 row_mask:0xf bank_mask:0xf
	v_mov_b32_dpp v46, v1 row_bcast:31 row_mask:0xf bank_mask:0xf
	v_add_f64 v[45:46], v[0:1], v[45:46]
	v_cndmask_b32_e64 v1, v1, v46, s[8:9]
	v_cndmask_b32_e64 v0, v0, v45, s[8:9]
	s_and_saveexec_b64 s[14:15], s[10:11]
; %bb.12:                               ;   in Loop: Header=BB124_1 Depth=1
	ds_write_b64 v2, v[0:1]
; %bb.13:                               ;   in Loop: Header=BB124_1 Depth=1
	s_or_b64 exec, exec, s[14:15]
	v_add_f64 v[0:1], s[20:21], v[0:1]
	v_mov_b32_e32 v45, s21
	v_mov_b32_e32 v46, s20
	s_add_i32 s16, s16, -1
	s_cmp_lg_u32 s16, 0
	s_waitcnt lgkmcnt(0)
	; wave barrier
	ds_bpermute_b32 v1, v49, v1
	ds_bpermute_b32 v0, v49, v0
	s_waitcnt lgkmcnt(1)
	v_cndmask_b32_e64 v48, v1, v45, s[12:13]
	s_waitcnt lgkmcnt(0)
	v_cndmask_b32_e64 v47, v0, v46, s[12:13]
	v_add_f64 v[43:44], v[43:44], v[47:48]
	v_add_f64 v[39:40], v[39:40], v[43:44]
	;; [unrolled: 1-line block ×10, first 2 shown]
	s_cbranch_scc0 .LBB124_15
; %bb.14:                               ;   in Loop: Header=BB124_1 Depth=1
	v_mov_b32_e32 v25, v27
	v_mov_b32_e32 v26, v28
	;; [unrolled: 1-line block ×20, first 2 shown]
	s_branch .LBB124_1
.LBB124_15:
	v_mov_b32_e32 v2, s19
	v_add_co_u32_e32 v23, vcc, s18, v23
	v_addc_co_u32_e32 v24, vcc, v2, v24, vcc
	v_add_co_u32_e32 v21, vcc, s18, v21
	v_addc_co_u32_e32 v22, vcc, v2, v22, vcc
	;; [unrolled: 2-line block ×10, first 2 shown]
	global_store_dwordx2 v[5:6], v[0:1], off
	v_mov_b32_e32 v1, s19
	v_add_co_u32_e32 v0, vcc, s18, v3
	v_addc_co_u32_e32 v1, vcc, v1, v4, vcc
	global_store_dwordx2 v[23:24], v[47:48], off
	global_store_dwordx2 v[21:22], v[43:44], off
	;; [unrolled: 1-line block ×10, first 2 shown]
	s_endpgm
	.section	.rodata,"a",@progbits
	.p2align	6, 0x0
	.amdhsa_kernel _Z6kernelI14exclusive_scanILN6hipcub18BlockScanAlgorithmE1EEdLj64ELj11ELj100EEvPKT0_PS4_S4_
		.amdhsa_group_segment_fixed_size 8
		.amdhsa_private_segment_fixed_size 0
		.amdhsa_kernarg_size 280
		.amdhsa_user_sgpr_count 6
		.amdhsa_user_sgpr_private_segment_buffer 1
		.amdhsa_user_sgpr_dispatch_ptr 0
		.amdhsa_user_sgpr_queue_ptr 0
		.amdhsa_user_sgpr_kernarg_segment_ptr 1
		.amdhsa_user_sgpr_dispatch_id 0
		.amdhsa_user_sgpr_flat_scratch_init 0
		.amdhsa_user_sgpr_private_segment_size 0
		.amdhsa_uses_dynamic_stack 0
		.amdhsa_system_sgpr_private_segment_wavefront_offset 0
		.amdhsa_system_sgpr_workgroup_id_x 1
		.amdhsa_system_sgpr_workgroup_id_y 0
		.amdhsa_system_sgpr_workgroup_id_z 0
		.amdhsa_system_sgpr_workgroup_info 0
		.amdhsa_system_vgpr_workitem_id 0
		.amdhsa_next_free_vgpr 65
		.amdhsa_next_free_sgpr 22
		.amdhsa_reserve_vcc 1
		.amdhsa_reserve_flat_scratch 0
		.amdhsa_float_round_mode_32 0
		.amdhsa_float_round_mode_16_64 0
		.amdhsa_float_denorm_mode_32 3
		.amdhsa_float_denorm_mode_16_64 3
		.amdhsa_dx10_clamp 1
		.amdhsa_ieee_mode 1
		.amdhsa_fp16_overflow 0
		.amdhsa_exception_fp_ieee_invalid_op 0
		.amdhsa_exception_fp_denorm_src 0
		.amdhsa_exception_fp_ieee_div_zero 0
		.amdhsa_exception_fp_ieee_overflow 0
		.amdhsa_exception_fp_ieee_underflow 0
		.amdhsa_exception_fp_ieee_inexact 0
		.amdhsa_exception_int_div_zero 0
	.end_amdhsa_kernel
	.section	.text._Z6kernelI14exclusive_scanILN6hipcub18BlockScanAlgorithmE1EEdLj64ELj11ELj100EEvPKT0_PS4_S4_,"axG",@progbits,_Z6kernelI14exclusive_scanILN6hipcub18BlockScanAlgorithmE1EEdLj64ELj11ELj100EEvPKT0_PS4_S4_,comdat
.Lfunc_end124:
	.size	_Z6kernelI14exclusive_scanILN6hipcub18BlockScanAlgorithmE1EEdLj64ELj11ELj100EEvPKT0_PS4_S4_, .Lfunc_end124-_Z6kernelI14exclusive_scanILN6hipcub18BlockScanAlgorithmE1EEdLj64ELj11ELj100EEvPKT0_PS4_S4_
                                        ; -- End function
	.set _Z6kernelI14exclusive_scanILN6hipcub18BlockScanAlgorithmE1EEdLj64ELj11ELj100EEvPKT0_PS4_S4_.num_vgpr, 65
	.set _Z6kernelI14exclusive_scanILN6hipcub18BlockScanAlgorithmE1EEdLj64ELj11ELj100EEvPKT0_PS4_S4_.num_agpr, 0
	.set _Z6kernelI14exclusive_scanILN6hipcub18BlockScanAlgorithmE1EEdLj64ELj11ELj100EEvPKT0_PS4_S4_.numbered_sgpr, 22
	.set _Z6kernelI14exclusive_scanILN6hipcub18BlockScanAlgorithmE1EEdLj64ELj11ELj100EEvPKT0_PS4_S4_.num_named_barrier, 0
	.set _Z6kernelI14exclusive_scanILN6hipcub18BlockScanAlgorithmE1EEdLj64ELj11ELj100EEvPKT0_PS4_S4_.private_seg_size, 0
	.set _Z6kernelI14exclusive_scanILN6hipcub18BlockScanAlgorithmE1EEdLj64ELj11ELj100EEvPKT0_PS4_S4_.uses_vcc, 1
	.set _Z6kernelI14exclusive_scanILN6hipcub18BlockScanAlgorithmE1EEdLj64ELj11ELj100EEvPKT0_PS4_S4_.uses_flat_scratch, 0
	.set _Z6kernelI14exclusive_scanILN6hipcub18BlockScanAlgorithmE1EEdLj64ELj11ELj100EEvPKT0_PS4_S4_.has_dyn_sized_stack, 0
	.set _Z6kernelI14exclusive_scanILN6hipcub18BlockScanAlgorithmE1EEdLj64ELj11ELj100EEvPKT0_PS4_S4_.has_recursion, 0
	.set _Z6kernelI14exclusive_scanILN6hipcub18BlockScanAlgorithmE1EEdLj64ELj11ELj100EEvPKT0_PS4_S4_.has_indirect_call, 0
	.section	.AMDGPU.csdata,"",@progbits
; Kernel info:
; codeLenInByte = 1316
; TotalNumSgprs: 26
; NumVgprs: 65
; ScratchSize: 0
; MemoryBound: 0
; FloatMode: 240
; IeeeMode: 1
; LDSByteSize: 8 bytes/workgroup (compile time only)
; SGPRBlocks: 3
; VGPRBlocks: 16
; NumSGPRsForWavesPerEU: 26
; NumVGPRsForWavesPerEU: 65
; Occupancy: 3
; WaveLimiterHint : 0
; COMPUTE_PGM_RSRC2:SCRATCH_EN: 0
; COMPUTE_PGM_RSRC2:USER_SGPR: 6
; COMPUTE_PGM_RSRC2:TRAP_HANDLER: 0
; COMPUTE_PGM_RSRC2:TGID_X_EN: 1
; COMPUTE_PGM_RSRC2:TGID_Y_EN: 0
; COMPUTE_PGM_RSRC2:TGID_Z_EN: 0
; COMPUTE_PGM_RSRC2:TIDIG_COMP_CNT: 0
	.section	.text._Z6kernelI14exclusive_scanILN6hipcub18BlockScanAlgorithmE1EEdLj64ELj16ELj100EEvPKT0_PS4_S4_,"axG",@progbits,_Z6kernelI14exclusive_scanILN6hipcub18BlockScanAlgorithmE1EEdLj64ELj16ELj100EEvPKT0_PS4_S4_,comdat
	.protected	_Z6kernelI14exclusive_scanILN6hipcub18BlockScanAlgorithmE1EEdLj64ELj16ELj100EEvPKT0_PS4_S4_ ; -- Begin function _Z6kernelI14exclusive_scanILN6hipcub18BlockScanAlgorithmE1EEdLj64ELj16ELj100EEvPKT0_PS4_S4_
	.globl	_Z6kernelI14exclusive_scanILN6hipcub18BlockScanAlgorithmE1EEdLj64ELj16ELj100EEvPKT0_PS4_S4_
	.p2align	8
	.type	_Z6kernelI14exclusive_scanILN6hipcub18BlockScanAlgorithmE1EEdLj64ELj16ELj100EEvPKT0_PS4_S4_,@function
_Z6kernelI14exclusive_scanILN6hipcub18BlockScanAlgorithmE1EEdLj64ELj16ELj100EEvPKT0_PS4_S4_: ; @_Z6kernelI14exclusive_scanILN6hipcub18BlockScanAlgorithmE1EEdLj64ELj16ELj100EEvPKT0_PS4_S4_
; %bb.0:
	s_load_dword s0, s[4:5], 0x24
	s_load_dwordx4 s[16:19], s[4:5], 0x0
	s_load_dwordx2 s[20:21], s[4:5], 0x10
	v_mov_b32_e32 v47, 0
	v_mbcnt_lo_u32_b32 v9, -1, 0
	s_waitcnt lgkmcnt(0)
	s_and_b32 s0, s0, 0xffff
	s_mul_i32 s6, s6, s0
	v_add_lshl_u32 v46, s6, v0, 4
	v_lshlrev_b64 v[45:46], 3, v[46:47]
	v_mov_b32_e32 v1, s17
	v_add_co_u32_e32 v33, vcc, s16, v45
	v_mbcnt_hi_u32_b32 v9, -1, v9
	v_addc_co_u32_e32 v34, vcc, v1, v46, vcc
	v_and_b32_e32 v10, 15, v9
	v_cmp_ne_u32_e32 vcc, 0, v10
	v_cmp_lt_u32_e64 s[0:1], 1, v10
	v_cmp_lt_u32_e64 s[2:3], 3, v10
	;; [unrolled: 1-line block ×3, first 2 shown]
	v_and_b32_e32 v10, 16, v9
	v_cmp_ne_u32_e64 s[6:7], 0, v10
	v_subrev_co_u32_e64 v10, s[12:13], 1, v9
	v_and_b32_e32 v11, 64, v9
	v_cmp_lt_i32_e64 s[14:15], v10, v11
	v_cmp_lt_u32_e64 s[8:9], 31, v9
	v_cndmask_b32_e64 v9, v10, v9, s[14:15]
	global_load_dwordx4 v[1:4], v[33:34], off offset:48
	global_load_dwordx4 v[5:8], v[33:34], off offset:32
	v_lshlrev_b32_e32 v48, 2, v9
	global_load_dwordx4 v[25:28], v[33:34], off offset:16
	global_load_dwordx4 v[29:32], v[33:34], off
	global_load_dwordx4 v[9:12], v[33:34], off offset:112
	global_load_dwordx4 v[13:16], v[33:34], off offset:96
	;; [unrolled: 1-line block ×4, first 2 shown]
	v_cmp_eq_u32_e64 s[14:15], 0, v0
	v_cmp_eq_u32_e64 s[10:11], 63, v0
	s_or_b64 s[12:13], s[14:15], s[12:13]
	s_movk_i32 s16, 0x64
.LBB125_1:                              ; =>This Inner Loop Header: Depth=1
	s_waitcnt vmcnt(4)
	v_add_f64 v[33:34], v[31:32], v[29:30]
	v_add_f64 v[33:34], v[25:26], v[33:34]
	;; [unrolled: 1-line block ×7, first 2 shown]
	s_waitcnt vmcnt(0)
	v_add_f64 v[33:34], v[21:22], v[33:34]
	v_add_f64 v[33:34], v[23:24], v[33:34]
	;; [unrolled: 1-line block ×8, first 2 shown]
	s_nop 1
	v_mov_b32_dpp v33, v11 row_shr:1 row_mask:0xf bank_mask:0xf
	v_mov_b32_dpp v34, v12 row_shr:1 row_mask:0xf bank_mask:0xf
	s_and_saveexec_b64 s[14:15], vcc
; %bb.2:                                ;   in Loop: Header=BB125_1 Depth=1
	v_add_f64 v[11:12], v[11:12], v[33:34]
; %bb.3:                                ;   in Loop: Header=BB125_1 Depth=1
	s_or_b64 exec, exec, s[14:15]
	s_nop 0
	v_mov_b32_dpp v33, v11 row_shr:2 row_mask:0xf bank_mask:0xf
	v_mov_b32_dpp v34, v12 row_shr:2 row_mask:0xf bank_mask:0xf
	s_and_saveexec_b64 s[14:15], s[0:1]
; %bb.4:                                ;   in Loop: Header=BB125_1 Depth=1
	v_add_f64 v[11:12], v[11:12], v[33:34]
; %bb.5:                                ;   in Loop: Header=BB125_1 Depth=1
	s_or_b64 exec, exec, s[14:15]
	s_nop 0
	v_mov_b32_dpp v33, v11 row_shr:4 row_mask:0xf bank_mask:0xf
	v_mov_b32_dpp v34, v12 row_shr:4 row_mask:0xf bank_mask:0xf
	s_and_saveexec_b64 s[14:15], s[2:3]
	;; [unrolled: 8-line block ×3, first 2 shown]
; %bb.8:                                ;   in Loop: Header=BB125_1 Depth=1
	v_add_f64 v[11:12], v[11:12], v[33:34]
; %bb.9:                                ;   in Loop: Header=BB125_1 Depth=1
	s_or_b64 exec, exec, s[14:15]
	s_nop 0
	v_mov_b32_dpp v33, v11 row_bcast:15 row_mask:0xf bank_mask:0xf
	v_mov_b32_dpp v34, v12 row_bcast:15 row_mask:0xf bank_mask:0xf
	s_and_saveexec_b64 s[14:15], s[6:7]
; %bb.10:                               ;   in Loop: Header=BB125_1 Depth=1
	v_add_f64 v[11:12], v[11:12], v[33:34]
; %bb.11:                               ;   in Loop: Header=BB125_1 Depth=1
	s_or_b64 exec, exec, s[14:15]
	s_nop 0
	v_mov_b32_dpp v33, v11 row_bcast:31 row_mask:0xf bank_mask:0xf
	v_mov_b32_dpp v34, v12 row_bcast:31 row_mask:0xf bank_mask:0xf
	v_add_f64 v[33:34], v[11:12], v[33:34]
	v_cndmask_b32_e64 v12, v12, v34, s[8:9]
	v_cndmask_b32_e64 v11, v11, v33, s[8:9]
	s_and_saveexec_b64 s[14:15], s[10:11]
; %bb.12:                               ;   in Loop: Header=BB125_1 Depth=1
	ds_write_b64 v47, v[11:12]
; %bb.13:                               ;   in Loop: Header=BB125_1 Depth=1
	s_or_b64 exec, exec, s[14:15]
	v_add_f64 v[11:12], s[20:21], v[11:12]
	v_mov_b32_e32 v33, s20
	s_add_i32 s16, s16, -1
	s_cmp_lg_u32 s16, 0
	s_waitcnt lgkmcnt(0)
	; wave barrier
	ds_bpermute_b32 v0, v48, v12
	ds_bpermute_b32 v11, v48, v11
	v_mov_b32_e32 v12, s21
	s_waitcnt lgkmcnt(1)
	v_cndmask_b32_e64 v34, v0, v12, s[12:13]
	s_waitcnt lgkmcnt(0)
	v_cndmask_b32_e64 v33, v11, v33, s[12:13]
	v_add_f64 v[35:36], v[29:30], v[33:34]
	v_add_f64 v[41:42], v[31:32], v[35:36]
	;; [unrolled: 1-line block ×15, first 2 shown]
	s_cbranch_scc0 .LBB125_15
; %bb.14:                               ;   in Loop: Header=BB125_1 Depth=1
	v_mov_b32_e32 v10, v1
	v_mov_b32_e32 v16, v5
	;; [unrolled: 1-line block ×30, first 2 shown]
	s_branch .LBB125_1
.LBB125_15:
	v_mov_b32_e32 v7, s19
	v_add_co_u32_e32 v6, vcc, s18, v45
	v_addc_co_u32_e32 v7, vcc, v7, v46, vcc
	global_store_dwordx4 v[6:7], v[33:36], off
	global_store_dwordx4 v[6:7], v[41:44], off offset:16
	global_store_dwordx4 v[6:7], v[37:40], off offset:32
	;; [unrolled: 1-line block ×6, first 2 shown]
	s_nop 0
	v_mov_b32_e32 v2, v11
	v_mov_b32_e32 v3, v12
	global_store_dwordx4 v[6:7], v[0:3], off offset:112
	s_endpgm
	.section	.rodata,"a",@progbits
	.p2align	6, 0x0
	.amdhsa_kernel _Z6kernelI14exclusive_scanILN6hipcub18BlockScanAlgorithmE1EEdLj64ELj16ELj100EEvPKT0_PS4_S4_
		.amdhsa_group_segment_fixed_size 8
		.amdhsa_private_segment_fixed_size 0
		.amdhsa_kernarg_size 280
		.amdhsa_user_sgpr_count 6
		.amdhsa_user_sgpr_private_segment_buffer 1
		.amdhsa_user_sgpr_dispatch_ptr 0
		.amdhsa_user_sgpr_queue_ptr 0
		.amdhsa_user_sgpr_kernarg_segment_ptr 1
		.amdhsa_user_sgpr_dispatch_id 0
		.amdhsa_user_sgpr_flat_scratch_init 0
		.amdhsa_user_sgpr_private_segment_size 0
		.amdhsa_uses_dynamic_stack 0
		.amdhsa_system_sgpr_private_segment_wavefront_offset 0
		.amdhsa_system_sgpr_workgroup_id_x 1
		.amdhsa_system_sgpr_workgroup_id_y 0
		.amdhsa_system_sgpr_workgroup_id_z 0
		.amdhsa_system_sgpr_workgroup_info 0
		.amdhsa_system_vgpr_workitem_id 0
		.amdhsa_next_free_vgpr 49
		.amdhsa_next_free_sgpr 22
		.amdhsa_reserve_vcc 1
		.amdhsa_reserve_flat_scratch 0
		.amdhsa_float_round_mode_32 0
		.amdhsa_float_round_mode_16_64 0
		.amdhsa_float_denorm_mode_32 3
		.amdhsa_float_denorm_mode_16_64 3
		.amdhsa_dx10_clamp 1
		.amdhsa_ieee_mode 1
		.amdhsa_fp16_overflow 0
		.amdhsa_exception_fp_ieee_invalid_op 0
		.amdhsa_exception_fp_denorm_src 0
		.amdhsa_exception_fp_ieee_div_zero 0
		.amdhsa_exception_fp_ieee_overflow 0
		.amdhsa_exception_fp_ieee_underflow 0
		.amdhsa_exception_fp_ieee_inexact 0
		.amdhsa_exception_int_div_zero 0
	.end_amdhsa_kernel
	.section	.text._Z6kernelI14exclusive_scanILN6hipcub18BlockScanAlgorithmE1EEdLj64ELj16ELj100EEvPKT0_PS4_S4_,"axG",@progbits,_Z6kernelI14exclusive_scanILN6hipcub18BlockScanAlgorithmE1EEdLj64ELj16ELj100EEvPKT0_PS4_S4_,comdat
.Lfunc_end125:
	.size	_Z6kernelI14exclusive_scanILN6hipcub18BlockScanAlgorithmE1EEdLj64ELj16ELj100EEvPKT0_PS4_S4_, .Lfunc_end125-_Z6kernelI14exclusive_scanILN6hipcub18BlockScanAlgorithmE1EEdLj64ELj16ELj100EEvPKT0_PS4_S4_
                                        ; -- End function
	.set _Z6kernelI14exclusive_scanILN6hipcub18BlockScanAlgorithmE1EEdLj64ELj16ELj100EEvPKT0_PS4_S4_.num_vgpr, 49
	.set _Z6kernelI14exclusive_scanILN6hipcub18BlockScanAlgorithmE1EEdLj64ELj16ELj100EEvPKT0_PS4_S4_.num_agpr, 0
	.set _Z6kernelI14exclusive_scanILN6hipcub18BlockScanAlgorithmE1EEdLj64ELj16ELj100EEvPKT0_PS4_S4_.numbered_sgpr, 22
	.set _Z6kernelI14exclusive_scanILN6hipcub18BlockScanAlgorithmE1EEdLj64ELj16ELj100EEvPKT0_PS4_S4_.num_named_barrier, 0
	.set _Z6kernelI14exclusive_scanILN6hipcub18BlockScanAlgorithmE1EEdLj64ELj16ELj100EEvPKT0_PS4_S4_.private_seg_size, 0
	.set _Z6kernelI14exclusive_scanILN6hipcub18BlockScanAlgorithmE1EEdLj64ELj16ELj100EEvPKT0_PS4_S4_.uses_vcc, 1
	.set _Z6kernelI14exclusive_scanILN6hipcub18BlockScanAlgorithmE1EEdLj64ELj16ELj100EEvPKT0_PS4_S4_.uses_flat_scratch, 0
	.set _Z6kernelI14exclusive_scanILN6hipcub18BlockScanAlgorithmE1EEdLj64ELj16ELj100EEvPKT0_PS4_S4_.has_dyn_sized_stack, 0
	.set _Z6kernelI14exclusive_scanILN6hipcub18BlockScanAlgorithmE1EEdLj64ELj16ELj100EEvPKT0_PS4_S4_.has_recursion, 0
	.set _Z6kernelI14exclusive_scanILN6hipcub18BlockScanAlgorithmE1EEdLj64ELj16ELj100EEvPKT0_PS4_S4_.has_indirect_call, 0
	.section	.AMDGPU.csdata,"",@progbits
; Kernel info:
; codeLenInByte = 1036
; TotalNumSgprs: 26
; NumVgprs: 49
; ScratchSize: 0
; MemoryBound: 1
; FloatMode: 240
; IeeeMode: 1
; LDSByteSize: 8 bytes/workgroup (compile time only)
; SGPRBlocks: 3
; VGPRBlocks: 12
; NumSGPRsForWavesPerEU: 26
; NumVGPRsForWavesPerEU: 49
; Occupancy: 4
; WaveLimiterHint : 0
; COMPUTE_PGM_RSRC2:SCRATCH_EN: 0
; COMPUTE_PGM_RSRC2:USER_SGPR: 6
; COMPUTE_PGM_RSRC2:TRAP_HANDLER: 0
; COMPUTE_PGM_RSRC2:TGID_X_EN: 1
; COMPUTE_PGM_RSRC2:TGID_Y_EN: 0
; COMPUTE_PGM_RSRC2:TGID_Z_EN: 0
; COMPUTE_PGM_RSRC2:TIDIG_COMP_CNT: 0
	.section	.text._Z6kernelI14exclusive_scanILN6hipcub18BlockScanAlgorithmE1EEhLj64ELj1ELj100EEvPKT0_PS4_S4_,"axG",@progbits,_Z6kernelI14exclusive_scanILN6hipcub18BlockScanAlgorithmE1EEhLj64ELj1ELj100EEvPKT0_PS4_S4_,comdat
	.protected	_Z6kernelI14exclusive_scanILN6hipcub18BlockScanAlgorithmE1EEhLj64ELj1ELj100EEvPKT0_PS4_S4_ ; -- Begin function _Z6kernelI14exclusive_scanILN6hipcub18BlockScanAlgorithmE1EEhLj64ELj1ELj100EEvPKT0_PS4_S4_
	.globl	_Z6kernelI14exclusive_scanILN6hipcub18BlockScanAlgorithmE1EEhLj64ELj1ELj100EEvPKT0_PS4_S4_
	.p2align	8
	.type	_Z6kernelI14exclusive_scanILN6hipcub18BlockScanAlgorithmE1EEhLj64ELj1ELj100EEvPKT0_PS4_S4_,@function
_Z6kernelI14exclusive_scanILN6hipcub18BlockScanAlgorithmE1EEhLj64ELj1ELj100EEvPKT0_PS4_S4_: ; @_Z6kernelI14exclusive_scanILN6hipcub18BlockScanAlgorithmE1EEhLj64ELj1ELj100EEvPKT0_PS4_S4_
; %bb.0:
	s_load_dword s0, s[4:5], 0x24
	s_load_dwordx4 s[16:19], s[4:5], 0x0
	s_load_dword s20, s[4:5], 0x10
	v_mbcnt_lo_u32_b32 v3, -1, 0
	v_mbcnt_hi_u32_b32 v3, -1, v3
	s_waitcnt lgkmcnt(0)
	s_and_b32 s0, s0, 0xffff
	s_mul_i32 s6, s6, s0
	v_add_u32_e32 v1, s6, v0
	global_load_ubyte v4, v1, s[16:17]
	v_and_b32_e32 v5, 15, v3
	v_cmp_eq_u32_e32 vcc, 0, v5
	v_cmp_lt_u32_e64 s[0:1], 1, v5
	v_cmp_lt_u32_e64 s[2:3], 3, v5
	;; [unrolled: 1-line block ×3, first 2 shown]
	v_and_b32_e32 v5, 16, v3
	v_cmp_eq_u32_e64 s[6:7], 0, v5
	v_cmp_eq_u32_e64 s[10:11], 63, v0
	v_subrev_co_u32_e64 v0, s[12:13], 1, v3
	v_and_b32_e32 v5, 64, v3
	v_cmp_lt_i32_e64 s[14:15], v0, v5
	v_cndmask_b32_e64 v0, v0, v3, s[14:15]
	v_mov_b32_e32 v2, 0
	v_cmp_lt_u32_e64 s[8:9], 31, v3
	v_lshlrev_b32_e32 v0, 2, v0
	s_movk_i32 s16, 0x64
	v_mov_b32_e32 v3, s20
	s_branch .LBB126_2
.LBB126_1:                              ;   in Loop: Header=BB126_2 Depth=1
	s_or_b64 exec, exec, s[14:15]
	v_add_u16_e32 v4, s20, v4
	v_and_b32_e32 v4, 0xff, v4
	ds_bpermute_b32 v4, v0, v4
	s_add_i32 s16, s16, -1
	s_cmp_lg_u32 s16, 0
	s_waitcnt lgkmcnt(0)
	; wave barrier
	v_cndmask_b32_e64 v4, v4, v3, s[12:13]
	s_cbranch_scc0 .LBB126_4
.LBB126_2:                              ; =>This Inner Loop Header: Depth=1
	s_waitcnt vmcnt(0)
	v_and_b32_e32 v5, 0xff, v4
	s_nop 1
	v_mov_b32_dpp v5, v5 row_shr:1 row_mask:0xf bank_mask:0xf
	v_cndmask_b32_e64 v5, v5, 0, vcc
	v_add_u16_e32 v4, v5, v4
	v_and_b32_e32 v5, 0xff, v4
	s_nop 1
	v_mov_b32_dpp v5, v5 row_shr:2 row_mask:0xf bank_mask:0xf
	v_cndmask_b32_e64 v5, 0, v5, s[0:1]
	v_add_u16_e32 v4, v4, v5
	v_and_b32_e32 v5, 0xff, v4
	s_nop 1
	v_mov_b32_dpp v5, v5 row_shr:4 row_mask:0xf bank_mask:0xf
	v_cndmask_b32_e64 v5, 0, v5, s[2:3]
	v_add_u16_e32 v4, v4, v5
	v_and_b32_e32 v5, 0xff, v4
	s_nop 1
	v_mov_b32_dpp v5, v5 row_shr:8 row_mask:0xf bank_mask:0xf
	v_cndmask_b32_e64 v5, 0, v5, s[4:5]
	v_add_u16_e32 v4, v4, v5
	v_and_b32_e32 v5, 0xff, v4
	s_nop 1
	v_mov_b32_dpp v5, v5 row_bcast:15 row_mask:0xf bank_mask:0xf
	v_cndmask_b32_e64 v5, v5, 0, s[6:7]
	v_add_u16_e32 v4, v4, v5
	v_and_b32_e32 v5, 0xff, v4
	s_nop 1
	v_mov_b32_dpp v5, v5 row_bcast:31 row_mask:0xf bank_mask:0xf
	v_cndmask_b32_e64 v5, 0, v5, s[8:9]
	v_add_u16_e32 v4, v4, v5
	s_and_saveexec_b64 s[14:15], s[10:11]
	s_cbranch_execz .LBB126_1
; %bb.3:                                ;   in Loop: Header=BB126_2 Depth=1
	ds_write_b8 v2, v4
	s_branch .LBB126_1
.LBB126_4:
	v_mov_b32_e32 v2, s19
	v_add_co_u32_e32 v0, vcc, s18, v1
	v_addc_co_u32_e32 v1, vcc, 0, v2, vcc
	global_store_byte v[0:1], v4, off
	s_endpgm
	.section	.rodata,"a",@progbits
	.p2align	6, 0x0
	.amdhsa_kernel _Z6kernelI14exclusive_scanILN6hipcub18BlockScanAlgorithmE1EEhLj64ELj1ELj100EEvPKT0_PS4_S4_
		.amdhsa_group_segment_fixed_size 1
		.amdhsa_private_segment_fixed_size 0
		.amdhsa_kernarg_size 280
		.amdhsa_user_sgpr_count 6
		.amdhsa_user_sgpr_private_segment_buffer 1
		.amdhsa_user_sgpr_dispatch_ptr 0
		.amdhsa_user_sgpr_queue_ptr 0
		.amdhsa_user_sgpr_kernarg_segment_ptr 1
		.amdhsa_user_sgpr_dispatch_id 0
		.amdhsa_user_sgpr_flat_scratch_init 0
		.amdhsa_user_sgpr_private_segment_size 0
		.amdhsa_uses_dynamic_stack 0
		.amdhsa_system_sgpr_private_segment_wavefront_offset 0
		.amdhsa_system_sgpr_workgroup_id_x 1
		.amdhsa_system_sgpr_workgroup_id_y 0
		.amdhsa_system_sgpr_workgroup_id_z 0
		.amdhsa_system_sgpr_workgroup_info 0
		.amdhsa_system_vgpr_workitem_id 0
		.amdhsa_next_free_vgpr 6
		.amdhsa_next_free_sgpr 21
		.amdhsa_reserve_vcc 1
		.amdhsa_reserve_flat_scratch 0
		.amdhsa_float_round_mode_32 0
		.amdhsa_float_round_mode_16_64 0
		.amdhsa_float_denorm_mode_32 3
		.amdhsa_float_denorm_mode_16_64 3
		.amdhsa_dx10_clamp 1
		.amdhsa_ieee_mode 1
		.amdhsa_fp16_overflow 0
		.amdhsa_exception_fp_ieee_invalid_op 0
		.amdhsa_exception_fp_denorm_src 0
		.amdhsa_exception_fp_ieee_div_zero 0
		.amdhsa_exception_fp_ieee_overflow 0
		.amdhsa_exception_fp_ieee_underflow 0
		.amdhsa_exception_fp_ieee_inexact 0
		.amdhsa_exception_int_div_zero 0
	.end_amdhsa_kernel
	.section	.text._Z6kernelI14exclusive_scanILN6hipcub18BlockScanAlgorithmE1EEhLj64ELj1ELj100EEvPKT0_PS4_S4_,"axG",@progbits,_Z6kernelI14exclusive_scanILN6hipcub18BlockScanAlgorithmE1EEhLj64ELj1ELj100EEvPKT0_PS4_S4_,comdat
.Lfunc_end126:
	.size	_Z6kernelI14exclusive_scanILN6hipcub18BlockScanAlgorithmE1EEhLj64ELj1ELj100EEvPKT0_PS4_S4_, .Lfunc_end126-_Z6kernelI14exclusive_scanILN6hipcub18BlockScanAlgorithmE1EEhLj64ELj1ELj100EEvPKT0_PS4_S4_
                                        ; -- End function
	.set _Z6kernelI14exclusive_scanILN6hipcub18BlockScanAlgorithmE1EEhLj64ELj1ELj100EEvPKT0_PS4_S4_.num_vgpr, 6
	.set _Z6kernelI14exclusive_scanILN6hipcub18BlockScanAlgorithmE1EEhLj64ELj1ELj100EEvPKT0_PS4_S4_.num_agpr, 0
	.set _Z6kernelI14exclusive_scanILN6hipcub18BlockScanAlgorithmE1EEhLj64ELj1ELj100EEvPKT0_PS4_S4_.numbered_sgpr, 21
	.set _Z6kernelI14exclusive_scanILN6hipcub18BlockScanAlgorithmE1EEhLj64ELj1ELj100EEvPKT0_PS4_S4_.num_named_barrier, 0
	.set _Z6kernelI14exclusive_scanILN6hipcub18BlockScanAlgorithmE1EEhLj64ELj1ELj100EEvPKT0_PS4_S4_.private_seg_size, 0
	.set _Z6kernelI14exclusive_scanILN6hipcub18BlockScanAlgorithmE1EEhLj64ELj1ELj100EEvPKT0_PS4_S4_.uses_vcc, 1
	.set _Z6kernelI14exclusive_scanILN6hipcub18BlockScanAlgorithmE1EEhLj64ELj1ELj100EEvPKT0_PS4_S4_.uses_flat_scratch, 0
	.set _Z6kernelI14exclusive_scanILN6hipcub18BlockScanAlgorithmE1EEhLj64ELj1ELj100EEvPKT0_PS4_S4_.has_dyn_sized_stack, 0
	.set _Z6kernelI14exclusive_scanILN6hipcub18BlockScanAlgorithmE1EEhLj64ELj1ELj100EEvPKT0_PS4_S4_.has_recursion, 0
	.set _Z6kernelI14exclusive_scanILN6hipcub18BlockScanAlgorithmE1EEhLj64ELj1ELj100EEvPKT0_PS4_S4_.has_indirect_call, 0
	.section	.AMDGPU.csdata,"",@progbits
; Kernel info:
; codeLenInByte = 464
; TotalNumSgprs: 25
; NumVgprs: 6
; ScratchSize: 0
; MemoryBound: 0
; FloatMode: 240
; IeeeMode: 1
; LDSByteSize: 1 bytes/workgroup (compile time only)
; SGPRBlocks: 3
; VGPRBlocks: 1
; NumSGPRsForWavesPerEU: 25
; NumVGPRsForWavesPerEU: 6
; Occupancy: 10
; WaveLimiterHint : 0
; COMPUTE_PGM_RSRC2:SCRATCH_EN: 0
; COMPUTE_PGM_RSRC2:USER_SGPR: 6
; COMPUTE_PGM_RSRC2:TRAP_HANDLER: 0
; COMPUTE_PGM_RSRC2:TGID_X_EN: 1
; COMPUTE_PGM_RSRC2:TGID_Y_EN: 0
; COMPUTE_PGM_RSRC2:TGID_Z_EN: 0
; COMPUTE_PGM_RSRC2:TIDIG_COMP_CNT: 0
	.section	.text._Z6kernelI14exclusive_scanILN6hipcub18BlockScanAlgorithmE1EEhLj64ELj3ELj100EEvPKT0_PS4_S4_,"axG",@progbits,_Z6kernelI14exclusive_scanILN6hipcub18BlockScanAlgorithmE1EEhLj64ELj3ELj100EEvPKT0_PS4_S4_,comdat
	.protected	_Z6kernelI14exclusive_scanILN6hipcub18BlockScanAlgorithmE1EEhLj64ELj3ELj100EEvPKT0_PS4_S4_ ; -- Begin function _Z6kernelI14exclusive_scanILN6hipcub18BlockScanAlgorithmE1EEhLj64ELj3ELj100EEvPKT0_PS4_S4_
	.globl	_Z6kernelI14exclusive_scanILN6hipcub18BlockScanAlgorithmE1EEhLj64ELj3ELj100EEvPKT0_PS4_S4_
	.p2align	8
	.type	_Z6kernelI14exclusive_scanILN6hipcub18BlockScanAlgorithmE1EEhLj64ELj3ELj100EEvPKT0_PS4_S4_,@function
_Z6kernelI14exclusive_scanILN6hipcub18BlockScanAlgorithmE1EEhLj64ELj3ELj100EEvPKT0_PS4_S4_: ; @_Z6kernelI14exclusive_scanILN6hipcub18BlockScanAlgorithmE1EEhLj64ELj3ELj100EEvPKT0_PS4_S4_
; %bb.0:
	s_load_dword s0, s[4:5], 0x24
	s_load_dwordx4 s[16:19], s[4:5], 0x0
	s_load_dword s20, s[4:5], 0x10
	v_mbcnt_lo_u32_b32 v7, -1, 0
	v_mbcnt_hi_u32_b32 v7, -1, v7
	s_waitcnt lgkmcnt(0)
	s_and_b32 s0, s0, 0xffff
	s_mul_i32 s6, s6, s0
	v_add_u32_e32 v1, s6, v0
	v_lshl_add_u32 v3, v1, 1, v1
	v_add_u32_e32 v2, 1, v3
	v_add_u32_e32 v1, 2, v3
	global_load_ubyte v5, v3, s[16:17]
	global_load_ubyte v8, v1, s[16:17]
	;; [unrolled: 1-line block ×3, first 2 shown]
	v_and_b32_e32 v9, 15, v7
	v_cmp_eq_u32_e32 vcc, 0, v9
	v_cmp_lt_u32_e64 s[0:1], 1, v9
	v_cmp_lt_u32_e64 s[2:3], 3, v9
	;; [unrolled: 1-line block ×3, first 2 shown]
	v_and_b32_e32 v9, 16, v7
	v_cmp_eq_u32_e64 s[6:7], 0, v9
	v_subrev_co_u32_e64 v9, s[12:13], 1, v7
	v_and_b32_e32 v10, 64, v7
	v_cmp_lt_i32_e64 s[14:15], v9, v10
	v_cmp_lt_u32_e64 s[8:9], 31, v7
	v_cndmask_b32_e64 v7, v9, v7, s[14:15]
	v_cmp_eq_u32_e64 s[14:15], 0, v0
	v_mov_b32_e32 v4, 0
	v_cmp_eq_u32_e64 s[10:11], 63, v0
	v_lshlrev_b32_e32 v7, 2, v7
	s_or_b64 s[12:13], s[14:15], s[12:13]
	s_movk_i32 s16, 0x64
	s_branch .LBB127_2
.LBB127_1:                              ;   in Loop: Header=BB127_2 Depth=1
	s_or_b64 exec, exec, s[14:15]
	v_add_u16_e32 v0, s20, v0
	v_and_b32_e32 v0, 0xff, v0
	ds_bpermute_b32 v0, v7, v0
	v_mov_b32_e32 v8, s20
	s_add_i32 s16, s16, -1
	s_cmp_lg_u32 s16, 0
	s_waitcnt lgkmcnt(0)
	v_cndmask_b32_e64 v9, v0, v8, s[12:13]
	v_add_u16_e32 v0, v9, v5
	v_add_u16_e32 v8, v0, v6
	v_mov_b32_e32 v5, v9
	v_mov_b32_e32 v6, v0
	; wave barrier
	s_cbranch_scc0 .LBB127_4
.LBB127_2:                              ; =>This Inner Loop Header: Depth=1
	s_waitcnt vmcnt(0)
	v_add_u16_e32 v0, v6, v5
	v_add_u16_e32 v0, v0, v8
	v_and_b32_e32 v8, 0xff, v0
	s_nop 1
	v_mov_b32_dpp v8, v8 row_shr:1 row_mask:0xf bank_mask:0xf
	v_cndmask_b32_e64 v8, v8, 0, vcc
	v_add_u16_e32 v0, v8, v0
	v_and_b32_e32 v8, 0xff, v0
	s_nop 1
	v_mov_b32_dpp v8, v8 row_shr:2 row_mask:0xf bank_mask:0xf
	v_cndmask_b32_e64 v8, 0, v8, s[0:1]
	v_add_u16_e32 v0, v0, v8
	v_and_b32_e32 v8, 0xff, v0
	s_nop 1
	v_mov_b32_dpp v8, v8 row_shr:4 row_mask:0xf bank_mask:0xf
	v_cndmask_b32_e64 v8, 0, v8, s[2:3]
	;; [unrolled: 5-line block ×3, first 2 shown]
	v_add_u16_e32 v0, v0, v8
	v_and_b32_e32 v8, 0xff, v0
	s_nop 1
	v_mov_b32_dpp v8, v8 row_bcast:15 row_mask:0xf bank_mask:0xf
	v_cndmask_b32_e64 v8, v8, 0, s[6:7]
	v_add_u16_e32 v0, v0, v8
	v_and_b32_e32 v8, 0xff, v0
	s_nop 1
	v_mov_b32_dpp v8, v8 row_bcast:31 row_mask:0xf bank_mask:0xf
	v_cndmask_b32_e64 v8, 0, v8, s[8:9]
	v_add_u16_e32 v0, v0, v8
	s_and_saveexec_b64 s[14:15], s[10:11]
	s_cbranch_execz .LBB127_1
; %bb.3:                                ;   in Loop: Header=BB127_2 Depth=1
	ds_write_b8 v4, v0
	s_branch .LBB127_1
.LBB127_4:
	v_mov_b32_e32 v4, s19
	v_add_co_u32_e32 v3, vcc, s18, v3
	v_addc_co_u32_e32 v4, vcc, 0, v4, vcc
	global_store_byte v[3:4], v9, off
	v_mov_b32_e32 v3, s19
	v_add_co_u32_e32 v2, vcc, s18, v2
	v_addc_co_u32_e32 v3, vcc, 0, v3, vcc
	global_store_byte v[2:3], v0, off
	;; [unrolled: 4-line block ×3, first 2 shown]
	s_endpgm
	.section	.rodata,"a",@progbits
	.p2align	6, 0x0
	.amdhsa_kernel _Z6kernelI14exclusive_scanILN6hipcub18BlockScanAlgorithmE1EEhLj64ELj3ELj100EEvPKT0_PS4_S4_
		.amdhsa_group_segment_fixed_size 1
		.amdhsa_private_segment_fixed_size 0
		.amdhsa_kernarg_size 280
		.amdhsa_user_sgpr_count 6
		.amdhsa_user_sgpr_private_segment_buffer 1
		.amdhsa_user_sgpr_dispatch_ptr 0
		.amdhsa_user_sgpr_queue_ptr 0
		.amdhsa_user_sgpr_kernarg_segment_ptr 1
		.amdhsa_user_sgpr_dispatch_id 0
		.amdhsa_user_sgpr_flat_scratch_init 0
		.amdhsa_user_sgpr_private_segment_size 0
		.amdhsa_uses_dynamic_stack 0
		.amdhsa_system_sgpr_private_segment_wavefront_offset 0
		.amdhsa_system_sgpr_workgroup_id_x 1
		.amdhsa_system_sgpr_workgroup_id_y 0
		.amdhsa_system_sgpr_workgroup_id_z 0
		.amdhsa_system_sgpr_workgroup_info 0
		.amdhsa_system_vgpr_workitem_id 0
		.amdhsa_next_free_vgpr 11
		.amdhsa_next_free_sgpr 21
		.amdhsa_reserve_vcc 1
		.amdhsa_reserve_flat_scratch 0
		.amdhsa_float_round_mode_32 0
		.amdhsa_float_round_mode_16_64 0
		.amdhsa_float_denorm_mode_32 3
		.amdhsa_float_denorm_mode_16_64 3
		.amdhsa_dx10_clamp 1
		.amdhsa_ieee_mode 1
		.amdhsa_fp16_overflow 0
		.amdhsa_exception_fp_ieee_invalid_op 0
		.amdhsa_exception_fp_denorm_src 0
		.amdhsa_exception_fp_ieee_div_zero 0
		.amdhsa_exception_fp_ieee_overflow 0
		.amdhsa_exception_fp_ieee_underflow 0
		.amdhsa_exception_fp_ieee_inexact 0
		.amdhsa_exception_int_div_zero 0
	.end_amdhsa_kernel
	.section	.text._Z6kernelI14exclusive_scanILN6hipcub18BlockScanAlgorithmE1EEhLj64ELj3ELj100EEvPKT0_PS4_S4_,"axG",@progbits,_Z6kernelI14exclusive_scanILN6hipcub18BlockScanAlgorithmE1EEhLj64ELj3ELj100EEvPKT0_PS4_S4_,comdat
.Lfunc_end127:
	.size	_Z6kernelI14exclusive_scanILN6hipcub18BlockScanAlgorithmE1EEhLj64ELj3ELj100EEvPKT0_PS4_S4_, .Lfunc_end127-_Z6kernelI14exclusive_scanILN6hipcub18BlockScanAlgorithmE1EEhLj64ELj3ELj100EEvPKT0_PS4_S4_
                                        ; -- End function
	.set _Z6kernelI14exclusive_scanILN6hipcub18BlockScanAlgorithmE1EEhLj64ELj3ELj100EEvPKT0_PS4_S4_.num_vgpr, 11
	.set _Z6kernelI14exclusive_scanILN6hipcub18BlockScanAlgorithmE1EEhLj64ELj3ELj100EEvPKT0_PS4_S4_.num_agpr, 0
	.set _Z6kernelI14exclusive_scanILN6hipcub18BlockScanAlgorithmE1EEhLj64ELj3ELj100EEvPKT0_PS4_S4_.numbered_sgpr, 21
	.set _Z6kernelI14exclusive_scanILN6hipcub18BlockScanAlgorithmE1EEhLj64ELj3ELj100EEvPKT0_PS4_S4_.num_named_barrier, 0
	.set _Z6kernelI14exclusive_scanILN6hipcub18BlockScanAlgorithmE1EEhLj64ELj3ELj100EEvPKT0_PS4_S4_.private_seg_size, 0
	.set _Z6kernelI14exclusive_scanILN6hipcub18BlockScanAlgorithmE1EEhLj64ELj3ELj100EEvPKT0_PS4_S4_.uses_vcc, 1
	.set _Z6kernelI14exclusive_scanILN6hipcub18BlockScanAlgorithmE1EEhLj64ELj3ELj100EEvPKT0_PS4_S4_.uses_flat_scratch, 0
	.set _Z6kernelI14exclusive_scanILN6hipcub18BlockScanAlgorithmE1EEhLj64ELj3ELj100EEvPKT0_PS4_S4_.has_dyn_sized_stack, 0
	.set _Z6kernelI14exclusive_scanILN6hipcub18BlockScanAlgorithmE1EEhLj64ELj3ELj100EEvPKT0_PS4_S4_.has_recursion, 0
	.set _Z6kernelI14exclusive_scanILN6hipcub18BlockScanAlgorithmE1EEhLj64ELj3ELj100EEvPKT0_PS4_S4_.has_indirect_call, 0
	.section	.AMDGPU.csdata,"",@progbits
; Kernel info:
; codeLenInByte = 572
; TotalNumSgprs: 25
; NumVgprs: 11
; ScratchSize: 0
; MemoryBound: 0
; FloatMode: 240
; IeeeMode: 1
; LDSByteSize: 1 bytes/workgroup (compile time only)
; SGPRBlocks: 3
; VGPRBlocks: 2
; NumSGPRsForWavesPerEU: 25
; NumVGPRsForWavesPerEU: 11
; Occupancy: 10
; WaveLimiterHint : 0
; COMPUTE_PGM_RSRC2:SCRATCH_EN: 0
; COMPUTE_PGM_RSRC2:USER_SGPR: 6
; COMPUTE_PGM_RSRC2:TRAP_HANDLER: 0
; COMPUTE_PGM_RSRC2:TGID_X_EN: 1
; COMPUTE_PGM_RSRC2:TGID_Y_EN: 0
; COMPUTE_PGM_RSRC2:TGID_Z_EN: 0
; COMPUTE_PGM_RSRC2:TIDIG_COMP_CNT: 0
	.section	.text._Z6kernelI14exclusive_scanILN6hipcub18BlockScanAlgorithmE1EEhLj64ELj4ELj100EEvPKT0_PS4_S4_,"axG",@progbits,_Z6kernelI14exclusive_scanILN6hipcub18BlockScanAlgorithmE1EEhLj64ELj4ELj100EEvPKT0_PS4_S4_,comdat
	.protected	_Z6kernelI14exclusive_scanILN6hipcub18BlockScanAlgorithmE1EEhLj64ELj4ELj100EEvPKT0_PS4_S4_ ; -- Begin function _Z6kernelI14exclusive_scanILN6hipcub18BlockScanAlgorithmE1EEhLj64ELj4ELj100EEvPKT0_PS4_S4_
	.globl	_Z6kernelI14exclusive_scanILN6hipcub18BlockScanAlgorithmE1EEhLj64ELj4ELj100EEvPKT0_PS4_S4_
	.p2align	8
	.type	_Z6kernelI14exclusive_scanILN6hipcub18BlockScanAlgorithmE1EEhLj64ELj4ELj100EEvPKT0_PS4_S4_,@function
_Z6kernelI14exclusive_scanILN6hipcub18BlockScanAlgorithmE1EEhLj64ELj4ELj100EEvPKT0_PS4_S4_: ; @_Z6kernelI14exclusive_scanILN6hipcub18BlockScanAlgorithmE1EEhLj64ELj4ELj100EEvPKT0_PS4_S4_
; %bb.0:
	s_load_dword s0, s[4:5], 0x24
	s_load_dwordx4 s[16:19], s[4:5], 0x0
	s_load_dword s20, s[4:5], 0x10
	v_mbcnt_lo_u32_b32 v4, -1, 0
	v_mbcnt_hi_u32_b32 v4, -1, v4
	s_waitcnt lgkmcnt(0)
	s_and_b32 s0, s0, 0xffff
	s_mul_i32 s6, s6, s0
	v_add_lshl_u32 v1, s6, v0, 2
	global_load_dword v3, v1, s[16:17]
	v_subrev_co_u32_e64 v6, s[14:15], 1, v4
	v_and_b32_e32 v7, 64, v4
	v_cmp_eq_u32_e32 vcc, 63, v0
	v_cmp_eq_u32_e64 s[12:13], 0, v0
	v_and_b32_e32 v0, 15, v4
	v_cmp_lt_i32_e64 s[16:17], v6, v7
	v_and_b32_e32 v5, 16, v4
	v_cmp_eq_u32_e64 s[2:3], 0, v0
	v_cmp_lt_u32_e64 s[4:5], 1, v0
	v_cmp_lt_u32_e64 s[6:7], 3, v0
	;; [unrolled: 1-line block ×3, first 2 shown]
	v_cndmask_b32_e64 v0, v6, v4, s[16:17]
	v_mov_b32_e32 v2, 0
	v_cmp_lt_u32_e64 s[0:1], 31, v4
	v_cmp_eq_u32_e64 s[10:11], 0, v5
	s_or_b64 s[12:13], s[12:13], s[14:15]
	v_lshlrev_b32_e32 v0, 2, v0
	s_movk_i32 s16, 0x64
	s_waitcnt vmcnt(0)
	v_lshrrev_b32_e32 v6, 24, v3
	v_lshrrev_b32_e32 v4, 16, v3
	;; [unrolled: 1-line block ×3, first 2 shown]
.LBB128_1:                              ; =>This Inner Loop Header: Depth=1
	v_add_u16_e32 v7, v5, v3
	v_add_u16_e32 v7, v7, v4
	;; [unrolled: 1-line block ×3, first 2 shown]
	v_and_b32_e32 v7, 0xff, v6
	s_nop 1
	v_mov_b32_dpp v7, v7 row_shr:1 row_mask:0xf bank_mask:0xf
	v_cndmask_b32_e64 v7, v7, 0, s[2:3]
	v_add_u16_e32 v6, v6, v7
	v_and_b32_e32 v7, 0xff, v6
	s_nop 1
	v_mov_b32_dpp v7, v7 row_shr:2 row_mask:0xf bank_mask:0xf
	v_cndmask_b32_e64 v7, 0, v7, s[4:5]
	v_add_u16_e32 v6, v6, v7
	;; [unrolled: 5-line block ×4, first 2 shown]
	v_and_b32_e32 v7, 0xff, v6
	s_nop 1
	v_mov_b32_dpp v7, v7 row_bcast:15 row_mask:0xf bank_mask:0xf
	v_cndmask_b32_e64 v7, v7, 0, s[10:11]
	v_add_u16_e32 v6, v6, v7
	v_and_b32_e32 v7, 0xff, v6
	s_nop 1
	v_mov_b32_dpp v7, v7 row_bcast:31 row_mask:0xf bank_mask:0xf
	v_cndmask_b32_e64 v7, 0, v7, s[0:1]
	v_add_u16_e32 v6, v6, v7
	s_and_saveexec_b64 s[14:15], vcc
; %bb.2:                                ;   in Loop: Header=BB128_1 Depth=1
	ds_write_b8 v2, v6
; %bb.3:                                ;   in Loop: Header=BB128_1 Depth=1
	s_or_b64 exec, exec, s[14:15]
	v_add_u16_e32 v6, s20, v6
	v_and_b32_e32 v6, 0xff, v6
	ds_bpermute_b32 v6, v0, v6
	v_mov_b32_e32 v7, s20
	s_add_i32 s16, s16, -1
	s_cmp_lg_u32 s16, 0
	s_waitcnt lgkmcnt(0)
	v_cndmask_b32_e64 v8, v6, v7, s[12:13]
	v_add_u16_e32 v9, v8, v3
	v_add_u16_e32 v7, v9, v5
	;; [unrolled: 1-line block ×3, first 2 shown]
	; wave barrier
	s_cbranch_scc0 .LBB128_5
; %bb.4:                                ;   in Loop: Header=BB128_1 Depth=1
	v_mov_b32_e32 v3, v8
	v_mov_b32_e32 v5, v9
	;; [unrolled: 1-line block ×3, first 2 shown]
	s_branch .LBB128_1
.LBB128_5:
	v_lshlrev_b16_e32 v0, 8, v9
	v_lshlrev_b16_e32 v2, 8, v6
	v_or_b32_sdwa v0, v8, v0 dst_sel:DWORD dst_unused:UNUSED_PAD src0_sel:BYTE_0 src1_sel:DWORD
	v_or_b32_sdwa v2, v7, v2 dst_sel:WORD_1 dst_unused:UNUSED_PAD src0_sel:BYTE_0 src1_sel:DWORD
	v_or_b32_sdwa v2, v0, v2 dst_sel:DWORD dst_unused:UNUSED_PAD src0_sel:WORD_0 src1_sel:DWORD
	v_mov_b32_e32 v3, s19
	v_add_co_u32_e32 v0, vcc, s18, v1
	v_addc_co_u32_e32 v1, vcc, 0, v3, vcc
	global_store_dword v[0:1], v2, off
	s_endpgm
	.section	.rodata,"a",@progbits
	.p2align	6, 0x0
	.amdhsa_kernel _Z6kernelI14exclusive_scanILN6hipcub18BlockScanAlgorithmE1EEhLj64ELj4ELj100EEvPKT0_PS4_S4_
		.amdhsa_group_segment_fixed_size 1
		.amdhsa_private_segment_fixed_size 0
		.amdhsa_kernarg_size 280
		.amdhsa_user_sgpr_count 6
		.amdhsa_user_sgpr_private_segment_buffer 1
		.amdhsa_user_sgpr_dispatch_ptr 0
		.amdhsa_user_sgpr_queue_ptr 0
		.amdhsa_user_sgpr_kernarg_segment_ptr 1
		.amdhsa_user_sgpr_dispatch_id 0
		.amdhsa_user_sgpr_flat_scratch_init 0
		.amdhsa_user_sgpr_private_segment_size 0
		.amdhsa_uses_dynamic_stack 0
		.amdhsa_system_sgpr_private_segment_wavefront_offset 0
		.amdhsa_system_sgpr_workgroup_id_x 1
		.amdhsa_system_sgpr_workgroup_id_y 0
		.amdhsa_system_sgpr_workgroup_id_z 0
		.amdhsa_system_sgpr_workgroup_info 0
		.amdhsa_system_vgpr_workitem_id 0
		.amdhsa_next_free_vgpr 10
		.amdhsa_next_free_sgpr 21
		.amdhsa_reserve_vcc 1
		.amdhsa_reserve_flat_scratch 0
		.amdhsa_float_round_mode_32 0
		.amdhsa_float_round_mode_16_64 0
		.amdhsa_float_denorm_mode_32 3
		.amdhsa_float_denorm_mode_16_64 3
		.amdhsa_dx10_clamp 1
		.amdhsa_ieee_mode 1
		.amdhsa_fp16_overflow 0
		.amdhsa_exception_fp_ieee_invalid_op 0
		.amdhsa_exception_fp_denorm_src 0
		.amdhsa_exception_fp_ieee_div_zero 0
		.amdhsa_exception_fp_ieee_overflow 0
		.amdhsa_exception_fp_ieee_underflow 0
		.amdhsa_exception_fp_ieee_inexact 0
		.amdhsa_exception_int_div_zero 0
	.end_amdhsa_kernel
	.section	.text._Z6kernelI14exclusive_scanILN6hipcub18BlockScanAlgorithmE1EEhLj64ELj4ELj100EEvPKT0_PS4_S4_,"axG",@progbits,_Z6kernelI14exclusive_scanILN6hipcub18BlockScanAlgorithmE1EEhLj64ELj4ELj100EEvPKT0_PS4_S4_,comdat
.Lfunc_end128:
	.size	_Z6kernelI14exclusive_scanILN6hipcub18BlockScanAlgorithmE1EEhLj64ELj4ELj100EEvPKT0_PS4_S4_, .Lfunc_end128-_Z6kernelI14exclusive_scanILN6hipcub18BlockScanAlgorithmE1EEhLj64ELj4ELj100EEvPKT0_PS4_S4_
                                        ; -- End function
	.set _Z6kernelI14exclusive_scanILN6hipcub18BlockScanAlgorithmE1EEhLj64ELj4ELj100EEvPKT0_PS4_S4_.num_vgpr, 10
	.set _Z6kernelI14exclusive_scanILN6hipcub18BlockScanAlgorithmE1EEhLj64ELj4ELj100EEvPKT0_PS4_S4_.num_agpr, 0
	.set _Z6kernelI14exclusive_scanILN6hipcub18BlockScanAlgorithmE1EEhLj64ELj4ELj100EEvPKT0_PS4_S4_.numbered_sgpr, 21
	.set _Z6kernelI14exclusive_scanILN6hipcub18BlockScanAlgorithmE1EEhLj64ELj4ELj100EEvPKT0_PS4_S4_.num_named_barrier, 0
	.set _Z6kernelI14exclusive_scanILN6hipcub18BlockScanAlgorithmE1EEhLj64ELj4ELj100EEvPKT0_PS4_S4_.private_seg_size, 0
	.set _Z6kernelI14exclusive_scanILN6hipcub18BlockScanAlgorithmE1EEhLj64ELj4ELj100EEvPKT0_PS4_S4_.uses_vcc, 1
	.set _Z6kernelI14exclusive_scanILN6hipcub18BlockScanAlgorithmE1EEhLj64ELj4ELj100EEvPKT0_PS4_S4_.uses_flat_scratch, 0
	.set _Z6kernelI14exclusive_scanILN6hipcub18BlockScanAlgorithmE1EEhLj64ELj4ELj100EEvPKT0_PS4_S4_.has_dyn_sized_stack, 0
	.set _Z6kernelI14exclusive_scanILN6hipcub18BlockScanAlgorithmE1EEhLj64ELj4ELj100EEvPKT0_PS4_S4_.has_recursion, 0
	.set _Z6kernelI14exclusive_scanILN6hipcub18BlockScanAlgorithmE1EEhLj64ELj4ELj100EEvPKT0_PS4_S4_.has_indirect_call, 0
	.section	.AMDGPU.csdata,"",@progbits
; Kernel info:
; codeLenInByte = 552
; TotalNumSgprs: 25
; NumVgprs: 10
; ScratchSize: 0
; MemoryBound: 0
; FloatMode: 240
; IeeeMode: 1
; LDSByteSize: 1 bytes/workgroup (compile time only)
; SGPRBlocks: 3
; VGPRBlocks: 2
; NumSGPRsForWavesPerEU: 25
; NumVGPRsForWavesPerEU: 10
; Occupancy: 10
; WaveLimiterHint : 0
; COMPUTE_PGM_RSRC2:SCRATCH_EN: 0
; COMPUTE_PGM_RSRC2:USER_SGPR: 6
; COMPUTE_PGM_RSRC2:TRAP_HANDLER: 0
; COMPUTE_PGM_RSRC2:TGID_X_EN: 1
; COMPUTE_PGM_RSRC2:TGID_Y_EN: 0
; COMPUTE_PGM_RSRC2:TGID_Z_EN: 0
; COMPUTE_PGM_RSRC2:TIDIG_COMP_CNT: 0
	.section	.text._Z6kernelI14exclusive_scanILN6hipcub18BlockScanAlgorithmE1EEhLj64ELj8ELj100EEvPKT0_PS4_S4_,"axG",@progbits,_Z6kernelI14exclusive_scanILN6hipcub18BlockScanAlgorithmE1EEhLj64ELj8ELj100EEvPKT0_PS4_S4_,comdat
	.protected	_Z6kernelI14exclusive_scanILN6hipcub18BlockScanAlgorithmE1EEhLj64ELj8ELj100EEvPKT0_PS4_S4_ ; -- Begin function _Z6kernelI14exclusive_scanILN6hipcub18BlockScanAlgorithmE1EEhLj64ELj8ELj100EEvPKT0_PS4_S4_
	.globl	_Z6kernelI14exclusive_scanILN6hipcub18BlockScanAlgorithmE1EEhLj64ELj8ELj100EEvPKT0_PS4_S4_
	.p2align	8
	.type	_Z6kernelI14exclusive_scanILN6hipcub18BlockScanAlgorithmE1EEhLj64ELj8ELj100EEvPKT0_PS4_S4_,@function
_Z6kernelI14exclusive_scanILN6hipcub18BlockScanAlgorithmE1EEhLj64ELj8ELj100EEvPKT0_PS4_S4_: ; @_Z6kernelI14exclusive_scanILN6hipcub18BlockScanAlgorithmE1EEhLj64ELj8ELj100EEvPKT0_PS4_S4_
; %bb.0:
	s_load_dword s0, s[4:5], 0x24
	s_load_dwordx4 s[16:19], s[4:5], 0x0
	s_load_dword s20, s[4:5], 0x10
	v_mbcnt_lo_u32_b32 v5, -1, 0
	v_mbcnt_hi_u32_b32 v5, -1, v5
	s_waitcnt lgkmcnt(0)
	s_and_b32 s0, s0, 0xffff
	s_mul_i32 s6, s6, s0
	v_add_lshl_u32 v3, s6, v0, 3
	global_load_dwordx2 v[1:2], v3, s[16:17]
	v_and_b32_e32 v6, 15, v5
	v_cmp_eq_u32_e32 vcc, 0, v6
	v_cmp_lt_u32_e64 s[0:1], 1, v6
	v_cmp_lt_u32_e64 s[2:3], 3, v6
	;; [unrolled: 1-line block ×3, first 2 shown]
	v_and_b32_e32 v6, 16, v5
	v_cmp_eq_u32_e64 s[6:7], 0, v6
	v_subrev_co_u32_e64 v6, s[12:13], 1, v5
	v_and_b32_e32 v7, 64, v5
	v_cmp_lt_i32_e64 s[14:15], v6, v7
	v_cmp_lt_u32_e64 s[8:9], 31, v5
	v_cndmask_b32_e64 v5, v6, v5, s[14:15]
	v_cmp_eq_u32_e64 s[14:15], 0, v0
	v_mov_b32_e32 v4, 0
	v_cmp_eq_u32_e64 s[10:11], 63, v0
	v_lshlrev_b32_e32 v5, 2, v5
	s_or_b64 s[12:13], s[14:15], s[12:13]
	s_movk_i32 s16, 0x64
	s_branch .LBB129_2
.LBB129_1:                              ;   in Loop: Header=BB129_2 Depth=1
	s_or_b64 exec, exec, s[14:15]
	v_add_u16_e32 v7, s20, v7
	v_and_b32_e32 v7, 0xff, v7
	ds_bpermute_b32 v7, v5, v7
	v_mov_b32_e32 v8, s20
	s_add_i32 s16, s16, -1
	s_cmp_lg_u32 s16, 0
	s_waitcnt lgkmcnt(0)
	v_cndmask_b32_e64 v7, v7, v8, s[12:13]
	v_add_u16_e32 v8, v7, v1
	v_add_u16_e32 v6, v8, v6
	v_add_u16_sdwa v9, v6, v1 dst_sel:DWORD dst_unused:UNUSED_PAD src0_sel:DWORD src1_sel:WORD_1
	v_add_u16_sdwa v10, v9, v1 dst_sel:DWORD dst_unused:UNUSED_PAD src0_sel:DWORD src1_sel:BYTE_3
	v_add_u16_e32 v11, v10, v2
	v_add_u16_e32 v0, v11, v0
	v_lshlrev_b16_e32 v13, 8, v8
	v_add_u16_sdwa v12, v0, v2 dst_sel:DWORD dst_unused:UNUSED_PAD src0_sel:DWORD src1_sel:WORD_1
	v_lshlrev_b16_e32 v2, 8, v9
	v_or_b32_sdwa v1, v7, v13 dst_sel:DWORD dst_unused:UNUSED_PAD src0_sel:BYTE_0 src1_sel:DWORD
	v_or_b32_sdwa v2, v6, v2 dst_sel:WORD_1 dst_unused:UNUSED_PAD src0_sel:BYTE_0 src1_sel:DWORD
	v_or_b32_sdwa v1, v1, v2 dst_sel:DWORD dst_unused:UNUSED_PAD src0_sel:WORD_0 src1_sel:DWORD
	v_lshlrev_b16_e32 v2, 8, v11
	v_lshlrev_b16_e32 v13, 8, v12
	v_or_b32_sdwa v2, v10, v2 dst_sel:DWORD dst_unused:UNUSED_PAD src0_sel:BYTE_0 src1_sel:DWORD
	v_or_b32_sdwa v13, v0, v13 dst_sel:WORD_1 dst_unused:UNUSED_PAD src0_sel:BYTE_0 src1_sel:DWORD
	v_or_b32_sdwa v2, v2, v13 dst_sel:DWORD dst_unused:UNUSED_PAD src0_sel:WORD_0 src1_sel:DWORD
	; wave barrier
	s_cbranch_scc0 .LBB129_4
.LBB129_2:                              ; =>This Inner Loop Header: Depth=1
	s_waitcnt vmcnt(0)
	v_lshrrev_b32_e32 v6, 8, v1
	v_add_u16_e32 v7, v6, v1
	v_add_u16_sdwa v7, v7, v1 dst_sel:DWORD dst_unused:UNUSED_PAD src0_sel:DWORD src1_sel:WORD_1
	v_add_u16_sdwa v7, v7, v1 dst_sel:DWORD dst_unused:UNUSED_PAD src0_sel:DWORD src1_sel:BYTE_3
	v_lshrrev_b32_e32 v0, 8, v2
	v_add_u16_e32 v7, v7, v2
	v_add_u16_e32 v7, v7, v0
	v_add_u16_sdwa v7, v7, v2 dst_sel:DWORD dst_unused:UNUSED_PAD src0_sel:DWORD src1_sel:WORD_1
	v_add_u16_sdwa v7, v7, v2 dst_sel:DWORD dst_unused:UNUSED_PAD src0_sel:DWORD src1_sel:BYTE_3
	v_and_b32_e32 v8, 0xff, v7
	s_nop 1
	v_mov_b32_dpp v8, v8 row_shr:1 row_mask:0xf bank_mask:0xf
	v_cndmask_b32_e64 v8, v8, 0, vcc
	v_add_u16_e32 v7, v7, v8
	v_and_b32_e32 v8, 0xff, v7
	s_nop 1
	v_mov_b32_dpp v8, v8 row_shr:2 row_mask:0xf bank_mask:0xf
	v_cndmask_b32_e64 v8, 0, v8, s[0:1]
	v_add_u16_e32 v7, v7, v8
	v_and_b32_e32 v8, 0xff, v7
	s_nop 1
	v_mov_b32_dpp v8, v8 row_shr:4 row_mask:0xf bank_mask:0xf
	v_cndmask_b32_e64 v8, 0, v8, s[2:3]
	v_add_u16_e32 v7, v7, v8
	v_and_b32_e32 v8, 0xff, v7
	s_nop 1
	v_mov_b32_dpp v8, v8 row_shr:8 row_mask:0xf bank_mask:0xf
	v_cndmask_b32_e64 v8, 0, v8, s[4:5]
	v_add_u16_e32 v7, v7, v8
	v_and_b32_e32 v8, 0xff, v7
	s_nop 1
	v_mov_b32_dpp v8, v8 row_bcast:15 row_mask:0xf bank_mask:0xf
	v_cndmask_b32_e64 v8, v8, 0, s[6:7]
	v_add_u16_e32 v7, v7, v8
	v_and_b32_e32 v8, 0xff, v7
	s_nop 1
	v_mov_b32_dpp v8, v8 row_bcast:31 row_mask:0xf bank_mask:0xf
	v_cndmask_b32_e64 v8, 0, v8, s[8:9]
	v_add_u16_e32 v7, v7, v8
	s_and_saveexec_b64 s[14:15], s[10:11]
	s_cbranch_execz .LBB129_1
; %bb.3:                                ;   in Loop: Header=BB129_2 Depth=1
	ds_write_b8 v4, v7
	s_branch .LBB129_1
.LBB129_4:
	s_mov_b32 s0, 0xc0c0004
	v_add_co_u32_e32 v1, vcc, s18, v3
	v_perm_b32 v3, v10, v11, s0
	v_perm_b32 v0, v0, v12, s0
	v_mov_b32_e32 v2, s19
	v_lshl_or_b32 v4, v0, 16, v3
	v_perm_b32 v0, v7, v8, s0
	v_perm_b32 v3, v6, v9, s0
	v_addc_co_u32_e32 v2, vcc, 0, v2, vcc
	v_lshl_or_b32 v3, v3, 16, v0
	global_store_dwordx2 v[1:2], v[3:4], off
	s_endpgm
	.section	.rodata,"a",@progbits
	.p2align	6, 0x0
	.amdhsa_kernel _Z6kernelI14exclusive_scanILN6hipcub18BlockScanAlgorithmE1EEhLj64ELj8ELj100EEvPKT0_PS4_S4_
		.amdhsa_group_segment_fixed_size 1
		.amdhsa_private_segment_fixed_size 0
		.amdhsa_kernarg_size 280
		.amdhsa_user_sgpr_count 6
		.amdhsa_user_sgpr_private_segment_buffer 1
		.amdhsa_user_sgpr_dispatch_ptr 0
		.amdhsa_user_sgpr_queue_ptr 0
		.amdhsa_user_sgpr_kernarg_segment_ptr 1
		.amdhsa_user_sgpr_dispatch_id 0
		.amdhsa_user_sgpr_flat_scratch_init 0
		.amdhsa_user_sgpr_private_segment_size 0
		.amdhsa_uses_dynamic_stack 0
		.amdhsa_system_sgpr_private_segment_wavefront_offset 0
		.amdhsa_system_sgpr_workgroup_id_x 1
		.amdhsa_system_sgpr_workgroup_id_y 0
		.amdhsa_system_sgpr_workgroup_id_z 0
		.amdhsa_system_sgpr_workgroup_info 0
		.amdhsa_system_vgpr_workitem_id 0
		.amdhsa_next_free_vgpr 14
		.amdhsa_next_free_sgpr 21
		.amdhsa_reserve_vcc 1
		.amdhsa_reserve_flat_scratch 0
		.amdhsa_float_round_mode_32 0
		.amdhsa_float_round_mode_16_64 0
		.amdhsa_float_denorm_mode_32 3
		.amdhsa_float_denorm_mode_16_64 3
		.amdhsa_dx10_clamp 1
		.amdhsa_ieee_mode 1
		.amdhsa_fp16_overflow 0
		.amdhsa_exception_fp_ieee_invalid_op 0
		.amdhsa_exception_fp_denorm_src 0
		.amdhsa_exception_fp_ieee_div_zero 0
		.amdhsa_exception_fp_ieee_overflow 0
		.amdhsa_exception_fp_ieee_underflow 0
		.amdhsa_exception_fp_ieee_inexact 0
		.amdhsa_exception_int_div_zero 0
	.end_amdhsa_kernel
	.section	.text._Z6kernelI14exclusive_scanILN6hipcub18BlockScanAlgorithmE1EEhLj64ELj8ELj100EEvPKT0_PS4_S4_,"axG",@progbits,_Z6kernelI14exclusive_scanILN6hipcub18BlockScanAlgorithmE1EEhLj64ELj8ELj100EEvPKT0_PS4_S4_,comdat
.Lfunc_end129:
	.size	_Z6kernelI14exclusive_scanILN6hipcub18BlockScanAlgorithmE1EEhLj64ELj8ELj100EEvPKT0_PS4_S4_, .Lfunc_end129-_Z6kernelI14exclusive_scanILN6hipcub18BlockScanAlgorithmE1EEhLj64ELj8ELj100EEvPKT0_PS4_S4_
                                        ; -- End function
	.set _Z6kernelI14exclusive_scanILN6hipcub18BlockScanAlgorithmE1EEhLj64ELj8ELj100EEvPKT0_PS4_S4_.num_vgpr, 14
	.set _Z6kernelI14exclusive_scanILN6hipcub18BlockScanAlgorithmE1EEhLj64ELj8ELj100EEvPKT0_PS4_S4_.num_agpr, 0
	.set _Z6kernelI14exclusive_scanILN6hipcub18BlockScanAlgorithmE1EEhLj64ELj8ELj100EEvPKT0_PS4_S4_.numbered_sgpr, 21
	.set _Z6kernelI14exclusive_scanILN6hipcub18BlockScanAlgorithmE1EEhLj64ELj8ELj100EEvPKT0_PS4_S4_.num_named_barrier, 0
	.set _Z6kernelI14exclusive_scanILN6hipcub18BlockScanAlgorithmE1EEhLj64ELj8ELj100EEvPKT0_PS4_S4_.private_seg_size, 0
	.set _Z6kernelI14exclusive_scanILN6hipcub18BlockScanAlgorithmE1EEhLj64ELj8ELj100EEvPKT0_PS4_S4_.uses_vcc, 1
	.set _Z6kernelI14exclusive_scanILN6hipcub18BlockScanAlgorithmE1EEhLj64ELj8ELj100EEvPKT0_PS4_S4_.uses_flat_scratch, 0
	.set _Z6kernelI14exclusive_scanILN6hipcub18BlockScanAlgorithmE1EEhLj64ELj8ELj100EEvPKT0_PS4_S4_.has_dyn_sized_stack, 0
	.set _Z6kernelI14exclusive_scanILN6hipcub18BlockScanAlgorithmE1EEhLj64ELj8ELj100EEvPKT0_PS4_S4_.has_recursion, 0
	.set _Z6kernelI14exclusive_scanILN6hipcub18BlockScanAlgorithmE1EEhLj64ELj8ELj100EEvPKT0_PS4_S4_.has_indirect_call, 0
	.section	.AMDGPU.csdata,"",@progbits
; Kernel info:
; codeLenInByte = 692
; TotalNumSgprs: 25
; NumVgprs: 14
; ScratchSize: 0
; MemoryBound: 0
; FloatMode: 240
; IeeeMode: 1
; LDSByteSize: 1 bytes/workgroup (compile time only)
; SGPRBlocks: 3
; VGPRBlocks: 3
; NumSGPRsForWavesPerEU: 25
; NumVGPRsForWavesPerEU: 14
; Occupancy: 10
; WaveLimiterHint : 0
; COMPUTE_PGM_RSRC2:SCRATCH_EN: 0
; COMPUTE_PGM_RSRC2:USER_SGPR: 6
; COMPUTE_PGM_RSRC2:TRAP_HANDLER: 0
; COMPUTE_PGM_RSRC2:TGID_X_EN: 1
; COMPUTE_PGM_RSRC2:TGID_Y_EN: 0
; COMPUTE_PGM_RSRC2:TGID_Z_EN: 0
; COMPUTE_PGM_RSRC2:TIDIG_COMP_CNT: 0
	.section	.text._Z6kernelI14exclusive_scanILN6hipcub18BlockScanAlgorithmE1EEhLj64ELj11ELj100EEvPKT0_PS4_S4_,"axG",@progbits,_Z6kernelI14exclusive_scanILN6hipcub18BlockScanAlgorithmE1EEhLj64ELj11ELj100EEvPKT0_PS4_S4_,comdat
	.protected	_Z6kernelI14exclusive_scanILN6hipcub18BlockScanAlgorithmE1EEhLj64ELj11ELj100EEvPKT0_PS4_S4_ ; -- Begin function _Z6kernelI14exclusive_scanILN6hipcub18BlockScanAlgorithmE1EEhLj64ELj11ELj100EEvPKT0_PS4_S4_
	.globl	_Z6kernelI14exclusive_scanILN6hipcub18BlockScanAlgorithmE1EEhLj64ELj11ELj100EEvPKT0_PS4_S4_
	.p2align	8
	.type	_Z6kernelI14exclusive_scanILN6hipcub18BlockScanAlgorithmE1EEhLj64ELj11ELj100EEvPKT0_PS4_S4_,@function
_Z6kernelI14exclusive_scanILN6hipcub18BlockScanAlgorithmE1EEhLj64ELj11ELj100EEvPKT0_PS4_S4_: ; @_Z6kernelI14exclusive_scanILN6hipcub18BlockScanAlgorithmE1EEhLj64ELj11ELj100EEvPKT0_PS4_S4_
; %bb.0:
	s_load_dword s0, s[4:5], 0x24
	s_load_dword s18, s[4:5], 0x10
	s_load_dwordx4 s[20:23], s[4:5], 0x0
	v_mbcnt_lo_u32_b32 v7, -1, 0
	v_mbcnt_hi_u32_b32 v11, -1, v7
	s_waitcnt lgkmcnt(0)
	s_and_b32 s0, s0, 0xffff
	s_mul_i32 s6, s6, s0
	v_add_u32_e32 v1, s6, v0
	v_mul_lo_u32 v6, v1, 11
	v_subrev_co_u32_e64 v14, s[14:15], 1, v11
	v_and_b32_e32 v8, 64, v11
	v_add_u32_e32 v3, 3, v6
	v_add_u32_e32 v5, 1, v6
	;; [unrolled: 1-line block ×5, first 2 shown]
	global_load_ubyte v16, v6, s[20:21]
	global_load_ubyte v17, v5, s[20:21]
	global_load_ubyte v18, v4, s[20:21]
	v_cmp_eq_u32_e32 vcc, 63, v0
	v_cmp_eq_u32_e64 s[12:13], 0, v0
	v_and_b32_e32 v0, 15, v11
	v_and_b32_e32 v7, 16, v11
	v_cmp_lt_i32_e64 s[16:17], v14, v8
	v_add_u32_e32 v10, 6, v6
	v_add_u32_e32 v9, 7, v6
	v_add_u32_e32 v8, 8, v6
	global_load_ubyte v19, v3, s[20:21]
	global_load_ubyte v20, v1, s[20:21]
	;; [unrolled: 1-line block ×5, first 2 shown]
	v_cmp_eq_u32_e64 s[0:1], 0, v0
	v_cmp_lt_u32_e64 s[2:3], 1, v0
	v_cmp_lt_u32_e64 s[4:5], 3, v0
	;; [unrolled: 1-line block ×3, first 2 shown]
	v_cmp_eq_u32_e64 s[8:9], 0, v7
	v_add_u32_e32 v7, 9, v6
	v_add_u32_e32 v0, 10, v6
	global_load_ubyte v13, v8, s[20:21]
	global_load_ubyte v12, v7, s[20:21]
	;; [unrolled: 1-line block ×3, first 2 shown]
	s_mov_b32 s19, 0xc0c0004
	v_cndmask_b32_e64 v14, v14, v11, s[16:17]
	v_cmp_lt_u32_e64 s[10:11], 31, v11
	v_mov_b32_e32 v11, 0
	s_or_b64 s[12:13], s[12:13], s[14:15]
	v_lshlrev_b32_e32 v14, 2, v14
	s_movk_i32 s16, 0x64
	s_waitcnt vmcnt(9)
	v_perm_b32 v16, v16, v17, s19
	s_waitcnt vmcnt(7)
	v_perm_b32 v17, v18, v19, s19
	v_lshl_or_b32 v16, v17, 16, v16
	s_waitcnt vmcnt(5)
	v_perm_b32 v18, v21, v20, s19
	s_waitcnt vmcnt(3)
	v_perm_b32 v19, v23, v22, s19
	v_lshl_or_b32 v17, v19, 16, v18
.LBB130_1:                              ; =>This Inner Loop Header: Depth=1
	v_lshrrev_b32_e32 v19, 8, v16
	v_add_u16_e32 v20, v19, v16
	v_add_u16_sdwa v20, v20, v16 dst_sel:DWORD dst_unused:UNUSED_PAD src0_sel:DWORD src1_sel:WORD_1
	v_add_u16_sdwa v20, v20, v16 dst_sel:DWORD dst_unused:UNUSED_PAD src0_sel:DWORD src1_sel:BYTE_3
	v_lshrrev_b32_e32 v18, 8, v17
	v_add_u16_e32 v20, v20, v17
	v_add_u16_e32 v20, v20, v18
	v_add_u16_sdwa v20, v20, v17 dst_sel:DWORD dst_unused:UNUSED_PAD src0_sel:DWORD src1_sel:WORD_1
	v_add_u16_sdwa v20, v20, v17 dst_sel:DWORD dst_unused:UNUSED_PAD src0_sel:DWORD src1_sel:BYTE_3
	s_waitcnt vmcnt(2)
	v_add_u16_e32 v20, v20, v13
	s_waitcnt vmcnt(1)
	v_add_u16_e32 v20, v20, v12
	;; [unrolled: 2-line block ×3, first 2 shown]
	v_and_b32_e32 v20, 0xff, v15
	s_nop 1
	v_mov_b32_dpp v20, v20 row_shr:1 row_mask:0xf bank_mask:0xf
	v_cndmask_b32_e64 v20, v20, 0, s[0:1]
	v_add_u16_e32 v15, v15, v20
	v_and_b32_e32 v20, 0xff, v15
	s_nop 1
	v_mov_b32_dpp v20, v20 row_shr:2 row_mask:0xf bank_mask:0xf
	v_cndmask_b32_e64 v20, 0, v20, s[2:3]
	v_add_u16_e32 v15, v15, v20
	;; [unrolled: 5-line block ×4, first 2 shown]
	v_and_b32_e32 v20, 0xff, v15
	s_nop 1
	v_mov_b32_dpp v20, v20 row_bcast:15 row_mask:0xf bank_mask:0xf
	v_cndmask_b32_e64 v20, v20, 0, s[8:9]
	v_add_u16_e32 v15, v15, v20
	v_and_b32_e32 v20, 0xff, v15
	s_nop 1
	v_mov_b32_dpp v20, v20 row_bcast:31 row_mask:0xf bank_mask:0xf
	v_cndmask_b32_e64 v20, 0, v20, s[10:11]
	v_add_u16_e32 v15, v15, v20
	s_and_saveexec_b64 s[14:15], vcc
; %bb.2:                                ;   in Loop: Header=BB130_1 Depth=1
	ds_write_b8 v11, v15
; %bb.3:                                ;   in Loop: Header=BB130_1 Depth=1
	s_or_b64 exec, exec, s[14:15]
	v_add_u16_e32 v15, s18, v15
	v_and_b32_e32 v15, 0xff, v15
	ds_bpermute_b32 v15, v14, v15
	v_mov_b32_e32 v20, s18
	s_add_i32 s16, s16, -1
	s_cmp_lg_u32 s16, 0
	s_waitcnt lgkmcnt(0)
	v_cndmask_b32_e64 v27, v15, v20, s[12:13]
	v_add_u16_e32 v26, v27, v16
	v_add_u16_e32 v22, v26, v19
	v_add_u16_sdwa v24, v22, v16 dst_sel:DWORD dst_unused:UNUSED_PAD src0_sel:DWORD src1_sel:WORD_1
	v_add_u16_sdwa v25, v24, v16 dst_sel:DWORD dst_unused:UNUSED_PAD src0_sel:DWORD src1_sel:BYTE_3
	v_add_u16_e32 v23, v25, v17
	v_lshlrev_b16_e32 v15, 8, v26
	v_lshlrev_b16_e32 v16, 8, v24
	v_add_u16_e32 v21, v23, v18
	v_or_b32_sdwa v15, v27, v15 dst_sel:DWORD dst_unused:UNUSED_PAD src0_sel:BYTE_0 src1_sel:DWORD
	v_or_b32_sdwa v16, v22, v16 dst_sel:WORD_1 dst_unused:UNUSED_PAD src0_sel:BYTE_0 src1_sel:DWORD
	v_add_u16_sdwa v20, v21, v17 dst_sel:DWORD dst_unused:UNUSED_PAD src0_sel:DWORD src1_sel:WORD_1
	v_or_b32_sdwa v16, v15, v16 dst_sel:DWORD dst_unused:UNUSED_PAD src0_sel:WORD_0 src1_sel:DWORD
	v_add_u16_sdwa v18, v20, v17 dst_sel:DWORD dst_unused:UNUSED_PAD src0_sel:DWORD src1_sel:BYTE_3
	v_lshlrev_b16_e32 v15, 8, v23
	v_lshlrev_b16_e32 v17, 8, v20
	v_or_b32_sdwa v15, v25, v15 dst_sel:DWORD dst_unused:UNUSED_PAD src0_sel:BYTE_0 src1_sel:DWORD
	v_or_b32_sdwa v17, v21, v17 dst_sel:WORD_1 dst_unused:UNUSED_PAD src0_sel:BYTE_0 src1_sel:DWORD
	v_add_u16_e32 v19, v18, v13
	v_or_b32_sdwa v17, v15, v17 dst_sel:DWORD dst_unused:UNUSED_PAD src0_sel:WORD_0 src1_sel:DWORD
	v_add_u16_e32 v15, v19, v12
	; wave barrier
	s_cbranch_scc0 .LBB130_5
; %bb.4:                                ;   in Loop: Header=BB130_1 Depth=1
	v_mov_b32_e32 v13, v18
	v_mov_b32_e32 v12, v19
	s_branch .LBB130_1
.LBB130_5:
	v_mov_b32_e32 v12, s23
	v_add_co_u32_e32 v11, vcc, s22, v6
	v_addc_co_u32_e32 v12, vcc, 0, v12, vcc
	v_mov_b32_e32 v6, s23
	v_add_co_u32_e32 v5, vcc, s22, v5
	v_addc_co_u32_e32 v6, vcc, 0, v6, vcc
	global_store_byte v[5:6], v26, off
	v_mov_b32_e32 v5, s23
	v_add_co_u32_e32 v4, vcc, s22, v4
	v_addc_co_u32_e32 v5, vcc, 0, v5, vcc
	global_store_byte v[4:5], v22, off
	;; [unrolled: 4-line block ×10, first 2 shown]
	global_store_byte v[0:1], v15, off
	s_endpgm
	.section	.rodata,"a",@progbits
	.p2align	6, 0x0
	.amdhsa_kernel _Z6kernelI14exclusive_scanILN6hipcub18BlockScanAlgorithmE1EEhLj64ELj11ELj100EEvPKT0_PS4_S4_
		.amdhsa_group_segment_fixed_size 1
		.amdhsa_private_segment_fixed_size 0
		.amdhsa_kernarg_size 280
		.amdhsa_user_sgpr_count 6
		.amdhsa_user_sgpr_private_segment_buffer 1
		.amdhsa_user_sgpr_dispatch_ptr 0
		.amdhsa_user_sgpr_queue_ptr 0
		.amdhsa_user_sgpr_kernarg_segment_ptr 1
		.amdhsa_user_sgpr_dispatch_id 0
		.amdhsa_user_sgpr_flat_scratch_init 0
		.amdhsa_user_sgpr_private_segment_size 0
		.amdhsa_uses_dynamic_stack 0
		.amdhsa_system_sgpr_private_segment_wavefront_offset 0
		.amdhsa_system_sgpr_workgroup_id_x 1
		.amdhsa_system_sgpr_workgroup_id_y 0
		.amdhsa_system_sgpr_workgroup_id_z 0
		.amdhsa_system_sgpr_workgroup_info 0
		.amdhsa_system_vgpr_workitem_id 0
		.amdhsa_next_free_vgpr 28
		.amdhsa_next_free_sgpr 24
		.amdhsa_reserve_vcc 1
		.amdhsa_reserve_flat_scratch 0
		.amdhsa_float_round_mode_32 0
		.amdhsa_float_round_mode_16_64 0
		.amdhsa_float_denorm_mode_32 3
		.amdhsa_float_denorm_mode_16_64 3
		.amdhsa_dx10_clamp 1
		.amdhsa_ieee_mode 1
		.amdhsa_fp16_overflow 0
		.amdhsa_exception_fp_ieee_invalid_op 0
		.amdhsa_exception_fp_denorm_src 0
		.amdhsa_exception_fp_ieee_div_zero 0
		.amdhsa_exception_fp_ieee_overflow 0
		.amdhsa_exception_fp_ieee_underflow 0
		.amdhsa_exception_fp_ieee_inexact 0
		.amdhsa_exception_int_div_zero 0
	.end_amdhsa_kernel
	.section	.text._Z6kernelI14exclusive_scanILN6hipcub18BlockScanAlgorithmE1EEhLj64ELj11ELj100EEvPKT0_PS4_S4_,"axG",@progbits,_Z6kernelI14exclusive_scanILN6hipcub18BlockScanAlgorithmE1EEhLj64ELj11ELj100EEvPKT0_PS4_S4_,comdat
.Lfunc_end130:
	.size	_Z6kernelI14exclusive_scanILN6hipcub18BlockScanAlgorithmE1EEhLj64ELj11ELj100EEvPKT0_PS4_S4_, .Lfunc_end130-_Z6kernelI14exclusive_scanILN6hipcub18BlockScanAlgorithmE1EEhLj64ELj11ELj100EEvPKT0_PS4_S4_
                                        ; -- End function
	.set _Z6kernelI14exclusive_scanILN6hipcub18BlockScanAlgorithmE1EEhLj64ELj11ELj100EEvPKT0_PS4_S4_.num_vgpr, 28
	.set _Z6kernelI14exclusive_scanILN6hipcub18BlockScanAlgorithmE1EEhLj64ELj11ELj100EEvPKT0_PS4_S4_.num_agpr, 0
	.set _Z6kernelI14exclusive_scanILN6hipcub18BlockScanAlgorithmE1EEhLj64ELj11ELj100EEvPKT0_PS4_S4_.numbered_sgpr, 24
	.set _Z6kernelI14exclusive_scanILN6hipcub18BlockScanAlgorithmE1EEhLj64ELj11ELj100EEvPKT0_PS4_S4_.num_named_barrier, 0
	.set _Z6kernelI14exclusive_scanILN6hipcub18BlockScanAlgorithmE1EEhLj64ELj11ELj100EEvPKT0_PS4_S4_.private_seg_size, 0
	.set _Z6kernelI14exclusive_scanILN6hipcub18BlockScanAlgorithmE1EEhLj64ELj11ELj100EEvPKT0_PS4_S4_.uses_vcc, 1
	.set _Z6kernelI14exclusive_scanILN6hipcub18BlockScanAlgorithmE1EEhLj64ELj11ELj100EEvPKT0_PS4_S4_.uses_flat_scratch, 0
	.set _Z6kernelI14exclusive_scanILN6hipcub18BlockScanAlgorithmE1EEhLj64ELj11ELj100EEvPKT0_PS4_S4_.has_dyn_sized_stack, 0
	.set _Z6kernelI14exclusive_scanILN6hipcub18BlockScanAlgorithmE1EEhLj64ELj11ELj100EEvPKT0_PS4_S4_.has_recursion, 0
	.set _Z6kernelI14exclusive_scanILN6hipcub18BlockScanAlgorithmE1EEhLj64ELj11ELj100EEvPKT0_PS4_S4_.has_indirect_call, 0
	.section	.AMDGPU.csdata,"",@progbits
; Kernel info:
; codeLenInByte = 1068
; TotalNumSgprs: 28
; NumVgprs: 28
; ScratchSize: 0
; MemoryBound: 0
; FloatMode: 240
; IeeeMode: 1
; LDSByteSize: 1 bytes/workgroup (compile time only)
; SGPRBlocks: 3
; VGPRBlocks: 6
; NumSGPRsForWavesPerEU: 28
; NumVGPRsForWavesPerEU: 28
; Occupancy: 9
; WaveLimiterHint : 0
; COMPUTE_PGM_RSRC2:SCRATCH_EN: 0
; COMPUTE_PGM_RSRC2:USER_SGPR: 6
; COMPUTE_PGM_RSRC2:TRAP_HANDLER: 0
; COMPUTE_PGM_RSRC2:TGID_X_EN: 1
; COMPUTE_PGM_RSRC2:TGID_Y_EN: 0
; COMPUTE_PGM_RSRC2:TGID_Z_EN: 0
; COMPUTE_PGM_RSRC2:TIDIG_COMP_CNT: 0
	.section	.text._Z6kernelI14exclusive_scanILN6hipcub18BlockScanAlgorithmE1EEhLj64ELj16ELj100EEvPKT0_PS4_S4_,"axG",@progbits,_Z6kernelI14exclusive_scanILN6hipcub18BlockScanAlgorithmE1EEhLj64ELj16ELj100EEvPKT0_PS4_S4_,comdat
	.protected	_Z6kernelI14exclusive_scanILN6hipcub18BlockScanAlgorithmE1EEhLj64ELj16ELj100EEvPKT0_PS4_S4_ ; -- Begin function _Z6kernelI14exclusive_scanILN6hipcub18BlockScanAlgorithmE1EEhLj64ELj16ELj100EEvPKT0_PS4_S4_
	.globl	_Z6kernelI14exclusive_scanILN6hipcub18BlockScanAlgorithmE1EEhLj64ELj16ELj100EEvPKT0_PS4_S4_
	.p2align	8
	.type	_Z6kernelI14exclusive_scanILN6hipcub18BlockScanAlgorithmE1EEhLj64ELj16ELj100EEvPKT0_PS4_S4_,@function
_Z6kernelI14exclusive_scanILN6hipcub18BlockScanAlgorithmE1EEhLj64ELj16ELj100EEvPKT0_PS4_S4_: ; @_Z6kernelI14exclusive_scanILN6hipcub18BlockScanAlgorithmE1EEhLj64ELj16ELj100EEvPKT0_PS4_S4_
; %bb.0:
	s_load_dword s0, s[4:5], 0x24
	s_load_dwordx4 s[16:19], s[4:5], 0x0
	s_load_dword s20, s[4:5], 0x10
	v_mbcnt_lo_u32_b32 v6, -1, 0
	v_mbcnt_hi_u32_b32 v6, -1, v6
	s_waitcnt lgkmcnt(0)
	s_and_b32 s0, s0, 0xffff
	s_mul_i32 s6, s6, s0
	v_add_lshl_u32 v5, s6, v0, 4
	global_load_dwordx4 v[1:4], v5, s[16:17]
	v_and_b32_e32 v7, 15, v6
	v_cmp_eq_u32_e32 vcc, 0, v7
	v_cmp_lt_u32_e64 s[0:1], 1, v7
	v_cmp_lt_u32_e64 s[2:3], 3, v7
	v_cmp_lt_u32_e64 s[4:5], 7, v7
	v_and_b32_e32 v7, 16, v6
	v_cmp_eq_u32_e64 s[6:7], 0, v7
	v_subrev_co_u32_e64 v7, s[12:13], 1, v6
	v_and_b32_e32 v8, 64, v6
	v_cmp_lt_i32_e64 s[14:15], v7, v8
	v_cmp_lt_u32_e64 s[8:9], 31, v6
	v_cndmask_b32_e64 v6, v7, v6, s[14:15]
	v_cmp_eq_u32_e64 s[14:15], 0, v0
	v_cmp_eq_u32_e64 s[10:11], 63, v0
	v_lshlrev_b32_e32 v6, 2, v6
	s_or_b64 s[12:13], s[14:15], s[12:13]
	s_movk_i32 s16, 0x64
	s_branch .LBB131_2
.LBB131_1:                              ;   in Loop: Header=BB131_2 Depth=1
	s_or_b64 exec, exec, s[14:15]
	v_add_u16_e32 v9, s20, v9
	v_and_b32_e32 v9, 0xff, v9
	ds_bpermute_b32 v9, v6, v9
	v_mov_b32_e32 v10, s20
	s_add_i32 s16, s16, -1
	s_cmp_lg_u32 s16, 0
	s_waitcnt lgkmcnt(0)
	v_cndmask_b32_e64 v9, v9, v10, s[12:13]
	v_add_u16_e32 v10, v9, v1
	v_add_u16_e32 v11, v10, v11
	v_add_u16_sdwa v12, v11, v1 dst_sel:DWORD dst_unused:UNUSED_PAD src0_sel:DWORD src1_sel:WORD_1
	v_lshlrev_b16_e32 v13, 8, v10
	v_lshlrev_b16_e32 v15, 8, v12
	v_or_b32_sdwa v14, v9, v13 dst_sel:DWORD dst_unused:UNUSED_PAD src0_sel:BYTE_0 src1_sel:DWORD
	v_add_u16_sdwa v13, v12, v1 dst_sel:DWORD dst_unused:UNUSED_PAD src0_sel:DWORD src1_sel:BYTE_3
	v_or_b32_sdwa v1, v11, v15 dst_sel:WORD_1 dst_unused:UNUSED_PAD src0_sel:BYTE_0 src1_sel:DWORD
	v_or_b32_sdwa v1, v14, v1 dst_sel:DWORD dst_unused:UNUSED_PAD src0_sel:WORD_0 src1_sel:DWORD
	v_add_u16_e32 v14, v13, v2
	v_add_u16_e32 v8, v14, v8
	v_lshlrev_b16_e32 v15, 8, v14
	v_or_b32_sdwa v17, v13, v15 dst_sel:DWORD dst_unused:UNUSED_PAD src0_sel:BYTE_0 src1_sel:DWORD
	v_add_u16_sdwa v15, v8, v2 dst_sel:DWORD dst_unused:UNUSED_PAD src0_sel:DWORD src1_sel:WORD_1
	v_lshlrev_b16_e32 v16, 8, v15
	v_or_b32_sdwa v18, v8, v16 dst_sel:WORD_1 dst_unused:UNUSED_PAD src0_sel:BYTE_0 src1_sel:DWORD
	v_add_u16_sdwa v16, v15, v2 dst_sel:DWORD dst_unused:UNUSED_PAD src0_sel:DWORD src1_sel:BYTE_3
	v_or_b32_sdwa v2, v17, v18 dst_sel:DWORD dst_unused:UNUSED_PAD src0_sel:WORD_0 src1_sel:DWORD
	v_add_u16_e32 v17, v16, v3
	v_add_u16_e32 v7, v17, v7
	v_lshlrev_b16_e32 v18, 8, v17
	v_or_b32_sdwa v20, v16, v18 dst_sel:DWORD dst_unused:UNUSED_PAD src0_sel:BYTE_0 src1_sel:DWORD
	v_add_u16_sdwa v18, v7, v3 dst_sel:DWORD dst_unused:UNUSED_PAD src0_sel:DWORD src1_sel:WORD_1
	v_lshlrev_b16_e32 v19, 8, v18
	v_or_b32_sdwa v21, v7, v19 dst_sel:WORD_1 dst_unused:UNUSED_PAD src0_sel:BYTE_0 src1_sel:DWORD
	v_add_u16_sdwa v19, v18, v3 dst_sel:DWORD dst_unused:UNUSED_PAD src0_sel:DWORD src1_sel:BYTE_3
	v_or_b32_sdwa v3, v20, v21 dst_sel:DWORD dst_unused:UNUSED_PAD src0_sel:WORD_0 src1_sel:DWORD
	v_add_u16_e32 v20, v19, v4
	v_add_u16_e32 v0, v20, v0
	v_lshlrev_b16_e32 v21, 8, v20
	v_or_b32_sdwa v22, v19, v21 dst_sel:DWORD dst_unused:UNUSED_PAD src0_sel:BYTE_0 src1_sel:DWORD
	v_add_u16_sdwa v21, v0, v4 dst_sel:DWORD dst_unused:UNUSED_PAD src0_sel:DWORD src1_sel:WORD_1
	v_lshlrev_b16_e32 v4, 8, v21
	v_or_b32_sdwa v4, v0, v4 dst_sel:WORD_1 dst_unused:UNUSED_PAD src0_sel:BYTE_0 src1_sel:DWORD
	v_or_b32_sdwa v4, v22, v4 dst_sel:DWORD dst_unused:UNUSED_PAD src0_sel:WORD_0 src1_sel:DWORD
	; wave barrier
	s_cbranch_scc0 .LBB131_4
.LBB131_2:                              ; =>This Inner Loop Header: Depth=1
	s_waitcnt vmcnt(0)
	v_lshrrev_b32_e32 v11, 8, v1
	v_add_u16_e32 v9, v11, v1
	v_add_u16_sdwa v9, v9, v1 dst_sel:DWORD dst_unused:UNUSED_PAD src0_sel:DWORD src1_sel:WORD_1
	v_add_u16_sdwa v9, v9, v1 dst_sel:DWORD dst_unused:UNUSED_PAD src0_sel:DWORD src1_sel:BYTE_3
	v_lshrrev_b32_e32 v8, 8, v2
	v_add_u16_e32 v9, v9, v2
	v_add_u16_e32 v9, v9, v8
	v_add_u16_sdwa v9, v9, v2 dst_sel:DWORD dst_unused:UNUSED_PAD src0_sel:DWORD src1_sel:WORD_1
	v_add_u16_sdwa v9, v9, v2 dst_sel:DWORD dst_unused:UNUSED_PAD src0_sel:DWORD src1_sel:BYTE_3
	v_lshrrev_b32_e32 v7, 8, v3
	v_add_u16_e32 v9, v9, v3
	;; [unrolled: 5-line block ×3, first 2 shown]
	v_add_u16_e32 v9, v9, v0
	v_add_u16_sdwa v9, v9, v4 dst_sel:DWORD dst_unused:UNUSED_PAD src0_sel:DWORD src1_sel:WORD_1
	v_add_u16_sdwa v9, v9, v4 dst_sel:DWORD dst_unused:UNUSED_PAD src0_sel:DWORD src1_sel:BYTE_3
	v_and_b32_e32 v10, 0xff, v9
	s_nop 1
	v_mov_b32_dpp v10, v10 row_shr:1 row_mask:0xf bank_mask:0xf
	v_cndmask_b32_e64 v10, v10, 0, vcc
	v_add_u16_e32 v9, v9, v10
	v_and_b32_e32 v10, 0xff, v9
	s_nop 1
	v_mov_b32_dpp v10, v10 row_shr:2 row_mask:0xf bank_mask:0xf
	v_cndmask_b32_e64 v10, 0, v10, s[0:1]
	v_add_u16_e32 v9, v9, v10
	v_and_b32_e32 v10, 0xff, v9
	s_nop 1
	v_mov_b32_dpp v10, v10 row_shr:4 row_mask:0xf bank_mask:0xf
	v_cndmask_b32_e64 v10, 0, v10, s[2:3]
	v_add_u16_e32 v9, v9, v10
	v_and_b32_e32 v10, 0xff, v9
	s_nop 1
	v_mov_b32_dpp v10, v10 row_shr:8 row_mask:0xf bank_mask:0xf
	v_cndmask_b32_e64 v10, 0, v10, s[4:5]
	v_add_u16_e32 v9, v9, v10
	v_and_b32_e32 v10, 0xff, v9
	s_nop 1
	v_mov_b32_dpp v10, v10 row_bcast:15 row_mask:0xf bank_mask:0xf
	v_cndmask_b32_e64 v10, v10, 0, s[6:7]
	v_add_u16_e32 v9, v9, v10
	v_and_b32_e32 v10, 0xff, v9
	s_nop 1
	v_mov_b32_dpp v10, v10 row_bcast:31 row_mask:0xf bank_mask:0xf
	v_cndmask_b32_e64 v10, 0, v10, s[8:9]
	v_add_u16_e32 v9, v9, v10
	s_and_saveexec_b64 s[14:15], s[10:11]
	s_cbranch_execz .LBB131_1
; %bb.3:                                ;   in Loop: Header=BB131_2 Depth=1
	v_mov_b32_e32 v10, 0
	ds_write_b8 v10, v9
	s_branch .LBB131_1
.LBB131_4:
	v_mov_b32_e32 v1, s19
	v_add_co_u32_e32 v4, vcc, s18, v5
	s_mov_b32 s0, 0xc0c0004
	v_addc_co_u32_e32 v5, vcc, 0, v1, vcc
	v_perm_b32 v1, v19, v20, s0
	v_perm_b32 v0, v0, v21, s0
	v_lshl_or_b32 v3, v0, 16, v1
	v_perm_b32 v0, v16, v17, s0
	v_perm_b32 v1, v7, v18, s0
	v_lshl_or_b32 v2, v1, 16, v0
	;; [unrolled: 3-line block ×4, first 2 shown]
	global_store_dwordx4 v[4:5], v[0:3], off
	s_endpgm
	.section	.rodata,"a",@progbits
	.p2align	6, 0x0
	.amdhsa_kernel _Z6kernelI14exclusive_scanILN6hipcub18BlockScanAlgorithmE1EEhLj64ELj16ELj100EEvPKT0_PS4_S4_
		.amdhsa_group_segment_fixed_size 1
		.amdhsa_private_segment_fixed_size 0
		.amdhsa_kernarg_size 280
		.amdhsa_user_sgpr_count 6
		.amdhsa_user_sgpr_private_segment_buffer 1
		.amdhsa_user_sgpr_dispatch_ptr 0
		.amdhsa_user_sgpr_queue_ptr 0
		.amdhsa_user_sgpr_kernarg_segment_ptr 1
		.amdhsa_user_sgpr_dispatch_id 0
		.amdhsa_user_sgpr_flat_scratch_init 0
		.amdhsa_user_sgpr_private_segment_size 0
		.amdhsa_uses_dynamic_stack 0
		.amdhsa_system_sgpr_private_segment_wavefront_offset 0
		.amdhsa_system_sgpr_workgroup_id_x 1
		.amdhsa_system_sgpr_workgroup_id_y 0
		.amdhsa_system_sgpr_workgroup_id_z 0
		.amdhsa_system_sgpr_workgroup_info 0
		.amdhsa_system_vgpr_workitem_id 0
		.amdhsa_next_free_vgpr 23
		.amdhsa_next_free_sgpr 21
		.amdhsa_reserve_vcc 1
		.amdhsa_reserve_flat_scratch 0
		.amdhsa_float_round_mode_32 0
		.amdhsa_float_round_mode_16_64 0
		.amdhsa_float_denorm_mode_32 3
		.amdhsa_float_denorm_mode_16_64 3
		.amdhsa_dx10_clamp 1
		.amdhsa_ieee_mode 1
		.amdhsa_fp16_overflow 0
		.amdhsa_exception_fp_ieee_invalid_op 0
		.amdhsa_exception_fp_denorm_src 0
		.amdhsa_exception_fp_ieee_div_zero 0
		.amdhsa_exception_fp_ieee_overflow 0
		.amdhsa_exception_fp_ieee_underflow 0
		.amdhsa_exception_fp_ieee_inexact 0
		.amdhsa_exception_int_div_zero 0
	.end_amdhsa_kernel
	.section	.text._Z6kernelI14exclusive_scanILN6hipcub18BlockScanAlgorithmE1EEhLj64ELj16ELj100EEvPKT0_PS4_S4_,"axG",@progbits,_Z6kernelI14exclusive_scanILN6hipcub18BlockScanAlgorithmE1EEhLj64ELj16ELj100EEvPKT0_PS4_S4_,comdat
.Lfunc_end131:
	.size	_Z6kernelI14exclusive_scanILN6hipcub18BlockScanAlgorithmE1EEhLj64ELj16ELj100EEvPKT0_PS4_S4_, .Lfunc_end131-_Z6kernelI14exclusive_scanILN6hipcub18BlockScanAlgorithmE1EEhLj64ELj16ELj100EEvPKT0_PS4_S4_
                                        ; -- End function
	.set _Z6kernelI14exclusive_scanILN6hipcub18BlockScanAlgorithmE1EEhLj64ELj16ELj100EEvPKT0_PS4_S4_.num_vgpr, 23
	.set _Z6kernelI14exclusive_scanILN6hipcub18BlockScanAlgorithmE1EEhLj64ELj16ELj100EEvPKT0_PS4_S4_.num_agpr, 0
	.set _Z6kernelI14exclusive_scanILN6hipcub18BlockScanAlgorithmE1EEhLj64ELj16ELj100EEvPKT0_PS4_S4_.numbered_sgpr, 21
	.set _Z6kernelI14exclusive_scanILN6hipcub18BlockScanAlgorithmE1EEhLj64ELj16ELj100EEvPKT0_PS4_S4_.num_named_barrier, 0
	.set _Z6kernelI14exclusive_scanILN6hipcub18BlockScanAlgorithmE1EEhLj64ELj16ELj100EEvPKT0_PS4_S4_.private_seg_size, 0
	.set _Z6kernelI14exclusive_scanILN6hipcub18BlockScanAlgorithmE1EEhLj64ELj16ELj100EEvPKT0_PS4_S4_.uses_vcc, 1
	.set _Z6kernelI14exclusive_scanILN6hipcub18BlockScanAlgorithmE1EEhLj64ELj16ELj100EEvPKT0_PS4_S4_.uses_flat_scratch, 0
	.set _Z6kernelI14exclusive_scanILN6hipcub18BlockScanAlgorithmE1EEhLj64ELj16ELj100EEvPKT0_PS4_S4_.has_dyn_sized_stack, 0
	.set _Z6kernelI14exclusive_scanILN6hipcub18BlockScanAlgorithmE1EEhLj64ELj16ELj100EEvPKT0_PS4_S4_.has_recursion, 0
	.set _Z6kernelI14exclusive_scanILN6hipcub18BlockScanAlgorithmE1EEhLj64ELj16ELj100EEvPKT0_PS4_S4_.has_indirect_call, 0
	.section	.AMDGPU.csdata,"",@progbits
; Kernel info:
; codeLenInByte = 908
; TotalNumSgprs: 25
; NumVgprs: 23
; ScratchSize: 0
; MemoryBound: 0
; FloatMode: 240
; IeeeMode: 1
; LDSByteSize: 1 bytes/workgroup (compile time only)
; SGPRBlocks: 3
; VGPRBlocks: 5
; NumSGPRsForWavesPerEU: 25
; NumVGPRsForWavesPerEU: 23
; Occupancy: 10
; WaveLimiterHint : 0
; COMPUTE_PGM_RSRC2:SCRATCH_EN: 0
; COMPUTE_PGM_RSRC2:USER_SGPR: 6
; COMPUTE_PGM_RSRC2:TRAP_HANDLER: 0
; COMPUTE_PGM_RSRC2:TGID_X_EN: 1
; COMPUTE_PGM_RSRC2:TGID_Y_EN: 0
; COMPUTE_PGM_RSRC2:TGID_Z_EN: 0
; COMPUTE_PGM_RSRC2:TIDIG_COMP_CNT: 0
	.section	.text._Z6kernelI14exclusive_scanILN6hipcub18BlockScanAlgorithmE1EEiLj256ELj1ELj100EEvPKT0_PS4_S4_,"axG",@progbits,_Z6kernelI14exclusive_scanILN6hipcub18BlockScanAlgorithmE1EEiLj256ELj1ELj100EEvPKT0_PS4_S4_,comdat
	.protected	_Z6kernelI14exclusive_scanILN6hipcub18BlockScanAlgorithmE1EEiLj256ELj1ELj100EEvPKT0_PS4_S4_ ; -- Begin function _Z6kernelI14exclusive_scanILN6hipcub18BlockScanAlgorithmE1EEiLj256ELj1ELj100EEvPKT0_PS4_S4_
	.globl	_Z6kernelI14exclusive_scanILN6hipcub18BlockScanAlgorithmE1EEiLj256ELj1ELj100EEvPKT0_PS4_S4_
	.p2align	8
	.type	_Z6kernelI14exclusive_scanILN6hipcub18BlockScanAlgorithmE1EEiLj256ELj1ELj100EEvPKT0_PS4_S4_,@function
_Z6kernelI14exclusive_scanILN6hipcub18BlockScanAlgorithmE1EEiLj256ELj1ELj100EEvPKT0_PS4_S4_: ; @_Z6kernelI14exclusive_scanILN6hipcub18BlockScanAlgorithmE1EEiLj256ELj1ELj100EEvPKT0_PS4_S4_
; %bb.0:
	s_load_dword s0, s[4:5], 0x24
	s_load_dwordx4 s[8:11], s[4:5], 0x0
	s_load_dword s12, s[4:5], 0x10
	v_mov_b32_e32 v2, 0
	v_lshrrev_b32_e32 v6, 1, v0
	s_waitcnt lgkmcnt(0)
	s_and_b32 s0, s0, 0xffff
	s_mul_i32 s6, s6, s0
	v_add_u32_e32 v1, s6, v0
	v_lshlrev_b64 v[1:2], 2, v[1:2]
	v_mov_b32_e32 v4, s9
	v_add_co_u32_e32 v3, vcc, s8, v1
	v_addc_co_u32_e32 v4, vcc, v4, v2, vcc
	global_load_dword v4, v[3:4], off
	v_lshrrev_b32_e32 v3, 3, v0
	v_and_b32_e32 v3, 28, v3
	v_subrev_co_u32_e64 v5, s[0:1], 1, v0
	v_lshl_add_u32 v3, v0, 2, v3
	v_cmp_gt_u32_e32 vcc, 64, v0
	v_lshlrev_b32_e32 v7, 4, v0
	v_lshrrev_b32_e32 v0, 3, v5
	v_and_b32_e32 v6, 0x7c, v6
	v_and_b32_e32 v0, 0x1ffffffc, v0
	v_lshl_add_u32 v0, v5, 2, v0
	v_add_u32_e32 v5, v6, v7
	v_mbcnt_lo_u32_b32 v6, -1, 0
	v_mbcnt_hi_u32_b32 v6, -1, v6
	s_xor_b64 s[4:5], s[0:1], -1
	s_movk_i32 s8, 0x64
	v_and_b32_e32 v7, 15, v6
	v_bfe_i32 v8, v6, 4, 1
	v_add_u32_e32 v9, -1, v6
	v_and_b32_e32 v10, 64, v6
	s_branch .LBB132_2
.LBB132_1:                              ;   in Loop: Header=BB132_2 Depth=1
	s_or_b64 exec, exec, s[2:3]
	s_add_i32 s8, s8, -1
	s_cmp_lg_u32 s8, 0
	s_cbranch_scc0 .LBB132_6
.LBB132_2:                              ; =>This Inner Loop Header: Depth=1
	s_waitcnt vmcnt(0)
	ds_write_b32 v3, v4
	s_waitcnt lgkmcnt(0)
	s_barrier
	s_and_saveexec_b64 s[6:7], vcc
	s_cbranch_execz .LBB132_4
; %bb.3:                                ;   in Loop: Header=BB132_2 Depth=1
	ds_read2_b32 v[11:12], v5 offset1:1
	ds_read2_b32 v[13:14], v5 offset0:2 offset1:3
	v_cmp_ne_u32_e64 s[2:3], 0, v7
	s_waitcnt lgkmcnt(1)
	v_add_u32_e32 v15, v12, v11
	s_waitcnt lgkmcnt(0)
	v_add3_u32 v15, v15, v13, v14
	s_nop 1
	v_mov_b32_dpp v16, v15 row_shr:1 row_mask:0xf bank_mask:0xf
	v_cndmask_b32_e64 v16, 0, v16, s[2:3]
	v_add_u32_e32 v15, v16, v15
	v_cmp_lt_u32_e64 s[2:3], 1, v7
	s_nop 0
	v_mov_b32_dpp v16, v15 row_shr:2 row_mask:0xf bank_mask:0xf
	v_cndmask_b32_e64 v16, 0, v16, s[2:3]
	v_add_u32_e32 v15, v15, v16
	v_cmp_lt_u32_e64 s[2:3], 3, v7
	;; [unrolled: 5-line block ×4, first 2 shown]
	s_nop 0
	v_mov_b32_dpp v16, v15 row_bcast:15 row_mask:0xf bank_mask:0xf
	v_and_b32_e32 v16, v8, v16
	v_add_u32_e32 v15, v15, v16
	s_nop 1
	v_mov_b32_dpp v16, v15 row_bcast:31 row_mask:0xf bank_mask:0xf
	v_cndmask_b32_e64 v16, 0, v16, s[2:3]
	v_cmp_lt_i32_e64 s[2:3], v9, v10
	v_add_u32_e32 v15, v15, v16
	v_cndmask_b32_e64 v16, v9, v6, s[2:3]
	v_lshlrev_b32_e32 v16, 2, v16
	ds_bpermute_b32 v15, v16, v15
	s_waitcnt lgkmcnt(0)
	v_add_u32_e32 v11, v15, v11
	v_cndmask_b32_e64 v4, v11, v4, s[0:1]
	v_add_u32_e32 v11, v4, v12
	ds_write2_b32 v5, v4, v11 offset1:1
	v_add_u32_e32 v4, v11, v13
	v_add_u32_e32 v11, v4, v14
	ds_write2_b32 v5, v4, v11 offset0:2 offset1:3
.LBB132_4:                              ;   in Loop: Header=BB132_2 Depth=1
	s_or_b64 exec, exec, s[6:7]
	v_mov_b32_e32 v4, s12
	s_waitcnt lgkmcnt(0)
	s_barrier
	s_and_saveexec_b64 s[2:3], s[4:5]
	s_cbranch_execz .LBB132_1
; %bb.5:                                ;   in Loop: Header=BB132_2 Depth=1
	ds_read_b32 v4, v0
	s_waitcnt lgkmcnt(0)
	v_add_u32_e32 v4, s12, v4
	s_branch .LBB132_1
.LBB132_6:
	v_mov_b32_e32 v3, s11
	v_add_co_u32_e32 v0, vcc, s10, v1
	v_addc_co_u32_e32 v1, vcc, v3, v2, vcc
	global_store_dword v[0:1], v4, off
	s_endpgm
	.section	.rodata,"a",@progbits
	.p2align	6, 0x0
	.amdhsa_kernel _Z6kernelI14exclusive_scanILN6hipcub18BlockScanAlgorithmE1EEiLj256ELj1ELj100EEvPKT0_PS4_S4_
		.amdhsa_group_segment_fixed_size 1056
		.amdhsa_private_segment_fixed_size 0
		.amdhsa_kernarg_size 280
		.amdhsa_user_sgpr_count 6
		.amdhsa_user_sgpr_private_segment_buffer 1
		.amdhsa_user_sgpr_dispatch_ptr 0
		.amdhsa_user_sgpr_queue_ptr 0
		.amdhsa_user_sgpr_kernarg_segment_ptr 1
		.amdhsa_user_sgpr_dispatch_id 0
		.amdhsa_user_sgpr_flat_scratch_init 0
		.amdhsa_user_sgpr_private_segment_size 0
		.amdhsa_uses_dynamic_stack 0
		.amdhsa_system_sgpr_private_segment_wavefront_offset 0
		.amdhsa_system_sgpr_workgroup_id_x 1
		.amdhsa_system_sgpr_workgroup_id_y 0
		.amdhsa_system_sgpr_workgroup_id_z 0
		.amdhsa_system_sgpr_workgroup_info 0
		.amdhsa_system_vgpr_workitem_id 0
		.amdhsa_next_free_vgpr 17
		.amdhsa_next_free_sgpr 13
		.amdhsa_reserve_vcc 1
		.amdhsa_reserve_flat_scratch 0
		.amdhsa_float_round_mode_32 0
		.amdhsa_float_round_mode_16_64 0
		.amdhsa_float_denorm_mode_32 3
		.amdhsa_float_denorm_mode_16_64 3
		.amdhsa_dx10_clamp 1
		.amdhsa_ieee_mode 1
		.amdhsa_fp16_overflow 0
		.amdhsa_exception_fp_ieee_invalid_op 0
		.amdhsa_exception_fp_denorm_src 0
		.amdhsa_exception_fp_ieee_div_zero 0
		.amdhsa_exception_fp_ieee_overflow 0
		.amdhsa_exception_fp_ieee_underflow 0
		.amdhsa_exception_fp_ieee_inexact 0
		.amdhsa_exception_int_div_zero 0
	.end_amdhsa_kernel
	.section	.text._Z6kernelI14exclusive_scanILN6hipcub18BlockScanAlgorithmE1EEiLj256ELj1ELj100EEvPKT0_PS4_S4_,"axG",@progbits,_Z6kernelI14exclusive_scanILN6hipcub18BlockScanAlgorithmE1EEiLj256ELj1ELj100EEvPKT0_PS4_S4_,comdat
.Lfunc_end132:
	.size	_Z6kernelI14exclusive_scanILN6hipcub18BlockScanAlgorithmE1EEiLj256ELj1ELj100EEvPKT0_PS4_S4_, .Lfunc_end132-_Z6kernelI14exclusive_scanILN6hipcub18BlockScanAlgorithmE1EEiLj256ELj1ELj100EEvPKT0_PS4_S4_
                                        ; -- End function
	.set _Z6kernelI14exclusive_scanILN6hipcub18BlockScanAlgorithmE1EEiLj256ELj1ELj100EEvPKT0_PS4_S4_.num_vgpr, 17
	.set _Z6kernelI14exclusive_scanILN6hipcub18BlockScanAlgorithmE1EEiLj256ELj1ELj100EEvPKT0_PS4_S4_.num_agpr, 0
	.set _Z6kernelI14exclusive_scanILN6hipcub18BlockScanAlgorithmE1EEiLj256ELj1ELj100EEvPKT0_PS4_S4_.numbered_sgpr, 13
	.set _Z6kernelI14exclusive_scanILN6hipcub18BlockScanAlgorithmE1EEiLj256ELj1ELj100EEvPKT0_PS4_S4_.num_named_barrier, 0
	.set _Z6kernelI14exclusive_scanILN6hipcub18BlockScanAlgorithmE1EEiLj256ELj1ELj100EEvPKT0_PS4_S4_.private_seg_size, 0
	.set _Z6kernelI14exclusive_scanILN6hipcub18BlockScanAlgorithmE1EEiLj256ELj1ELj100EEvPKT0_PS4_S4_.uses_vcc, 1
	.set _Z6kernelI14exclusive_scanILN6hipcub18BlockScanAlgorithmE1EEiLj256ELj1ELj100EEvPKT0_PS4_S4_.uses_flat_scratch, 0
	.set _Z6kernelI14exclusive_scanILN6hipcub18BlockScanAlgorithmE1EEiLj256ELj1ELj100EEvPKT0_PS4_S4_.has_dyn_sized_stack, 0
	.set _Z6kernelI14exclusive_scanILN6hipcub18BlockScanAlgorithmE1EEiLj256ELj1ELj100EEvPKT0_PS4_S4_.has_recursion, 0
	.set _Z6kernelI14exclusive_scanILN6hipcub18BlockScanAlgorithmE1EEiLj256ELj1ELj100EEvPKT0_PS4_S4_.has_indirect_call, 0
	.section	.AMDGPU.csdata,"",@progbits
; Kernel info:
; codeLenInByte = 592
; TotalNumSgprs: 17
; NumVgprs: 17
; ScratchSize: 0
; MemoryBound: 0
; FloatMode: 240
; IeeeMode: 1
; LDSByteSize: 1056 bytes/workgroup (compile time only)
; SGPRBlocks: 2
; VGPRBlocks: 4
; NumSGPRsForWavesPerEU: 17
; NumVGPRsForWavesPerEU: 17
; Occupancy: 10
; WaveLimiterHint : 0
; COMPUTE_PGM_RSRC2:SCRATCH_EN: 0
; COMPUTE_PGM_RSRC2:USER_SGPR: 6
; COMPUTE_PGM_RSRC2:TRAP_HANDLER: 0
; COMPUTE_PGM_RSRC2:TGID_X_EN: 1
; COMPUTE_PGM_RSRC2:TGID_Y_EN: 0
; COMPUTE_PGM_RSRC2:TGID_Z_EN: 0
; COMPUTE_PGM_RSRC2:TIDIG_COMP_CNT: 0
	.section	.text._Z6kernelI14exclusive_scanILN6hipcub18BlockScanAlgorithmE1EEiLj256ELj3ELj100EEvPKT0_PS4_S4_,"axG",@progbits,_Z6kernelI14exclusive_scanILN6hipcub18BlockScanAlgorithmE1EEiLj256ELj3ELj100EEvPKT0_PS4_S4_,comdat
	.protected	_Z6kernelI14exclusive_scanILN6hipcub18BlockScanAlgorithmE1EEiLj256ELj3ELj100EEvPKT0_PS4_S4_ ; -- Begin function _Z6kernelI14exclusive_scanILN6hipcub18BlockScanAlgorithmE1EEiLj256ELj3ELj100EEvPKT0_PS4_S4_
	.globl	_Z6kernelI14exclusive_scanILN6hipcub18BlockScanAlgorithmE1EEiLj256ELj3ELj100EEvPKT0_PS4_S4_
	.p2align	8
	.type	_Z6kernelI14exclusive_scanILN6hipcub18BlockScanAlgorithmE1EEiLj256ELj3ELj100EEvPKT0_PS4_S4_,@function
_Z6kernelI14exclusive_scanILN6hipcub18BlockScanAlgorithmE1EEiLj256ELj3ELj100EEvPKT0_PS4_S4_: ; @_Z6kernelI14exclusive_scanILN6hipcub18BlockScanAlgorithmE1EEiLj256ELj3ELj100EEvPKT0_PS4_S4_
; %bb.0:
	s_load_dword s0, s[4:5], 0x24
	s_load_dwordx4 s[8:11], s[4:5], 0x0
	s_load_dword s12, s[4:5], 0x10
	v_mov_b32_e32 v6, 0
	v_mov_b32_e32 v4, v6
	s_waitcnt lgkmcnt(0)
	s_and_b32 s0, s0, 0xffff
	s_mul_i32 s6, s6, s0
	v_add_u32_e32 v1, s6, v0
	v_lshl_add_u32 v5, v1, 1, v1
	v_lshlrev_b64 v[1:2], 2, v[5:6]
	v_mov_b32_e32 v3, s9
	v_add_co_u32_e32 v9, vcc, s8, v1
	v_addc_co_u32_e32 v10, vcc, v3, v2, vcc
	v_add_u32_e32 v3, 1, v5
	v_lshlrev_b64 v[3:4], 2, v[3:4]
	v_add_u32_e32 v5, 2, v5
	v_mov_b32_e32 v7, s9
	v_add_co_u32_e32 v13, vcc, s8, v3
	v_lshlrev_b64 v[5:6], 2, v[5:6]
	v_addc_co_u32_e32 v14, vcc, v7, v4, vcc
	v_add_co_u32_e32 v15, vcc, s8, v5
	v_addc_co_u32_e32 v16, vcc, v7, v6, vcc
	global_load_dword v8, v[9:10], off
	global_load_dword v7, v[13:14], off
	;; [unrolled: 1-line block ×3, first 2 shown]
	v_lshrrev_b32_e32 v9, 3, v0
	v_and_b32_e32 v9, 28, v9
	v_subrev_co_u32_e64 v10, s[0:1], 1, v0
	v_lshl_add_u32 v9, v0, 2, v9
	v_cmp_gt_u32_e32 vcc, 64, v0
	v_lshrrev_b32_e32 v11, 1, v0
	v_lshlrev_b32_e32 v13, 4, v0
	v_lshrrev_b32_e32 v0, 3, v10
	v_and_b32_e32 v11, 0x7c, v11
	v_and_b32_e32 v0, 0x1ffffffc, v0
	v_lshl_add_u32 v0, v10, 2, v0
	v_add_u32_e32 v10, v11, v13
	v_mbcnt_lo_u32_b32 v11, -1, 0
	s_xor_b64 s[4:5], s[0:1], -1
	s_movk_i32 s8, 0x64
	v_mbcnt_hi_u32_b32 v11, -1, v11
.LBB133_1:                              ; =>This Inner Loop Header: Depth=1
	s_waitcnt vmcnt(0)
	v_add3_u32 v12, v7, v8, v12
	ds_write_b32 v9, v12
	s_waitcnt lgkmcnt(0)
	s_barrier
	s_and_saveexec_b64 s[6:7], vcc
	s_cbranch_execz .LBB133_3
; %bb.2:                                ;   in Loop: Header=BB133_1 Depth=1
	ds_read2_b32 v[13:14], v10 offset1:1
	ds_read2_b32 v[15:16], v10 offset0:2 offset1:3
	v_and_b32_e32 v17, 15, v11
	v_cmp_ne_u32_e64 s[2:3], 0, v17
	s_waitcnt lgkmcnt(1)
	v_add_u32_e32 v18, v14, v13
	s_waitcnt lgkmcnt(0)
	v_add3_u32 v18, v18, v15, v16
	s_nop 1
	v_mov_b32_dpp v19, v18 row_shr:1 row_mask:0xf bank_mask:0xf
	v_cndmask_b32_e64 v19, 0, v19, s[2:3]
	v_add_u32_e32 v18, v19, v18
	v_cmp_lt_u32_e64 s[2:3], 1, v17
	s_nop 0
	v_mov_b32_dpp v19, v18 row_shr:2 row_mask:0xf bank_mask:0xf
	v_cndmask_b32_e64 v19, 0, v19, s[2:3]
	v_add_u32_e32 v18, v18, v19
	v_cmp_lt_u32_e64 s[2:3], 3, v17
	;; [unrolled: 5-line block ×3, first 2 shown]
	s_nop 0
	v_mov_b32_dpp v19, v18 row_shr:8 row_mask:0xf bank_mask:0xf
	v_cndmask_b32_e64 v17, 0, v19, s[2:3]
	v_add_u32_e32 v17, v18, v17
	v_bfe_i32 v19, v11, 4, 1
	v_cmp_lt_u32_e64 s[2:3], 31, v11
	v_mov_b32_dpp v18, v17 row_bcast:15 row_mask:0xf bank_mask:0xf
	v_and_b32_e32 v18, v19, v18
	v_add_u32_e32 v17, v17, v18
	v_and_b32_e32 v19, 64, v11
	s_nop 0
	v_mov_b32_dpp v18, v17 row_bcast:31 row_mask:0xf bank_mask:0xf
	v_cndmask_b32_e64 v18, 0, v18, s[2:3]
	v_add_u32_e32 v17, v17, v18
	v_add_u32_e32 v18, -1, v11
	v_cmp_lt_i32_e64 s[2:3], v18, v19
	v_cndmask_b32_e64 v18, v18, v11, s[2:3]
	v_lshlrev_b32_e32 v18, 2, v18
	ds_bpermute_b32 v17, v18, v17
	s_waitcnt lgkmcnt(0)
	v_add_u32_e32 v13, v17, v13
	v_cndmask_b32_e64 v12, v13, v12, s[0:1]
	v_add_u32_e32 v13, v12, v14
	ds_write2_b32 v10, v12, v13 offset1:1
	v_add_u32_e32 v12, v13, v15
	v_add_u32_e32 v13, v12, v16
	ds_write2_b32 v10, v12, v13 offset0:2 offset1:3
.LBB133_3:                              ;   in Loop: Header=BB133_1 Depth=1
	s_or_b64 exec, exec, s[6:7]
	v_mov_b32_e32 v13, s12
	s_waitcnt lgkmcnt(0)
	s_barrier
	s_and_saveexec_b64 s[2:3], s[4:5]
	s_cbranch_execz .LBB133_5
; %bb.4:                                ;   in Loop: Header=BB133_1 Depth=1
	ds_read_b32 v12, v0
	s_waitcnt lgkmcnt(0)
	v_add_u32_e32 v13, s12, v12
.LBB133_5:                              ;   in Loop: Header=BB133_1 Depth=1
	s_or_b64 exec, exec, s[2:3]
	v_add_u32_e32 v14, v13, v8
	s_add_i32 s8, s8, -1
	s_cmp_lg_u32 s8, 0
	v_add_u32_e32 v12, v14, v7
	s_cbranch_scc0 .LBB133_7
; %bb.6:                                ;   in Loop: Header=BB133_1 Depth=1
	v_mov_b32_e32 v8, v13
	v_mov_b32_e32 v7, v14
	s_branch .LBB133_1
.LBB133_7:
	v_mov_b32_e32 v7, s11
	v_add_co_u32_e32 v0, vcc, s10, v1
	v_addc_co_u32_e32 v1, vcc, v7, v2, vcc
	global_store_dword v[0:1], v13, off
	v_mov_b32_e32 v1, s11
	v_add_co_u32_e32 v0, vcc, s10, v3
	v_addc_co_u32_e32 v1, vcc, v1, v4, vcc
	global_store_dword v[0:1], v14, off
	;; [unrolled: 4-line block ×3, first 2 shown]
	s_endpgm
	.section	.rodata,"a",@progbits
	.p2align	6, 0x0
	.amdhsa_kernel _Z6kernelI14exclusive_scanILN6hipcub18BlockScanAlgorithmE1EEiLj256ELj3ELj100EEvPKT0_PS4_S4_
		.amdhsa_group_segment_fixed_size 1056
		.amdhsa_private_segment_fixed_size 0
		.amdhsa_kernarg_size 280
		.amdhsa_user_sgpr_count 6
		.amdhsa_user_sgpr_private_segment_buffer 1
		.amdhsa_user_sgpr_dispatch_ptr 0
		.amdhsa_user_sgpr_queue_ptr 0
		.amdhsa_user_sgpr_kernarg_segment_ptr 1
		.amdhsa_user_sgpr_dispatch_id 0
		.amdhsa_user_sgpr_flat_scratch_init 0
		.amdhsa_user_sgpr_private_segment_size 0
		.amdhsa_uses_dynamic_stack 0
		.amdhsa_system_sgpr_private_segment_wavefront_offset 0
		.amdhsa_system_sgpr_workgroup_id_x 1
		.amdhsa_system_sgpr_workgroup_id_y 0
		.amdhsa_system_sgpr_workgroup_id_z 0
		.amdhsa_system_sgpr_workgroup_info 0
		.amdhsa_system_vgpr_workitem_id 0
		.amdhsa_next_free_vgpr 20
		.amdhsa_next_free_sgpr 13
		.amdhsa_reserve_vcc 1
		.amdhsa_reserve_flat_scratch 0
		.amdhsa_float_round_mode_32 0
		.amdhsa_float_round_mode_16_64 0
		.amdhsa_float_denorm_mode_32 3
		.amdhsa_float_denorm_mode_16_64 3
		.amdhsa_dx10_clamp 1
		.amdhsa_ieee_mode 1
		.amdhsa_fp16_overflow 0
		.amdhsa_exception_fp_ieee_invalid_op 0
		.amdhsa_exception_fp_denorm_src 0
		.amdhsa_exception_fp_ieee_div_zero 0
		.amdhsa_exception_fp_ieee_overflow 0
		.amdhsa_exception_fp_ieee_underflow 0
		.amdhsa_exception_fp_ieee_inexact 0
		.amdhsa_exception_int_div_zero 0
	.end_amdhsa_kernel
	.section	.text._Z6kernelI14exclusive_scanILN6hipcub18BlockScanAlgorithmE1EEiLj256ELj3ELj100EEvPKT0_PS4_S4_,"axG",@progbits,_Z6kernelI14exclusive_scanILN6hipcub18BlockScanAlgorithmE1EEiLj256ELj3ELj100EEvPKT0_PS4_S4_,comdat
.Lfunc_end133:
	.size	_Z6kernelI14exclusive_scanILN6hipcub18BlockScanAlgorithmE1EEiLj256ELj3ELj100EEvPKT0_PS4_S4_, .Lfunc_end133-_Z6kernelI14exclusive_scanILN6hipcub18BlockScanAlgorithmE1EEiLj256ELj3ELj100EEvPKT0_PS4_S4_
                                        ; -- End function
	.set _Z6kernelI14exclusive_scanILN6hipcub18BlockScanAlgorithmE1EEiLj256ELj3ELj100EEvPKT0_PS4_S4_.num_vgpr, 20
	.set _Z6kernelI14exclusive_scanILN6hipcub18BlockScanAlgorithmE1EEiLj256ELj3ELj100EEvPKT0_PS4_S4_.num_agpr, 0
	.set _Z6kernelI14exclusive_scanILN6hipcub18BlockScanAlgorithmE1EEiLj256ELj3ELj100EEvPKT0_PS4_S4_.numbered_sgpr, 13
	.set _Z6kernelI14exclusive_scanILN6hipcub18BlockScanAlgorithmE1EEiLj256ELj3ELj100EEvPKT0_PS4_S4_.num_named_barrier, 0
	.set _Z6kernelI14exclusive_scanILN6hipcub18BlockScanAlgorithmE1EEiLj256ELj3ELj100EEvPKT0_PS4_S4_.private_seg_size, 0
	.set _Z6kernelI14exclusive_scanILN6hipcub18BlockScanAlgorithmE1EEiLj256ELj3ELj100EEvPKT0_PS4_S4_.uses_vcc, 1
	.set _Z6kernelI14exclusive_scanILN6hipcub18BlockScanAlgorithmE1EEiLj256ELj3ELj100EEvPKT0_PS4_S4_.uses_flat_scratch, 0
	.set _Z6kernelI14exclusive_scanILN6hipcub18BlockScanAlgorithmE1EEiLj256ELj3ELj100EEvPKT0_PS4_S4_.has_dyn_sized_stack, 0
	.set _Z6kernelI14exclusive_scanILN6hipcub18BlockScanAlgorithmE1EEiLj256ELj3ELj100EEvPKT0_PS4_S4_.has_recursion, 0
	.set _Z6kernelI14exclusive_scanILN6hipcub18BlockScanAlgorithmE1EEiLj256ELj3ELj100EEvPKT0_PS4_S4_.has_indirect_call, 0
	.section	.AMDGPU.csdata,"",@progbits
; Kernel info:
; codeLenInByte = 720
; TotalNumSgprs: 17
; NumVgprs: 20
; ScratchSize: 0
; MemoryBound: 0
; FloatMode: 240
; IeeeMode: 1
; LDSByteSize: 1056 bytes/workgroup (compile time only)
; SGPRBlocks: 2
; VGPRBlocks: 4
; NumSGPRsForWavesPerEU: 17
; NumVGPRsForWavesPerEU: 20
; Occupancy: 10
; WaveLimiterHint : 0
; COMPUTE_PGM_RSRC2:SCRATCH_EN: 0
; COMPUTE_PGM_RSRC2:USER_SGPR: 6
; COMPUTE_PGM_RSRC2:TRAP_HANDLER: 0
; COMPUTE_PGM_RSRC2:TGID_X_EN: 1
; COMPUTE_PGM_RSRC2:TGID_Y_EN: 0
; COMPUTE_PGM_RSRC2:TGID_Z_EN: 0
; COMPUTE_PGM_RSRC2:TIDIG_COMP_CNT: 0
	.section	.text._Z6kernelI14exclusive_scanILN6hipcub18BlockScanAlgorithmE1EEiLj256ELj4ELj100EEvPKT0_PS4_S4_,"axG",@progbits,_Z6kernelI14exclusive_scanILN6hipcub18BlockScanAlgorithmE1EEiLj256ELj4ELj100EEvPKT0_PS4_S4_,comdat
	.protected	_Z6kernelI14exclusive_scanILN6hipcub18BlockScanAlgorithmE1EEiLj256ELj4ELj100EEvPKT0_PS4_S4_ ; -- Begin function _Z6kernelI14exclusive_scanILN6hipcub18BlockScanAlgorithmE1EEiLj256ELj4ELj100EEvPKT0_PS4_S4_
	.globl	_Z6kernelI14exclusive_scanILN6hipcub18BlockScanAlgorithmE1EEiLj256ELj4ELj100EEvPKT0_PS4_S4_
	.p2align	8
	.type	_Z6kernelI14exclusive_scanILN6hipcub18BlockScanAlgorithmE1EEiLj256ELj4ELj100EEvPKT0_PS4_S4_,@function
_Z6kernelI14exclusive_scanILN6hipcub18BlockScanAlgorithmE1EEiLj256ELj4ELj100EEvPKT0_PS4_S4_: ; @_Z6kernelI14exclusive_scanILN6hipcub18BlockScanAlgorithmE1EEiLj256ELj4ELj100EEvPKT0_PS4_S4_
; %bb.0:
	s_load_dword s0, s[4:5], 0x24
	s_load_dwordx4 s[8:11], s[4:5], 0x0
	s_load_dword s12, s[4:5], 0x10
	v_mov_b32_e32 v2, 0
	v_lshrrev_b32_e32 v5, 3, v0
	s_waitcnt lgkmcnt(0)
	s_and_b32 s0, s0, 0xffff
	s_mul_i32 s6, s6, s0
	v_add_lshl_u32 v1, s6, v0, 2
	v_lshlrev_b64 v[8:9], 2, v[1:2]
	v_mov_b32_e32 v2, s9
	v_add_co_u32_e32 v1, vcc, s8, v8
	v_addc_co_u32_e32 v2, vcc, v2, v9, vcc
	global_load_dwordx4 v[1:4], v[1:2], off
	v_and_b32_e32 v5, 28, v5
	v_lshl_add_u32 v10, v0, 2, v5
	v_subrev_co_u32_e64 v5, s[0:1], 1, v0
	v_cmp_gt_u32_e32 vcc, 64, v0
	v_lshrrev_b32_e32 v6, 1, v0
	v_lshlrev_b32_e32 v7, 4, v0
	v_lshrrev_b32_e32 v0, 3, v5
	v_and_b32_e32 v0, 0x1ffffffc, v0
	v_and_b32_e32 v6, 0x7c, v6
	v_lshl_add_u32 v0, v5, 2, v0
	v_mbcnt_lo_u32_b32 v5, -1, 0
	s_xor_b64 s[4:5], s[0:1], -1
	s_movk_i32 s8, 0x64
	v_add_u32_e32 v11, v6, v7
	v_mbcnt_hi_u32_b32 v12, -1, v5
.LBB134_1:                              ; =>This Inner Loop Header: Depth=1
	s_waitcnt vmcnt(0)
	v_add_u32_e32 v5, v2, v1
	v_add3_u32 v4, v5, v3, v4
	ds_write_b32 v10, v4
	s_waitcnt lgkmcnt(0)
	s_barrier
	s_and_saveexec_b64 s[6:7], vcc
	s_cbranch_execz .LBB134_3
; %bb.2:                                ;   in Loop: Header=BB134_1 Depth=1
	ds_read2_b32 v[5:6], v11 offset1:1
	ds_read2_b32 v[13:14], v11 offset0:2 offset1:3
	v_and_b32_e32 v7, 15, v12
	v_cmp_ne_u32_e64 s[2:3], 0, v7
	s_waitcnt lgkmcnt(1)
	v_add_u32_e32 v15, v6, v5
	s_waitcnt lgkmcnt(0)
	v_add3_u32 v15, v15, v13, v14
	s_nop 1
	v_mov_b32_dpp v16, v15 row_shr:1 row_mask:0xf bank_mask:0xf
	v_cndmask_b32_e64 v16, 0, v16, s[2:3]
	v_add_u32_e32 v15, v16, v15
	v_cmp_lt_u32_e64 s[2:3], 1, v7
	s_nop 0
	v_mov_b32_dpp v16, v15 row_shr:2 row_mask:0xf bank_mask:0xf
	v_cndmask_b32_e64 v16, 0, v16, s[2:3]
	v_add_u32_e32 v15, v15, v16
	v_cmp_lt_u32_e64 s[2:3], 3, v7
	;; [unrolled: 5-line block ×3, first 2 shown]
	s_nop 0
	v_mov_b32_dpp v16, v15 row_shr:8 row_mask:0xf bank_mask:0xf
	v_cndmask_b32_e64 v7, 0, v16, s[2:3]
	v_add_u32_e32 v7, v15, v7
	v_bfe_i32 v16, v12, 4, 1
	v_cmp_lt_u32_e64 s[2:3], 31, v12
	v_mov_b32_dpp v15, v7 row_bcast:15 row_mask:0xf bank_mask:0xf
	v_and_b32_e32 v15, v16, v15
	v_add_u32_e32 v7, v7, v15
	v_and_b32_e32 v16, 64, v12
	s_nop 0
	v_mov_b32_dpp v15, v7 row_bcast:31 row_mask:0xf bank_mask:0xf
	v_cndmask_b32_e64 v15, 0, v15, s[2:3]
	v_add_u32_e32 v7, v7, v15
	v_add_u32_e32 v15, -1, v12
	v_cmp_lt_i32_e64 s[2:3], v15, v16
	v_cndmask_b32_e64 v15, v15, v12, s[2:3]
	v_lshlrev_b32_e32 v15, 2, v15
	ds_bpermute_b32 v7, v15, v7
	s_waitcnt lgkmcnt(0)
	v_add_u32_e32 v5, v7, v5
	v_cndmask_b32_e64 v4, v5, v4, s[0:1]
	v_add_u32_e32 v5, v4, v6
	ds_write2_b32 v11, v4, v5 offset1:1
	v_add_u32_e32 v4, v5, v13
	v_add_u32_e32 v5, v4, v14
	ds_write2_b32 v11, v4, v5 offset0:2 offset1:3
.LBB134_3:                              ;   in Loop: Header=BB134_1 Depth=1
	s_or_b64 exec, exec, s[6:7]
	v_mov_b32_e32 v5, s12
	s_waitcnt lgkmcnt(0)
	s_barrier
	s_and_saveexec_b64 s[2:3], s[4:5]
	s_cbranch_execz .LBB134_5
; %bb.4:                                ;   in Loop: Header=BB134_1 Depth=1
	ds_read_b32 v4, v0
	s_waitcnt lgkmcnt(0)
	v_add_u32_e32 v5, s12, v4
.LBB134_5:                              ;   in Loop: Header=BB134_1 Depth=1
	s_or_b64 exec, exec, s[2:3]
	v_add_u32_e32 v6, v5, v1
	v_add_u32_e32 v7, v6, v2
	s_add_i32 s8, s8, -1
	s_cmp_lg_u32 s8, 0
	v_add_u32_e32 v4, v7, v3
	s_cbranch_scc0 .LBB134_7
; %bb.6:                                ;   in Loop: Header=BB134_1 Depth=1
	v_mov_b32_e32 v1, v5
	v_mov_b32_e32 v2, v6
	;; [unrolled: 1-line block ×3, first 2 shown]
	s_branch .LBB134_1
.LBB134_7:
	v_mov_b32_e32 v1, s11
	v_add_co_u32_e32 v0, vcc, s10, v8
	v_addc_co_u32_e32 v1, vcc, v1, v9, vcc
	v_mov_b32_e32 v8, v4
	global_store_dwordx4 v[0:1], v[5:8], off
	s_endpgm
	.section	.rodata,"a",@progbits
	.p2align	6, 0x0
	.amdhsa_kernel _Z6kernelI14exclusive_scanILN6hipcub18BlockScanAlgorithmE1EEiLj256ELj4ELj100EEvPKT0_PS4_S4_
		.amdhsa_group_segment_fixed_size 1056
		.amdhsa_private_segment_fixed_size 0
		.amdhsa_kernarg_size 280
		.amdhsa_user_sgpr_count 6
		.amdhsa_user_sgpr_private_segment_buffer 1
		.amdhsa_user_sgpr_dispatch_ptr 0
		.amdhsa_user_sgpr_queue_ptr 0
		.amdhsa_user_sgpr_kernarg_segment_ptr 1
		.amdhsa_user_sgpr_dispatch_id 0
		.amdhsa_user_sgpr_flat_scratch_init 0
		.amdhsa_user_sgpr_private_segment_size 0
		.amdhsa_uses_dynamic_stack 0
		.amdhsa_system_sgpr_private_segment_wavefront_offset 0
		.amdhsa_system_sgpr_workgroup_id_x 1
		.amdhsa_system_sgpr_workgroup_id_y 0
		.amdhsa_system_sgpr_workgroup_id_z 0
		.amdhsa_system_sgpr_workgroup_info 0
		.amdhsa_system_vgpr_workitem_id 0
		.amdhsa_next_free_vgpr 17
		.amdhsa_next_free_sgpr 13
		.amdhsa_reserve_vcc 1
		.amdhsa_reserve_flat_scratch 0
		.amdhsa_float_round_mode_32 0
		.amdhsa_float_round_mode_16_64 0
		.amdhsa_float_denorm_mode_32 3
		.amdhsa_float_denorm_mode_16_64 3
		.amdhsa_dx10_clamp 1
		.amdhsa_ieee_mode 1
		.amdhsa_fp16_overflow 0
		.amdhsa_exception_fp_ieee_invalid_op 0
		.amdhsa_exception_fp_denorm_src 0
		.amdhsa_exception_fp_ieee_div_zero 0
		.amdhsa_exception_fp_ieee_overflow 0
		.amdhsa_exception_fp_ieee_underflow 0
		.amdhsa_exception_fp_ieee_inexact 0
		.amdhsa_exception_int_div_zero 0
	.end_amdhsa_kernel
	.section	.text._Z6kernelI14exclusive_scanILN6hipcub18BlockScanAlgorithmE1EEiLj256ELj4ELj100EEvPKT0_PS4_S4_,"axG",@progbits,_Z6kernelI14exclusive_scanILN6hipcub18BlockScanAlgorithmE1EEiLj256ELj4ELj100EEvPKT0_PS4_S4_,comdat
.Lfunc_end134:
	.size	_Z6kernelI14exclusive_scanILN6hipcub18BlockScanAlgorithmE1EEiLj256ELj4ELj100EEvPKT0_PS4_S4_, .Lfunc_end134-_Z6kernelI14exclusive_scanILN6hipcub18BlockScanAlgorithmE1EEiLj256ELj4ELj100EEvPKT0_PS4_S4_
                                        ; -- End function
	.set _Z6kernelI14exclusive_scanILN6hipcub18BlockScanAlgorithmE1EEiLj256ELj4ELj100EEvPKT0_PS4_S4_.num_vgpr, 17
	.set _Z6kernelI14exclusive_scanILN6hipcub18BlockScanAlgorithmE1EEiLj256ELj4ELj100EEvPKT0_PS4_S4_.num_agpr, 0
	.set _Z6kernelI14exclusive_scanILN6hipcub18BlockScanAlgorithmE1EEiLj256ELj4ELj100EEvPKT0_PS4_S4_.numbered_sgpr, 13
	.set _Z6kernelI14exclusive_scanILN6hipcub18BlockScanAlgorithmE1EEiLj256ELj4ELj100EEvPKT0_PS4_S4_.num_named_barrier, 0
	.set _Z6kernelI14exclusive_scanILN6hipcub18BlockScanAlgorithmE1EEiLj256ELj4ELj100EEvPKT0_PS4_S4_.private_seg_size, 0
	.set _Z6kernelI14exclusive_scanILN6hipcub18BlockScanAlgorithmE1EEiLj256ELj4ELj100EEvPKT0_PS4_S4_.uses_vcc, 1
	.set _Z6kernelI14exclusive_scanILN6hipcub18BlockScanAlgorithmE1EEiLj256ELj4ELj100EEvPKT0_PS4_S4_.uses_flat_scratch, 0
	.set _Z6kernelI14exclusive_scanILN6hipcub18BlockScanAlgorithmE1EEiLj256ELj4ELj100EEvPKT0_PS4_S4_.has_dyn_sized_stack, 0
	.set _Z6kernelI14exclusive_scanILN6hipcub18BlockScanAlgorithmE1EEiLj256ELj4ELj100EEvPKT0_PS4_S4_.has_recursion, 0
	.set _Z6kernelI14exclusive_scanILN6hipcub18BlockScanAlgorithmE1EEiLj256ELj4ELj100EEvPKT0_PS4_S4_.has_indirect_call, 0
	.section	.AMDGPU.csdata,"",@progbits
; Kernel info:
; codeLenInByte = 628
; TotalNumSgprs: 17
; NumVgprs: 17
; ScratchSize: 0
; MemoryBound: 0
; FloatMode: 240
; IeeeMode: 1
; LDSByteSize: 1056 bytes/workgroup (compile time only)
; SGPRBlocks: 2
; VGPRBlocks: 4
; NumSGPRsForWavesPerEU: 17
; NumVGPRsForWavesPerEU: 17
; Occupancy: 10
; WaveLimiterHint : 0
; COMPUTE_PGM_RSRC2:SCRATCH_EN: 0
; COMPUTE_PGM_RSRC2:USER_SGPR: 6
; COMPUTE_PGM_RSRC2:TRAP_HANDLER: 0
; COMPUTE_PGM_RSRC2:TGID_X_EN: 1
; COMPUTE_PGM_RSRC2:TGID_Y_EN: 0
; COMPUTE_PGM_RSRC2:TGID_Z_EN: 0
; COMPUTE_PGM_RSRC2:TIDIG_COMP_CNT: 0
	.section	.text._Z6kernelI14exclusive_scanILN6hipcub18BlockScanAlgorithmE1EEiLj256ELj8ELj100EEvPKT0_PS4_S4_,"axG",@progbits,_Z6kernelI14exclusive_scanILN6hipcub18BlockScanAlgorithmE1EEiLj256ELj8ELj100EEvPKT0_PS4_S4_,comdat
	.protected	_Z6kernelI14exclusive_scanILN6hipcub18BlockScanAlgorithmE1EEiLj256ELj8ELj100EEvPKT0_PS4_S4_ ; -- Begin function _Z6kernelI14exclusive_scanILN6hipcub18BlockScanAlgorithmE1EEiLj256ELj8ELj100EEvPKT0_PS4_S4_
	.globl	_Z6kernelI14exclusive_scanILN6hipcub18BlockScanAlgorithmE1EEiLj256ELj8ELj100EEvPKT0_PS4_S4_
	.p2align	8
	.type	_Z6kernelI14exclusive_scanILN6hipcub18BlockScanAlgorithmE1EEiLj256ELj8ELj100EEvPKT0_PS4_S4_,@function
_Z6kernelI14exclusive_scanILN6hipcub18BlockScanAlgorithmE1EEiLj256ELj8ELj100EEvPKT0_PS4_S4_: ; @_Z6kernelI14exclusive_scanILN6hipcub18BlockScanAlgorithmE1EEiLj256ELj8ELj100EEvPKT0_PS4_S4_
; %bb.0:
	s_load_dword s0, s[4:5], 0x24
	s_load_dwordx4 s[8:11], s[4:5], 0x0
	s_load_dword s12, s[4:5], 0x10
	v_mov_b32_e32 v2, 0
	v_lshlrev_b32_e32 v11, 4, v0
	s_waitcnt lgkmcnt(0)
	s_and_b32 s0, s0, 0xffff
	s_mul_i32 s6, s6, s0
	v_add_lshl_u32 v1, s6, v0, 3
	v_lshlrev_b64 v[16:17], 2, v[1:2]
	v_mov_b32_e32 v1, s9
	v_add_co_u32_e32 v9, vcc, s8, v16
	v_addc_co_u32_e32 v10, vcc, v1, v17, vcc
	global_load_dwordx4 v[5:8], v[9:10], off
	global_load_dwordx4 v[1:4], v[9:10], off offset:16
	v_lshrrev_b32_e32 v9, 3, v0
	v_and_b32_e32 v9, 28, v9
	v_lshl_add_u32 v18, v0, 2, v9
	v_subrev_co_u32_e64 v9, s[0:1], 1, v0
	v_cmp_gt_u32_e32 vcc, 64, v0
	v_lshrrev_b32_e32 v10, 1, v0
	v_lshrrev_b32_e32 v0, 3, v9
	v_and_b32_e32 v0, 0x1ffffffc, v0
	v_and_b32_e32 v10, 0x7c, v10
	v_lshl_add_u32 v0, v9, 2, v0
	v_mbcnt_lo_u32_b32 v9, -1, 0
	s_xor_b64 s[4:5], s[0:1], -1
	s_movk_i32 s8, 0x64
	v_add_u32_e32 v19, v10, v11
	v_mbcnt_hi_u32_b32 v20, -1, v9
.LBB135_1:                              ; =>This Inner Loop Header: Depth=1
	s_waitcnt vmcnt(1)
	v_add_u32_e32 v9, v6, v5
	v_add3_u32 v9, v9, v7, v8
	s_waitcnt vmcnt(0)
	v_add3_u32 v9, v9, v1, v2
	v_add3_u32 v4, v9, v3, v4
	ds_write_b32 v18, v4
	s_waitcnt lgkmcnt(0)
	s_barrier
	s_and_saveexec_b64 s[6:7], vcc
	s_cbranch_execz .LBB135_3
; %bb.2:                                ;   in Loop: Header=BB135_1 Depth=1
	ds_read2_b32 v[9:10], v19 offset1:1
	ds_read2_b32 v[11:12], v19 offset0:2 offset1:3
	v_and_b32_e32 v13, 15, v20
	v_cmp_ne_u32_e64 s[2:3], 0, v13
	s_waitcnt lgkmcnt(1)
	v_add_u32_e32 v14, v10, v9
	s_waitcnt lgkmcnt(0)
	v_add3_u32 v14, v14, v11, v12
	s_nop 1
	v_mov_b32_dpp v15, v14 row_shr:1 row_mask:0xf bank_mask:0xf
	v_cndmask_b32_e64 v15, 0, v15, s[2:3]
	v_add_u32_e32 v14, v15, v14
	v_cmp_lt_u32_e64 s[2:3], 1, v13
	s_nop 0
	v_mov_b32_dpp v15, v14 row_shr:2 row_mask:0xf bank_mask:0xf
	v_cndmask_b32_e64 v15, 0, v15, s[2:3]
	v_add_u32_e32 v14, v14, v15
	v_cmp_lt_u32_e64 s[2:3], 3, v13
	;; [unrolled: 5-line block ×3, first 2 shown]
	s_nop 0
	v_mov_b32_dpp v15, v14 row_shr:8 row_mask:0xf bank_mask:0xf
	v_cndmask_b32_e64 v13, 0, v15, s[2:3]
	v_add_u32_e32 v13, v14, v13
	v_bfe_i32 v15, v20, 4, 1
	v_cmp_lt_u32_e64 s[2:3], 31, v20
	v_mov_b32_dpp v14, v13 row_bcast:15 row_mask:0xf bank_mask:0xf
	v_and_b32_e32 v14, v15, v14
	v_add_u32_e32 v13, v13, v14
	v_and_b32_e32 v15, 64, v20
	s_nop 0
	v_mov_b32_dpp v14, v13 row_bcast:31 row_mask:0xf bank_mask:0xf
	v_cndmask_b32_e64 v14, 0, v14, s[2:3]
	v_add_u32_e32 v13, v13, v14
	v_add_u32_e32 v14, -1, v20
	v_cmp_lt_i32_e64 s[2:3], v14, v15
	v_cndmask_b32_e64 v14, v14, v20, s[2:3]
	v_lshlrev_b32_e32 v14, 2, v14
	ds_bpermute_b32 v13, v14, v13
	s_waitcnt lgkmcnt(0)
	v_add_u32_e32 v9, v13, v9
	v_cndmask_b32_e64 v4, v9, v4, s[0:1]
	v_add_u32_e32 v9, v4, v10
	ds_write2_b32 v19, v4, v9 offset1:1
	v_add_u32_e32 v4, v9, v11
	v_add_u32_e32 v9, v4, v12
	ds_write2_b32 v19, v4, v9 offset0:2 offset1:3
.LBB135_3:                              ;   in Loop: Header=BB135_1 Depth=1
	s_or_b64 exec, exec, s[6:7]
	v_mov_b32_e32 v9, s12
	s_waitcnt lgkmcnt(0)
	s_barrier
	s_and_saveexec_b64 s[2:3], s[4:5]
	s_cbranch_execz .LBB135_5
; %bb.4:                                ;   in Loop: Header=BB135_1 Depth=1
	ds_read_b32 v4, v0
	s_waitcnt lgkmcnt(0)
	v_add_u32_e32 v9, s12, v4
.LBB135_5:                              ;   in Loop: Header=BB135_1 Depth=1
	s_or_b64 exec, exec, s[2:3]
	v_add_u32_e32 v10, v9, v5
	v_add_u32_e32 v11, v10, v6
	;; [unrolled: 1-line block ×6, first 2 shown]
	s_add_i32 s8, s8, -1
	s_cmp_lg_u32 s8, 0
	v_add_u32_e32 v4, v15, v3
	s_cbranch_scc0 .LBB135_7
; %bb.6:                                ;   in Loop: Header=BB135_1 Depth=1
	v_mov_b32_e32 v5, v9
	v_mov_b32_e32 v6, v10
	;; [unrolled: 1-line block ×7, first 2 shown]
	s_branch .LBB135_1
.LBB135_7:
	v_mov_b32_e32 v1, s11
	v_add_co_u32_e32 v0, vcc, s10, v16
	v_addc_co_u32_e32 v1, vcc, v1, v17, vcc
	v_mov_b32_e32 v16, v4
	global_store_dwordx4 v[0:1], v[9:12], off
	global_store_dwordx4 v[0:1], v[13:16], off offset:16
	s_endpgm
	.section	.rodata,"a",@progbits
	.p2align	6, 0x0
	.amdhsa_kernel _Z6kernelI14exclusive_scanILN6hipcub18BlockScanAlgorithmE1EEiLj256ELj8ELj100EEvPKT0_PS4_S4_
		.amdhsa_group_segment_fixed_size 1056
		.amdhsa_private_segment_fixed_size 0
		.amdhsa_kernarg_size 280
		.amdhsa_user_sgpr_count 6
		.amdhsa_user_sgpr_private_segment_buffer 1
		.amdhsa_user_sgpr_dispatch_ptr 0
		.amdhsa_user_sgpr_queue_ptr 0
		.amdhsa_user_sgpr_kernarg_segment_ptr 1
		.amdhsa_user_sgpr_dispatch_id 0
		.amdhsa_user_sgpr_flat_scratch_init 0
		.amdhsa_user_sgpr_private_segment_size 0
		.amdhsa_uses_dynamic_stack 0
		.amdhsa_system_sgpr_private_segment_wavefront_offset 0
		.amdhsa_system_sgpr_workgroup_id_x 1
		.amdhsa_system_sgpr_workgroup_id_y 0
		.amdhsa_system_sgpr_workgroup_id_z 0
		.amdhsa_system_sgpr_workgroup_info 0
		.amdhsa_system_vgpr_workitem_id 0
		.amdhsa_next_free_vgpr 21
		.amdhsa_next_free_sgpr 13
		.amdhsa_reserve_vcc 1
		.amdhsa_reserve_flat_scratch 0
		.amdhsa_float_round_mode_32 0
		.amdhsa_float_round_mode_16_64 0
		.amdhsa_float_denorm_mode_32 3
		.amdhsa_float_denorm_mode_16_64 3
		.amdhsa_dx10_clamp 1
		.amdhsa_ieee_mode 1
		.amdhsa_fp16_overflow 0
		.amdhsa_exception_fp_ieee_invalid_op 0
		.amdhsa_exception_fp_denorm_src 0
		.amdhsa_exception_fp_ieee_div_zero 0
		.amdhsa_exception_fp_ieee_overflow 0
		.amdhsa_exception_fp_ieee_underflow 0
		.amdhsa_exception_fp_ieee_inexact 0
		.amdhsa_exception_int_div_zero 0
	.end_amdhsa_kernel
	.section	.text._Z6kernelI14exclusive_scanILN6hipcub18BlockScanAlgorithmE1EEiLj256ELj8ELj100EEvPKT0_PS4_S4_,"axG",@progbits,_Z6kernelI14exclusive_scanILN6hipcub18BlockScanAlgorithmE1EEiLj256ELj8ELj100EEvPKT0_PS4_S4_,comdat
.Lfunc_end135:
	.size	_Z6kernelI14exclusive_scanILN6hipcub18BlockScanAlgorithmE1EEiLj256ELj8ELj100EEvPKT0_PS4_S4_, .Lfunc_end135-_Z6kernelI14exclusive_scanILN6hipcub18BlockScanAlgorithmE1EEiLj256ELj8ELj100EEvPKT0_PS4_S4_
                                        ; -- End function
	.set _Z6kernelI14exclusive_scanILN6hipcub18BlockScanAlgorithmE1EEiLj256ELj8ELj100EEvPKT0_PS4_S4_.num_vgpr, 21
	.set _Z6kernelI14exclusive_scanILN6hipcub18BlockScanAlgorithmE1EEiLj256ELj8ELj100EEvPKT0_PS4_S4_.num_agpr, 0
	.set _Z6kernelI14exclusive_scanILN6hipcub18BlockScanAlgorithmE1EEiLj256ELj8ELj100EEvPKT0_PS4_S4_.numbered_sgpr, 13
	.set _Z6kernelI14exclusive_scanILN6hipcub18BlockScanAlgorithmE1EEiLj256ELj8ELj100EEvPKT0_PS4_S4_.num_named_barrier, 0
	.set _Z6kernelI14exclusive_scanILN6hipcub18BlockScanAlgorithmE1EEiLj256ELj8ELj100EEvPKT0_PS4_S4_.private_seg_size, 0
	.set _Z6kernelI14exclusive_scanILN6hipcub18BlockScanAlgorithmE1EEiLj256ELj8ELj100EEvPKT0_PS4_S4_.uses_vcc, 1
	.set _Z6kernelI14exclusive_scanILN6hipcub18BlockScanAlgorithmE1EEiLj256ELj8ELj100EEvPKT0_PS4_S4_.uses_flat_scratch, 0
	.set _Z6kernelI14exclusive_scanILN6hipcub18BlockScanAlgorithmE1EEiLj256ELj8ELj100EEvPKT0_PS4_S4_.has_dyn_sized_stack, 0
	.set _Z6kernelI14exclusive_scanILN6hipcub18BlockScanAlgorithmE1EEiLj256ELj8ELj100EEvPKT0_PS4_S4_.has_recursion, 0
	.set _Z6kernelI14exclusive_scanILN6hipcub18BlockScanAlgorithmE1EEiLj256ELj8ELj100EEvPKT0_PS4_S4_.has_indirect_call, 0
	.section	.AMDGPU.csdata,"",@progbits
; Kernel info:
; codeLenInByte = 696
; TotalNumSgprs: 17
; NumVgprs: 21
; ScratchSize: 0
; MemoryBound: 0
; FloatMode: 240
; IeeeMode: 1
; LDSByteSize: 1056 bytes/workgroup (compile time only)
; SGPRBlocks: 2
; VGPRBlocks: 5
; NumSGPRsForWavesPerEU: 17
; NumVGPRsForWavesPerEU: 21
; Occupancy: 10
; WaveLimiterHint : 0
; COMPUTE_PGM_RSRC2:SCRATCH_EN: 0
; COMPUTE_PGM_RSRC2:USER_SGPR: 6
; COMPUTE_PGM_RSRC2:TRAP_HANDLER: 0
; COMPUTE_PGM_RSRC2:TGID_X_EN: 1
; COMPUTE_PGM_RSRC2:TGID_Y_EN: 0
; COMPUTE_PGM_RSRC2:TGID_Z_EN: 0
; COMPUTE_PGM_RSRC2:TIDIG_COMP_CNT: 0
	.section	.text._Z6kernelI14exclusive_scanILN6hipcub18BlockScanAlgorithmE1EEiLj256ELj11ELj100EEvPKT0_PS4_S4_,"axG",@progbits,_Z6kernelI14exclusive_scanILN6hipcub18BlockScanAlgorithmE1EEiLj256ELj11ELj100EEvPKT0_PS4_S4_,comdat
	.protected	_Z6kernelI14exclusive_scanILN6hipcub18BlockScanAlgorithmE1EEiLj256ELj11ELj100EEvPKT0_PS4_S4_ ; -- Begin function _Z6kernelI14exclusive_scanILN6hipcub18BlockScanAlgorithmE1EEiLj256ELj11ELj100EEvPKT0_PS4_S4_
	.globl	_Z6kernelI14exclusive_scanILN6hipcub18BlockScanAlgorithmE1EEiLj256ELj11ELj100EEvPKT0_PS4_S4_
	.p2align	8
	.type	_Z6kernelI14exclusive_scanILN6hipcub18BlockScanAlgorithmE1EEiLj256ELj11ELj100EEvPKT0_PS4_S4_,@function
_Z6kernelI14exclusive_scanILN6hipcub18BlockScanAlgorithmE1EEiLj256ELj11ELj100EEvPKT0_PS4_S4_: ; @_Z6kernelI14exclusive_scanILN6hipcub18BlockScanAlgorithmE1EEiLj256ELj11ELj100EEvPKT0_PS4_S4_
; %bb.0:
	s_load_dword s0, s[4:5], 0x24
	s_load_dwordx4 s[8:11], s[4:5], 0x0
	s_load_dword s12, s[4:5], 0x10
	v_mov_b32_e32 v22, 0
	v_mov_b32_e32 v4, v22
	s_waitcnt lgkmcnt(0)
	s_and_b32 s0, s0, 0xffff
	s_mul_i32 s6, s6, s0
	v_add_u32_e32 v1, s6, v0
	v_mul_lo_u32 v21, v1, 11
	v_mov_b32_e32 v3, s9
	v_mov_b32_e32 v5, s9
	;; [unrolled: 1-line block ×3, first 2 shown]
	v_lshlrev_b64 v[1:2], 2, v[21:22]
	v_mov_b32_e32 v7, s9
	v_add_co_u32_e32 v17, vcc, s8, v1
	v_addc_co_u32_e32 v18, vcc, v3, v2, vcc
	v_add_u32_e32 v3, 1, v21
	v_lshlrev_b64 v[3:4], 2, v[3:4]
	v_mov_b32_e32 v8, v22
	v_add_co_u32_e32 v19, vcc, s8, v3
	v_addc_co_u32_e32 v20, vcc, v5, v4, vcc
	v_add_u32_e32 v5, 2, v21
	;; [unrolled: 5-line block ×5, first 2 shown]
	v_mov_b32_e32 v12, v22
	v_lshlrev_b64 v[11:12], 2, v[11:12]
	v_mov_b32_e32 v13, s9
	v_add_co_u32_e32 v37, vcc, s8, v11
	v_addc_co_u32_e32 v38, vcc, v13, v12, vcc
	v_add_u32_e32 v13, 6, v21
	v_mov_b32_e32 v14, v22
	v_lshlrev_b64 v[13:14], 2, v[13:14]
	v_mov_b32_e32 v15, s9
	v_add_co_u32_e32 v39, vcc, s8, v13
	v_addc_co_u32_e32 v40, vcc, v15, v14, vcc
	v_add_u32_e32 v15, 7, v21
	v_mov_b32_e32 v16, v22
	v_lshlrev_b64 v[15:16], 2, v[15:16]
	v_mov_b32_e32 v23, s9
	v_add_co_u32_e32 v41, vcc, s8, v15
	v_addc_co_u32_e32 v42, vcc, v23, v16, vcc
	global_load_dword v30, v[17:18], off
	global_load_dword v29, v[19:20], off
	;; [unrolled: 1-line block ×8, first 2 shown]
	v_add_u32_e32 v17, 8, v21
	v_mov_b32_e32 v18, v22
	v_lshlrev_b64 v[17:18], 2, v[17:18]
	v_mov_b32_e32 v19, s9
	v_add_co_u32_e32 v33, vcc, s8, v17
	v_addc_co_u32_e32 v34, vcc, v19, v18, vcc
	v_add_u32_e32 v19, 9, v21
	v_mov_b32_e32 v20, v22
	v_lshlrev_b64 v[19:20], 2, v[19:20]
	v_add_u32_e32 v21, 10, v21
	v_mov_b32_e32 v31, s9
	v_add_co_u32_e32 v36, vcc, s8, v19
	v_lshlrev_b64 v[21:22], 2, v[21:22]
	v_addc_co_u32_e32 v37, vcc, v31, v20, vcc
	v_add_co_u32_e32 v38, vcc, s8, v21
	v_addc_co_u32_e32 v39, vcc, v31, v22, vcc
	global_load_dword v32, v[33:34], off
	global_load_dword v31, v[36:37], off
	;; [unrolled: 1-line block ×3, first 2 shown]
	v_subrev_co_u32_e32 v33, vcc, 1, v0
	v_lshrrev_b32_e32 v34, 3, v33
	v_and_b32_e32 v34, 0x1ffffffc, v34
	v_lshl_add_u32 v33, v33, 2, v34
	v_lshrrev_b32_e32 v34, 3, v0
	v_and_b32_e32 v34, 28, v34
	v_lshrrev_b32_e32 v36, 1, v0
	v_lshl_add_u32 v34, v0, 2, v34
	v_cmp_gt_u32_e64 s[0:1], 64, v0
	v_and_b32_e32 v36, 0x7c, v36
	v_lshlrev_b32_e32 v0, 4, v0
	v_add_u32_e32 v0, v36, v0
	v_mbcnt_lo_u32_b32 v36, -1, 0
	s_xor_b64 s[6:7], vcc, -1
	s_movk_i32 s13, 0x64
	v_mbcnt_hi_u32_b32 v36, -1, v36
.LBB136_1:                              ; =>This Inner Loop Header: Depth=1
	s_waitcnt vmcnt(0)
	v_add3_u32 v35, v31, v35, v32
	v_add3_u32 v35, v35, v24, v23
	v_add3_u32 v35, v35, v25, v26
	v_add3_u32 v35, v35, v27, v28
	v_add3_u32 v35, v35, v29, v30
	ds_write_b32 v34, v35
	s_waitcnt lgkmcnt(0)
	s_barrier
	s_and_saveexec_b64 s[8:9], s[0:1]
	s_cbranch_execz .LBB136_3
; %bb.2:                                ;   in Loop: Header=BB136_1 Depth=1
	ds_read2_b32 v[37:38], v0 offset1:1
	ds_read2_b32 v[39:40], v0 offset0:2 offset1:3
	v_and_b32_e32 v41, 15, v36
	v_cmp_ne_u32_e64 s[2:3], 0, v41
	v_cmp_lt_u32_e64 s[4:5], 1, v41
	s_waitcnt lgkmcnt(1)
	v_add_u32_e32 v42, v38, v37
	s_waitcnt lgkmcnt(0)
	v_add3_u32 v42, v42, v39, v40
	s_nop 1
	v_mov_b32_dpp v43, v42 row_shr:1 row_mask:0xf bank_mask:0xf
	v_cndmask_b32_e64 v43, 0, v43, s[2:3]
	v_add_u32_e32 v42, v43, v42
	v_cmp_lt_u32_e64 s[2:3], 3, v41
	s_nop 0
	v_mov_b32_dpp v43, v42 row_shr:2 row_mask:0xf bank_mask:0xf
	v_cndmask_b32_e64 v43, 0, v43, s[4:5]
	v_add_u32_e32 v42, v42, v43
	s_nop 1
	v_mov_b32_dpp v43, v42 row_shr:4 row_mask:0xf bank_mask:0xf
	v_cndmask_b32_e64 v43, 0, v43, s[2:3]
	v_add_u32_e32 v42, v42, v43
	v_cmp_lt_u32_e64 s[2:3], 7, v41
	s_nop 0
	v_mov_b32_dpp v43, v42 row_shr:8 row_mask:0xf bank_mask:0xf
	v_cndmask_b32_e64 v41, 0, v43, s[2:3]
	v_add_u32_e32 v41, v42, v41
	v_bfe_i32 v43, v36, 4, 1
	v_cmp_lt_u32_e64 s[2:3], 31, v36
	v_mov_b32_dpp v42, v41 row_bcast:15 row_mask:0xf bank_mask:0xf
	v_and_b32_e32 v42, v43, v42
	v_add_u32_e32 v41, v41, v42
	v_and_b32_e32 v43, 64, v36
	s_nop 0
	v_mov_b32_dpp v42, v41 row_bcast:31 row_mask:0xf bank_mask:0xf
	v_cndmask_b32_e64 v42, 0, v42, s[2:3]
	v_add_u32_e32 v41, v41, v42
	v_add_u32_e32 v42, -1, v36
	v_cmp_lt_i32_e64 s[2:3], v42, v43
	v_cndmask_b32_e64 v42, v42, v36, s[2:3]
	v_lshlrev_b32_e32 v42, 2, v42
	ds_bpermute_b32 v41, v42, v41
	s_waitcnt lgkmcnt(0)
	v_add_u32_e32 v37, v41, v37
	v_cndmask_b32_e32 v35, v37, v35, vcc
	v_add_u32_e32 v37, v35, v38
	ds_write2_b32 v0, v35, v37 offset1:1
	v_add_u32_e32 v35, v37, v39
	v_add_u32_e32 v37, v35, v40
	ds_write2_b32 v0, v35, v37 offset0:2 offset1:3
.LBB136_3:                              ;   in Loop: Header=BB136_1 Depth=1
	s_or_b64 exec, exec, s[8:9]
	v_mov_b32_e32 v37, s12
	s_waitcnt lgkmcnt(0)
	s_barrier
	s_and_saveexec_b64 s[2:3], s[6:7]
	s_cbranch_execz .LBB136_5
; %bb.4:                                ;   in Loop: Header=BB136_1 Depth=1
	ds_read_b32 v35, v33
	s_waitcnt lgkmcnt(0)
	v_add_u32_e32 v37, s12, v35
.LBB136_5:                              ;   in Loop: Header=BB136_1 Depth=1
	s_or_b64 exec, exec, s[2:3]
	v_add_u32_e32 v38, v37, v30
	v_add_u32_e32 v30, v38, v29
	;; [unrolled: 1-line block ×9, first 2 shown]
	s_add_i32 s13, s13, -1
	s_cmp_lg_u32 s13, 0
	v_add_u32_e32 v35, v23, v31
	s_cbranch_scc0 .LBB136_7
; %bb.6:                                ;   in Loop: Header=BB136_1 Depth=1
	v_mov_b32_e32 v31, v23
	v_mov_b32_e32 v32, v24
	v_mov_b32_e32 v24, v25
	v_mov_b32_e32 v23, v26
	v_mov_b32_e32 v25, v27
	v_mov_b32_e32 v26, v28
	v_mov_b32_e32 v27, v29
	v_mov_b32_e32 v28, v30
	v_mov_b32_e32 v29, v38
	v_mov_b32_e32 v30, v37
	s_branch .LBB136_1
.LBB136_7:
	v_mov_b32_e32 v31, s11
	v_add_co_u32_e32 v0, vcc, s10, v1
	v_addc_co_u32_e32 v1, vcc, v31, v2, vcc
	global_store_dword v[0:1], v37, off
	v_mov_b32_e32 v1, s11
	v_add_co_u32_e32 v0, vcc, s10, v3
	v_addc_co_u32_e32 v1, vcc, v1, v4, vcc
	global_store_dword v[0:1], v38, off
	v_mov_b32_e32 v1, s11
	v_add_co_u32_e32 v0, vcc, s10, v5
	v_addc_co_u32_e32 v1, vcc, v1, v6, vcc
	global_store_dword v[0:1], v30, off
	v_mov_b32_e32 v1, s11
	v_add_co_u32_e32 v0, vcc, s10, v7
	v_addc_co_u32_e32 v1, vcc, v1, v8, vcc
	global_store_dword v[0:1], v29, off
	v_mov_b32_e32 v1, s11
	v_add_co_u32_e32 v0, vcc, s10, v9
	v_addc_co_u32_e32 v1, vcc, v1, v10, vcc
	global_store_dword v[0:1], v28, off
	v_mov_b32_e32 v1, s11
	v_add_co_u32_e32 v0, vcc, s10, v11
	v_addc_co_u32_e32 v1, vcc, v1, v12, vcc
	global_store_dword v[0:1], v27, off
	v_mov_b32_e32 v1, s11
	v_add_co_u32_e32 v0, vcc, s10, v13
	v_addc_co_u32_e32 v1, vcc, v1, v14, vcc
	global_store_dword v[0:1], v26, off
	v_mov_b32_e32 v1, s11
	v_add_co_u32_e32 v0, vcc, s10, v15
	v_addc_co_u32_e32 v1, vcc, v1, v16, vcc
	global_store_dword v[0:1], v25, off
	v_mov_b32_e32 v1, s11
	v_add_co_u32_e32 v0, vcc, s10, v17
	v_addc_co_u32_e32 v1, vcc, v1, v18, vcc
	global_store_dword v[0:1], v24, off
	v_mov_b32_e32 v1, s11
	v_add_co_u32_e32 v0, vcc, s10, v19
	v_addc_co_u32_e32 v1, vcc, v1, v20, vcc
	global_store_dword v[0:1], v23, off
	v_mov_b32_e32 v1, s11
	v_add_co_u32_e32 v0, vcc, s10, v21
	v_addc_co_u32_e32 v1, vcc, v1, v22, vcc
	global_store_dword v[0:1], v35, off
	s_endpgm
	.section	.rodata,"a",@progbits
	.p2align	6, 0x0
	.amdhsa_kernel _Z6kernelI14exclusive_scanILN6hipcub18BlockScanAlgorithmE1EEiLj256ELj11ELj100EEvPKT0_PS4_S4_
		.amdhsa_group_segment_fixed_size 1056
		.amdhsa_private_segment_fixed_size 0
		.amdhsa_kernarg_size 280
		.amdhsa_user_sgpr_count 6
		.amdhsa_user_sgpr_private_segment_buffer 1
		.amdhsa_user_sgpr_dispatch_ptr 0
		.amdhsa_user_sgpr_queue_ptr 0
		.amdhsa_user_sgpr_kernarg_segment_ptr 1
		.amdhsa_user_sgpr_dispatch_id 0
		.amdhsa_user_sgpr_flat_scratch_init 0
		.amdhsa_user_sgpr_private_segment_size 0
		.amdhsa_uses_dynamic_stack 0
		.amdhsa_system_sgpr_private_segment_wavefront_offset 0
		.amdhsa_system_sgpr_workgroup_id_x 1
		.amdhsa_system_sgpr_workgroup_id_y 0
		.amdhsa_system_sgpr_workgroup_id_z 0
		.amdhsa_system_sgpr_workgroup_info 0
		.amdhsa_system_vgpr_workitem_id 0
		.amdhsa_next_free_vgpr 44
		.amdhsa_next_free_sgpr 14
		.amdhsa_reserve_vcc 1
		.amdhsa_reserve_flat_scratch 0
		.amdhsa_float_round_mode_32 0
		.amdhsa_float_round_mode_16_64 0
		.amdhsa_float_denorm_mode_32 3
		.amdhsa_float_denorm_mode_16_64 3
		.amdhsa_dx10_clamp 1
		.amdhsa_ieee_mode 1
		.amdhsa_fp16_overflow 0
		.amdhsa_exception_fp_ieee_invalid_op 0
		.amdhsa_exception_fp_denorm_src 0
		.amdhsa_exception_fp_ieee_div_zero 0
		.amdhsa_exception_fp_ieee_overflow 0
		.amdhsa_exception_fp_ieee_underflow 0
		.amdhsa_exception_fp_ieee_inexact 0
		.amdhsa_exception_int_div_zero 0
	.end_amdhsa_kernel
	.section	.text._Z6kernelI14exclusive_scanILN6hipcub18BlockScanAlgorithmE1EEiLj256ELj11ELj100EEvPKT0_PS4_S4_,"axG",@progbits,_Z6kernelI14exclusive_scanILN6hipcub18BlockScanAlgorithmE1EEiLj256ELj11ELj100EEvPKT0_PS4_S4_,comdat
.Lfunc_end136:
	.size	_Z6kernelI14exclusive_scanILN6hipcub18BlockScanAlgorithmE1EEiLj256ELj11ELj100EEvPKT0_PS4_S4_, .Lfunc_end136-_Z6kernelI14exclusive_scanILN6hipcub18BlockScanAlgorithmE1EEiLj256ELj11ELj100EEvPKT0_PS4_S4_
                                        ; -- End function
	.set _Z6kernelI14exclusive_scanILN6hipcub18BlockScanAlgorithmE1EEiLj256ELj11ELj100EEvPKT0_PS4_S4_.num_vgpr, 44
	.set _Z6kernelI14exclusive_scanILN6hipcub18BlockScanAlgorithmE1EEiLj256ELj11ELj100EEvPKT0_PS4_S4_.num_agpr, 0
	.set _Z6kernelI14exclusive_scanILN6hipcub18BlockScanAlgorithmE1EEiLj256ELj11ELj100EEvPKT0_PS4_S4_.numbered_sgpr, 14
	.set _Z6kernelI14exclusive_scanILN6hipcub18BlockScanAlgorithmE1EEiLj256ELj11ELj100EEvPKT0_PS4_S4_.num_named_barrier, 0
	.set _Z6kernelI14exclusive_scanILN6hipcub18BlockScanAlgorithmE1EEiLj256ELj11ELj100EEvPKT0_PS4_S4_.private_seg_size, 0
	.set _Z6kernelI14exclusive_scanILN6hipcub18BlockScanAlgorithmE1EEiLj256ELj11ELj100EEvPKT0_PS4_S4_.uses_vcc, 1
	.set _Z6kernelI14exclusive_scanILN6hipcub18BlockScanAlgorithmE1EEiLj256ELj11ELj100EEvPKT0_PS4_S4_.uses_flat_scratch, 0
	.set _Z6kernelI14exclusive_scanILN6hipcub18BlockScanAlgorithmE1EEiLj256ELj11ELj100EEvPKT0_PS4_S4_.has_dyn_sized_stack, 0
	.set _Z6kernelI14exclusive_scanILN6hipcub18BlockScanAlgorithmE1EEiLj256ELj11ELj100EEvPKT0_PS4_S4_.has_recursion, 0
	.set _Z6kernelI14exclusive_scanILN6hipcub18BlockScanAlgorithmE1EEiLj256ELj11ELj100EEvPKT0_PS4_S4_.has_indirect_call, 0
	.section	.AMDGPU.csdata,"",@progbits
; Kernel info:
; codeLenInByte = 1260
; TotalNumSgprs: 18
; NumVgprs: 44
; ScratchSize: 0
; MemoryBound: 0
; FloatMode: 240
; IeeeMode: 1
; LDSByteSize: 1056 bytes/workgroup (compile time only)
; SGPRBlocks: 2
; VGPRBlocks: 10
; NumSGPRsForWavesPerEU: 18
; NumVGPRsForWavesPerEU: 44
; Occupancy: 5
; WaveLimiterHint : 0
; COMPUTE_PGM_RSRC2:SCRATCH_EN: 0
; COMPUTE_PGM_RSRC2:USER_SGPR: 6
; COMPUTE_PGM_RSRC2:TRAP_HANDLER: 0
; COMPUTE_PGM_RSRC2:TGID_X_EN: 1
; COMPUTE_PGM_RSRC2:TGID_Y_EN: 0
; COMPUTE_PGM_RSRC2:TGID_Z_EN: 0
; COMPUTE_PGM_RSRC2:TIDIG_COMP_CNT: 0
	.section	.text._Z6kernelI14exclusive_scanILN6hipcub18BlockScanAlgorithmE1EEiLj256ELj16ELj100EEvPKT0_PS4_S4_,"axG",@progbits,_Z6kernelI14exclusive_scanILN6hipcub18BlockScanAlgorithmE1EEiLj256ELj16ELj100EEvPKT0_PS4_S4_,comdat
	.protected	_Z6kernelI14exclusive_scanILN6hipcub18BlockScanAlgorithmE1EEiLj256ELj16ELj100EEvPKT0_PS4_S4_ ; -- Begin function _Z6kernelI14exclusive_scanILN6hipcub18BlockScanAlgorithmE1EEiLj256ELj16ELj100EEvPKT0_PS4_S4_
	.globl	_Z6kernelI14exclusive_scanILN6hipcub18BlockScanAlgorithmE1EEiLj256ELj16ELj100EEvPKT0_PS4_S4_
	.p2align	8
	.type	_Z6kernelI14exclusive_scanILN6hipcub18BlockScanAlgorithmE1EEiLj256ELj16ELj100EEvPKT0_PS4_S4_,@function
_Z6kernelI14exclusive_scanILN6hipcub18BlockScanAlgorithmE1EEiLj256ELj16ELj100EEvPKT0_PS4_S4_: ; @_Z6kernelI14exclusive_scanILN6hipcub18BlockScanAlgorithmE1EEiLj256ELj16ELj100EEvPKT0_PS4_S4_
; %bb.0:
	s_load_dword s0, s[4:5], 0x24
	s_load_dwordx4 s[8:11], s[4:5], 0x0
	s_load_dword s12, s[4:5], 0x10
	v_mov_b32_e32 v2, 0
	s_movk_i32 s13, 0x64
	s_waitcnt lgkmcnt(0)
	s_and_b32 s0, s0, 0xffff
	s_mul_i32 s6, s6, s0
	v_add_lshl_u32 v1, s6, v0, 4
	v_lshlrev_b64 v[21:22], 2, v[1:2]
	v_mov_b32_e32 v1, s9
	v_add_co_u32_e32 v17, vcc, s8, v21
	v_addc_co_u32_e32 v18, vcc, v1, v22, vcc
	global_load_dwordx4 v[9:12], v[17:18], off
	global_load_dwordx4 v[5:8], v[17:18], off offset:16
	global_load_dwordx4 v[13:16], v[17:18], off offset:32
	;; [unrolled: 1-line block ×3, first 2 shown]
	v_lshrrev_b32_e32 v17, 3, v0
	v_and_b32_e32 v17, 28, v17
	v_lshl_add_u32 v23, v0, 2, v17
	v_subrev_co_u32_e64 v17, s[0:1], 1, v0
	v_lshrrev_b32_e32 v18, 1, v0
	v_cmp_gt_u32_e32 vcc, 64, v0
	v_and_b32_e32 v18, 0x7c, v18
	v_lshlrev_b32_e32 v0, 4, v0
	v_lshrrev_b32_e32 v19, 3, v17
	v_and_b32_e32 v19, 0x1ffffffc, v19
	v_add_u32_e32 v25, v18, v0
	v_mbcnt_lo_u32_b32 v0, -1, 0
	s_xor_b64 s[6:7], s[0:1], -1
	v_lshl_add_u32 v24, v17, 2, v19
	v_mbcnt_hi_u32_b32 v26, -1, v0
.LBB137_1:                              ; =>This Inner Loop Header: Depth=1
	s_waitcnt vmcnt(0)
	v_add_u32_e32 v0, v3, v4
	v_add3_u32 v0, v0, v2, v1
	v_add3_u32 v0, v0, v16, v15
	;; [unrolled: 1-line block ×7, first 2 shown]
	ds_write_b32 v23, v0
	s_waitcnt lgkmcnt(0)
	s_barrier
	s_and_saveexec_b64 s[8:9], vcc
	s_cbranch_execz .LBB137_3
; %bb.2:                                ;   in Loop: Header=BB137_1 Depth=1
	ds_read2_b32 v[17:18], v25 offset1:1
	ds_read2_b32 v[19:20], v25 offset0:2 offset1:3
	v_and_b32_e32 v4, 15, v26
	v_cmp_ne_u32_e64 s[2:3], 0, v4
	v_cmp_lt_u32_e64 s[4:5], 1, v4
	s_waitcnt lgkmcnt(1)
	v_add_u32_e32 v27, v18, v17
	s_waitcnt lgkmcnt(0)
	v_add3_u32 v27, v27, v19, v20
	s_nop 1
	v_mov_b32_dpp v28, v27 row_shr:1 row_mask:0xf bank_mask:0xf
	v_cndmask_b32_e64 v28, 0, v28, s[2:3]
	v_add_u32_e32 v27, v28, v27
	v_cmp_lt_u32_e64 s[2:3], 3, v4
	s_nop 0
	v_mov_b32_dpp v28, v27 row_shr:2 row_mask:0xf bank_mask:0xf
	v_cndmask_b32_e64 v28, 0, v28, s[4:5]
	v_add_u32_e32 v27, v27, v28
	s_nop 1
	v_mov_b32_dpp v28, v27 row_shr:4 row_mask:0xf bank_mask:0xf
	v_cndmask_b32_e64 v28, 0, v28, s[2:3]
	v_add_u32_e32 v27, v27, v28
	v_cmp_lt_u32_e64 s[2:3], 7, v4
	s_nop 0
	v_mov_b32_dpp v28, v27 row_shr:8 row_mask:0xf bank_mask:0xf
	v_cndmask_b32_e64 v4, 0, v28, s[2:3]
	v_add_u32_e32 v4, v27, v4
	v_bfe_i32 v28, v26, 4, 1
	v_cmp_lt_u32_e64 s[2:3], 31, v26
	v_mov_b32_dpp v27, v4 row_bcast:15 row_mask:0xf bank_mask:0xf
	v_and_b32_e32 v27, v28, v27
	v_add_u32_e32 v4, v4, v27
	v_and_b32_e32 v28, 64, v26
	s_nop 0
	v_mov_b32_dpp v27, v4 row_bcast:31 row_mask:0xf bank_mask:0xf
	v_cndmask_b32_e64 v27, 0, v27, s[2:3]
	v_add_u32_e32 v4, v4, v27
	v_add_u32_e32 v27, -1, v26
	v_cmp_lt_i32_e64 s[2:3], v27, v28
	v_cndmask_b32_e64 v27, v27, v26, s[2:3]
	v_lshlrev_b32_e32 v27, 2, v27
	ds_bpermute_b32 v4, v27, v4
	s_waitcnt lgkmcnt(0)
	v_add_u32_e32 v4, v4, v17
	v_cndmask_b32_e64 v0, v4, v0, s[0:1]
	v_add_u32_e32 v4, v0, v18
	ds_write2_b32 v25, v0, v4 offset1:1
	v_add_u32_e32 v0, v4, v19
	v_add_u32_e32 v4, v0, v20
	ds_write2_b32 v25, v0, v4 offset0:2 offset1:3
.LBB137_3:                              ;   in Loop: Header=BB137_1 Depth=1
	s_or_b64 exec, exec, s[8:9]
	v_mov_b32_e32 v17, s12
	s_waitcnt lgkmcnt(0)
	s_barrier
	s_and_saveexec_b64 s[2:3], s[6:7]
	s_cbranch_execz .LBB137_5
; %bb.4:                                ;   in Loop: Header=BB137_1 Depth=1
	ds_read_b32 v0, v24
	s_waitcnt lgkmcnt(0)
	v_add_u32_e32 v17, s12, v0
.LBB137_5:                              ;   in Loop: Header=BB137_1 Depth=1
	s_or_b64 exec, exec, s[2:3]
	v_add_u32_e32 v18, v17, v9
	v_add_u32_e32 v19, v18, v10
	;; [unrolled: 1-line block ×14, first 2 shown]
	s_add_i32 s13, s13, -1
	s_cmp_lg_u32 s13, 0
	v_add_u32_e32 v4, v2, v3
	s_cbranch_scc0 .LBB137_7
; %bb.6:                                ;   in Loop: Header=BB137_1 Depth=1
	v_mov_b32_e32 v3, v2
	v_mov_b32_e32 v2, v1
	;; [unrolled: 1-line block ×15, first 2 shown]
	s_branch .LBB137_1
.LBB137_7:
	v_mov_b32_e32 v3, s11
	v_add_co_u32_e32 v13, vcc, s10, v21
	v_addc_co_u32_e32 v14, vcc, v3, v22, vcc
	v_mov_b32_e32 v3, v4
	global_store_dwordx4 v[13:14], v[17:20], off
	global_store_dwordx4 v[13:14], v[9:12], off offset:16
	global_store_dwordx4 v[13:14], v[5:8], off offset:32
	;; [unrolled: 1-line block ×3, first 2 shown]
	s_endpgm
	.section	.rodata,"a",@progbits
	.p2align	6, 0x0
	.amdhsa_kernel _Z6kernelI14exclusive_scanILN6hipcub18BlockScanAlgorithmE1EEiLj256ELj16ELj100EEvPKT0_PS4_S4_
		.amdhsa_group_segment_fixed_size 1056
		.amdhsa_private_segment_fixed_size 0
		.amdhsa_kernarg_size 280
		.amdhsa_user_sgpr_count 6
		.amdhsa_user_sgpr_private_segment_buffer 1
		.amdhsa_user_sgpr_dispatch_ptr 0
		.amdhsa_user_sgpr_queue_ptr 0
		.amdhsa_user_sgpr_kernarg_segment_ptr 1
		.amdhsa_user_sgpr_dispatch_id 0
		.amdhsa_user_sgpr_flat_scratch_init 0
		.amdhsa_user_sgpr_private_segment_size 0
		.amdhsa_uses_dynamic_stack 0
		.amdhsa_system_sgpr_private_segment_wavefront_offset 0
		.amdhsa_system_sgpr_workgroup_id_x 1
		.amdhsa_system_sgpr_workgroup_id_y 0
		.amdhsa_system_sgpr_workgroup_id_z 0
		.amdhsa_system_sgpr_workgroup_info 0
		.amdhsa_system_vgpr_workitem_id 0
		.amdhsa_next_free_vgpr 29
		.amdhsa_next_free_sgpr 14
		.amdhsa_reserve_vcc 1
		.amdhsa_reserve_flat_scratch 0
		.amdhsa_float_round_mode_32 0
		.amdhsa_float_round_mode_16_64 0
		.amdhsa_float_denorm_mode_32 3
		.amdhsa_float_denorm_mode_16_64 3
		.amdhsa_dx10_clamp 1
		.amdhsa_ieee_mode 1
		.amdhsa_fp16_overflow 0
		.amdhsa_exception_fp_ieee_invalid_op 0
		.amdhsa_exception_fp_denorm_src 0
		.amdhsa_exception_fp_ieee_div_zero 0
		.amdhsa_exception_fp_ieee_overflow 0
		.amdhsa_exception_fp_ieee_underflow 0
		.amdhsa_exception_fp_ieee_inexact 0
		.amdhsa_exception_int_div_zero 0
	.end_amdhsa_kernel
	.section	.text._Z6kernelI14exclusive_scanILN6hipcub18BlockScanAlgorithmE1EEiLj256ELj16ELj100EEvPKT0_PS4_S4_,"axG",@progbits,_Z6kernelI14exclusive_scanILN6hipcub18BlockScanAlgorithmE1EEiLj256ELj16ELj100EEvPKT0_PS4_S4_,comdat
.Lfunc_end137:
	.size	_Z6kernelI14exclusive_scanILN6hipcub18BlockScanAlgorithmE1EEiLj256ELj16ELj100EEvPKT0_PS4_S4_, .Lfunc_end137-_Z6kernelI14exclusive_scanILN6hipcub18BlockScanAlgorithmE1EEiLj256ELj16ELj100EEvPKT0_PS4_S4_
                                        ; -- End function
	.set _Z6kernelI14exclusive_scanILN6hipcub18BlockScanAlgorithmE1EEiLj256ELj16ELj100EEvPKT0_PS4_S4_.num_vgpr, 29
	.set _Z6kernelI14exclusive_scanILN6hipcub18BlockScanAlgorithmE1EEiLj256ELj16ELj100EEvPKT0_PS4_S4_.num_agpr, 0
	.set _Z6kernelI14exclusive_scanILN6hipcub18BlockScanAlgorithmE1EEiLj256ELj16ELj100EEvPKT0_PS4_S4_.numbered_sgpr, 14
	.set _Z6kernelI14exclusive_scanILN6hipcub18BlockScanAlgorithmE1EEiLj256ELj16ELj100EEvPKT0_PS4_S4_.num_named_barrier, 0
	.set _Z6kernelI14exclusive_scanILN6hipcub18BlockScanAlgorithmE1EEiLj256ELj16ELj100EEvPKT0_PS4_S4_.private_seg_size, 0
	.set _Z6kernelI14exclusive_scanILN6hipcub18BlockScanAlgorithmE1EEiLj256ELj16ELj100EEvPKT0_PS4_S4_.uses_vcc, 1
	.set _Z6kernelI14exclusive_scanILN6hipcub18BlockScanAlgorithmE1EEiLj256ELj16ELj100EEvPKT0_PS4_S4_.uses_flat_scratch, 0
	.set _Z6kernelI14exclusive_scanILN6hipcub18BlockScanAlgorithmE1EEiLj256ELj16ELj100EEvPKT0_PS4_S4_.has_dyn_sized_stack, 0
	.set _Z6kernelI14exclusive_scanILN6hipcub18BlockScanAlgorithmE1EEiLj256ELj16ELj100EEvPKT0_PS4_S4_.has_recursion, 0
	.set _Z6kernelI14exclusive_scanILN6hipcub18BlockScanAlgorithmE1EEiLj256ELj16ELj100EEvPKT0_PS4_S4_.has_indirect_call, 0
	.section	.AMDGPU.csdata,"",@progbits
; Kernel info:
; codeLenInByte = 820
; TotalNumSgprs: 18
; NumVgprs: 29
; ScratchSize: 0
; MemoryBound: 0
; FloatMode: 240
; IeeeMode: 1
; LDSByteSize: 1056 bytes/workgroup (compile time only)
; SGPRBlocks: 2
; VGPRBlocks: 7
; NumSGPRsForWavesPerEU: 18
; NumVGPRsForWavesPerEU: 29
; Occupancy: 8
; WaveLimiterHint : 0
; COMPUTE_PGM_RSRC2:SCRATCH_EN: 0
; COMPUTE_PGM_RSRC2:USER_SGPR: 6
; COMPUTE_PGM_RSRC2:TRAP_HANDLER: 0
; COMPUTE_PGM_RSRC2:TGID_X_EN: 1
; COMPUTE_PGM_RSRC2:TGID_Y_EN: 0
; COMPUTE_PGM_RSRC2:TGID_Z_EN: 0
; COMPUTE_PGM_RSRC2:TIDIG_COMP_CNT: 0
	.section	.text._Z6kernelI14exclusive_scanILN6hipcub18BlockScanAlgorithmE1EEfLj256ELj1ELj100EEvPKT0_PS4_S4_,"axG",@progbits,_Z6kernelI14exclusive_scanILN6hipcub18BlockScanAlgorithmE1EEfLj256ELj1ELj100EEvPKT0_PS4_S4_,comdat
	.protected	_Z6kernelI14exclusive_scanILN6hipcub18BlockScanAlgorithmE1EEfLj256ELj1ELj100EEvPKT0_PS4_S4_ ; -- Begin function _Z6kernelI14exclusive_scanILN6hipcub18BlockScanAlgorithmE1EEfLj256ELj1ELj100EEvPKT0_PS4_S4_
	.globl	_Z6kernelI14exclusive_scanILN6hipcub18BlockScanAlgorithmE1EEfLj256ELj1ELj100EEvPKT0_PS4_S4_
	.p2align	8
	.type	_Z6kernelI14exclusive_scanILN6hipcub18BlockScanAlgorithmE1EEfLj256ELj1ELj100EEvPKT0_PS4_S4_,@function
_Z6kernelI14exclusive_scanILN6hipcub18BlockScanAlgorithmE1EEfLj256ELj1ELj100EEvPKT0_PS4_S4_: ; @_Z6kernelI14exclusive_scanILN6hipcub18BlockScanAlgorithmE1EEfLj256ELj1ELj100EEvPKT0_PS4_S4_
; %bb.0:
	s_load_dword s0, s[4:5], 0x24
	s_load_dwordx4 s[8:11], s[4:5], 0x0
	s_load_dword s12, s[4:5], 0x10
	v_mov_b32_e32 v2, 0
	v_lshrrev_b32_e32 v6, 1, v0
	s_waitcnt lgkmcnt(0)
	s_and_b32 s0, s0, 0xffff
	s_mul_i32 s6, s6, s0
	v_add_u32_e32 v1, s6, v0
	v_lshlrev_b64 v[1:2], 2, v[1:2]
	v_mov_b32_e32 v4, s9
	v_add_co_u32_e32 v3, vcc, s8, v1
	v_addc_co_u32_e32 v4, vcc, v4, v2, vcc
	global_load_dword v4, v[3:4], off
	v_lshrrev_b32_e32 v3, 3, v0
	v_and_b32_e32 v3, 28, v3
	v_subrev_co_u32_e64 v5, s[0:1], 1, v0
	v_lshl_add_u32 v3, v0, 2, v3
	v_cmp_gt_u32_e32 vcc, 64, v0
	v_lshlrev_b32_e32 v7, 4, v0
	v_lshrrev_b32_e32 v0, 3, v5
	v_and_b32_e32 v6, 0x7c, v6
	v_and_b32_e32 v0, 0x1ffffffc, v0
	v_lshl_add_u32 v0, v5, 2, v0
	v_add_u32_e32 v5, v6, v7
	v_mbcnt_lo_u32_b32 v6, -1, 0
	v_mbcnt_hi_u32_b32 v6, -1, v6
	s_xor_b64 s[4:5], s[0:1], -1
	s_movk_i32 s8, 0x64
	v_and_b32_e32 v7, 15, v6
	v_and_b32_e32 v8, 16, v6
	v_add_u32_e32 v9, -1, v6
	v_and_b32_e32 v10, 64, v6
	s_branch .LBB138_2
.LBB138_1:                              ;   in Loop: Header=BB138_2 Depth=1
	s_or_b64 exec, exec, s[2:3]
	s_add_i32 s8, s8, -1
	s_cmp_lg_u32 s8, 0
	s_cbranch_scc0 .LBB138_6
.LBB138_2:                              ; =>This Inner Loop Header: Depth=1
	s_waitcnt vmcnt(0)
	ds_write_b32 v3, v4
	s_waitcnt lgkmcnt(0)
	s_barrier
	s_and_saveexec_b64 s[6:7], vcc
	s_cbranch_execz .LBB138_4
; %bb.3:                                ;   in Loop: Header=BB138_2 Depth=1
	ds_read2_b32 v[11:12], v5 offset1:1
	ds_read2_b32 v[13:14], v5 offset0:2 offset1:3
	v_cmp_eq_u32_e64 s[2:3], 0, v7
	s_waitcnt lgkmcnt(1)
	v_add_f32_e32 v15, v11, v12
	s_waitcnt lgkmcnt(0)
	v_add_f32_e32 v15, v15, v13
	v_add_f32_e32 v15, v15, v14
	s_nop 1
	v_mov_b32_dpp v16, v15 row_shr:1 row_mask:0xf bank_mask:0xf
	v_add_f32_e32 v16, v15, v16
	v_cndmask_b32_e64 v15, v16, v15, s[2:3]
	v_cmp_lt_u32_e64 s[2:3], 1, v7
	s_nop 0
	v_mov_b32_dpp v16, v15 row_shr:2 row_mask:0xf bank_mask:0xf
	v_add_f32_e32 v16, v15, v16
	v_cndmask_b32_e64 v15, v15, v16, s[2:3]
	v_cmp_lt_u32_e64 s[2:3], 3, v7
	;; [unrolled: 5-line block ×3, first 2 shown]
	s_nop 0
	v_mov_b32_dpp v16, v15 row_shr:8 row_mask:0xf bank_mask:0xf
	v_add_f32_e32 v16, v15, v16
	v_cndmask_b32_e64 v15, v15, v16, s[2:3]
	v_cmp_eq_u32_e64 s[2:3], 0, v8
	s_nop 0
	v_mov_b32_dpp v16, v15 row_bcast:15 row_mask:0xf bank_mask:0xf
	v_add_f32_e32 v16, v15, v16
	v_cndmask_b32_e64 v15, v16, v15, s[2:3]
	v_cmp_lt_u32_e64 s[2:3], 31, v6
	s_nop 0
	v_mov_b32_dpp v16, v15 row_bcast:31 row_mask:0xf bank_mask:0xf
	v_add_f32_e32 v16, v15, v16
	v_cndmask_b32_e64 v15, v15, v16, s[2:3]
	v_cmp_lt_i32_e64 s[2:3], v9, v10
	v_cndmask_b32_e64 v16, v9, v6, s[2:3]
	v_lshlrev_b32_e32 v16, 2, v16
	ds_bpermute_b32 v15, v16, v15
	s_waitcnt lgkmcnt(0)
	v_add_f32_e32 v11, v11, v15
	v_cndmask_b32_e64 v4, v11, v4, s[0:1]
	v_add_f32_e32 v11, v12, v4
	ds_write2_b32 v5, v4, v11 offset1:1
	v_add_f32_e32 v4, v13, v11
	v_add_f32_e32 v11, v14, v4
	ds_write2_b32 v5, v4, v11 offset0:2 offset1:3
.LBB138_4:                              ;   in Loop: Header=BB138_2 Depth=1
	s_or_b64 exec, exec, s[6:7]
	v_mov_b32_e32 v4, s12
	s_waitcnt lgkmcnt(0)
	s_barrier
	s_and_saveexec_b64 s[2:3], s[4:5]
	s_cbranch_execz .LBB138_1
; %bb.5:                                ;   in Loop: Header=BB138_2 Depth=1
	ds_read_b32 v4, v0
	s_waitcnt lgkmcnt(0)
	v_add_f32_e32 v4, s12, v4
	s_branch .LBB138_1
.LBB138_6:
	v_mov_b32_e32 v3, s11
	v_add_co_u32_e32 v0, vcc, s10, v1
	v_addc_co_u32_e32 v1, vcc, v3, v2, vcc
	global_store_dword v[0:1], v4, off
	s_endpgm
	.section	.rodata,"a",@progbits
	.p2align	6, 0x0
	.amdhsa_kernel _Z6kernelI14exclusive_scanILN6hipcub18BlockScanAlgorithmE1EEfLj256ELj1ELj100EEvPKT0_PS4_S4_
		.amdhsa_group_segment_fixed_size 1056
		.amdhsa_private_segment_fixed_size 0
		.amdhsa_kernarg_size 280
		.amdhsa_user_sgpr_count 6
		.amdhsa_user_sgpr_private_segment_buffer 1
		.amdhsa_user_sgpr_dispatch_ptr 0
		.amdhsa_user_sgpr_queue_ptr 0
		.amdhsa_user_sgpr_kernarg_segment_ptr 1
		.amdhsa_user_sgpr_dispatch_id 0
		.amdhsa_user_sgpr_flat_scratch_init 0
		.amdhsa_user_sgpr_private_segment_size 0
		.amdhsa_uses_dynamic_stack 0
		.amdhsa_system_sgpr_private_segment_wavefront_offset 0
		.amdhsa_system_sgpr_workgroup_id_x 1
		.amdhsa_system_sgpr_workgroup_id_y 0
		.amdhsa_system_sgpr_workgroup_id_z 0
		.amdhsa_system_sgpr_workgroup_info 0
		.amdhsa_system_vgpr_workitem_id 0
		.amdhsa_next_free_vgpr 17
		.amdhsa_next_free_sgpr 13
		.amdhsa_reserve_vcc 1
		.amdhsa_reserve_flat_scratch 0
		.amdhsa_float_round_mode_32 0
		.amdhsa_float_round_mode_16_64 0
		.amdhsa_float_denorm_mode_32 3
		.amdhsa_float_denorm_mode_16_64 3
		.amdhsa_dx10_clamp 1
		.amdhsa_ieee_mode 1
		.amdhsa_fp16_overflow 0
		.amdhsa_exception_fp_ieee_invalid_op 0
		.amdhsa_exception_fp_denorm_src 0
		.amdhsa_exception_fp_ieee_div_zero 0
		.amdhsa_exception_fp_ieee_overflow 0
		.amdhsa_exception_fp_ieee_underflow 0
		.amdhsa_exception_fp_ieee_inexact 0
		.amdhsa_exception_int_div_zero 0
	.end_amdhsa_kernel
	.section	.text._Z6kernelI14exclusive_scanILN6hipcub18BlockScanAlgorithmE1EEfLj256ELj1ELj100EEvPKT0_PS4_S4_,"axG",@progbits,_Z6kernelI14exclusive_scanILN6hipcub18BlockScanAlgorithmE1EEfLj256ELj1ELj100EEvPKT0_PS4_S4_,comdat
.Lfunc_end138:
	.size	_Z6kernelI14exclusive_scanILN6hipcub18BlockScanAlgorithmE1EEfLj256ELj1ELj100EEvPKT0_PS4_S4_, .Lfunc_end138-_Z6kernelI14exclusive_scanILN6hipcub18BlockScanAlgorithmE1EEfLj256ELj1ELj100EEvPKT0_PS4_S4_
                                        ; -- End function
	.set _Z6kernelI14exclusive_scanILN6hipcub18BlockScanAlgorithmE1EEfLj256ELj1ELj100EEvPKT0_PS4_S4_.num_vgpr, 17
	.set _Z6kernelI14exclusive_scanILN6hipcub18BlockScanAlgorithmE1EEfLj256ELj1ELj100EEvPKT0_PS4_S4_.num_agpr, 0
	.set _Z6kernelI14exclusive_scanILN6hipcub18BlockScanAlgorithmE1EEfLj256ELj1ELj100EEvPKT0_PS4_S4_.numbered_sgpr, 13
	.set _Z6kernelI14exclusive_scanILN6hipcub18BlockScanAlgorithmE1EEfLj256ELj1ELj100EEvPKT0_PS4_S4_.num_named_barrier, 0
	.set _Z6kernelI14exclusive_scanILN6hipcub18BlockScanAlgorithmE1EEfLj256ELj1ELj100EEvPKT0_PS4_S4_.private_seg_size, 0
	.set _Z6kernelI14exclusive_scanILN6hipcub18BlockScanAlgorithmE1EEfLj256ELj1ELj100EEvPKT0_PS4_S4_.uses_vcc, 1
	.set _Z6kernelI14exclusive_scanILN6hipcub18BlockScanAlgorithmE1EEfLj256ELj1ELj100EEvPKT0_PS4_S4_.uses_flat_scratch, 0
	.set _Z6kernelI14exclusive_scanILN6hipcub18BlockScanAlgorithmE1EEfLj256ELj1ELj100EEvPKT0_PS4_S4_.has_dyn_sized_stack, 0
	.set _Z6kernelI14exclusive_scanILN6hipcub18BlockScanAlgorithmE1EEfLj256ELj1ELj100EEvPKT0_PS4_S4_.has_recursion, 0
	.set _Z6kernelI14exclusive_scanILN6hipcub18BlockScanAlgorithmE1EEfLj256ELj1ELj100EEvPKT0_PS4_S4_.has_indirect_call, 0
	.section	.AMDGPU.csdata,"",@progbits
; Kernel info:
; codeLenInByte = 600
; TotalNumSgprs: 17
; NumVgprs: 17
; ScratchSize: 0
; MemoryBound: 0
; FloatMode: 240
; IeeeMode: 1
; LDSByteSize: 1056 bytes/workgroup (compile time only)
; SGPRBlocks: 2
; VGPRBlocks: 4
; NumSGPRsForWavesPerEU: 17
; NumVGPRsForWavesPerEU: 17
; Occupancy: 10
; WaveLimiterHint : 0
; COMPUTE_PGM_RSRC2:SCRATCH_EN: 0
; COMPUTE_PGM_RSRC2:USER_SGPR: 6
; COMPUTE_PGM_RSRC2:TRAP_HANDLER: 0
; COMPUTE_PGM_RSRC2:TGID_X_EN: 1
; COMPUTE_PGM_RSRC2:TGID_Y_EN: 0
; COMPUTE_PGM_RSRC2:TGID_Z_EN: 0
; COMPUTE_PGM_RSRC2:TIDIG_COMP_CNT: 0
	.section	.text._Z6kernelI14exclusive_scanILN6hipcub18BlockScanAlgorithmE1EEfLj256ELj3ELj100EEvPKT0_PS4_S4_,"axG",@progbits,_Z6kernelI14exclusive_scanILN6hipcub18BlockScanAlgorithmE1EEfLj256ELj3ELj100EEvPKT0_PS4_S4_,comdat
	.protected	_Z6kernelI14exclusive_scanILN6hipcub18BlockScanAlgorithmE1EEfLj256ELj3ELj100EEvPKT0_PS4_S4_ ; -- Begin function _Z6kernelI14exclusive_scanILN6hipcub18BlockScanAlgorithmE1EEfLj256ELj3ELj100EEvPKT0_PS4_S4_
	.globl	_Z6kernelI14exclusive_scanILN6hipcub18BlockScanAlgorithmE1EEfLj256ELj3ELj100EEvPKT0_PS4_S4_
	.p2align	8
	.type	_Z6kernelI14exclusive_scanILN6hipcub18BlockScanAlgorithmE1EEfLj256ELj3ELj100EEvPKT0_PS4_S4_,@function
_Z6kernelI14exclusive_scanILN6hipcub18BlockScanAlgorithmE1EEfLj256ELj3ELj100EEvPKT0_PS4_S4_: ; @_Z6kernelI14exclusive_scanILN6hipcub18BlockScanAlgorithmE1EEfLj256ELj3ELj100EEvPKT0_PS4_S4_
; %bb.0:
	s_load_dword s0, s[4:5], 0x24
	s_load_dwordx4 s[8:11], s[4:5], 0x0
	s_load_dword s12, s[4:5], 0x10
	v_mov_b32_e32 v6, 0
	v_mov_b32_e32 v4, v6
	s_waitcnt lgkmcnt(0)
	s_and_b32 s0, s0, 0xffff
	s_mul_i32 s6, s6, s0
	v_add_u32_e32 v1, s6, v0
	v_lshl_add_u32 v5, v1, 1, v1
	v_lshlrev_b64 v[1:2], 2, v[5:6]
	v_mov_b32_e32 v3, s9
	v_add_co_u32_e32 v9, vcc, s8, v1
	v_addc_co_u32_e32 v10, vcc, v3, v2, vcc
	v_add_u32_e32 v3, 1, v5
	v_lshlrev_b64 v[3:4], 2, v[3:4]
	v_add_u32_e32 v5, 2, v5
	v_mov_b32_e32 v7, s9
	v_add_co_u32_e32 v13, vcc, s8, v3
	v_lshlrev_b64 v[5:6], 2, v[5:6]
	v_addc_co_u32_e32 v14, vcc, v7, v4, vcc
	v_add_co_u32_e32 v15, vcc, s8, v5
	v_addc_co_u32_e32 v16, vcc, v7, v6, vcc
	global_load_dword v8, v[9:10], off
	global_load_dword v7, v[13:14], off
	;; [unrolled: 1-line block ×3, first 2 shown]
	v_lshrrev_b32_e32 v9, 3, v0
	v_and_b32_e32 v9, 28, v9
	v_subrev_co_u32_e64 v10, s[0:1], 1, v0
	v_lshl_add_u32 v9, v0, 2, v9
	v_cmp_gt_u32_e32 vcc, 64, v0
	v_lshrrev_b32_e32 v11, 1, v0
	v_lshlrev_b32_e32 v13, 4, v0
	v_lshrrev_b32_e32 v0, 3, v10
	v_and_b32_e32 v11, 0x7c, v11
	v_and_b32_e32 v0, 0x1ffffffc, v0
	v_lshl_add_u32 v0, v10, 2, v0
	v_add_u32_e32 v10, v11, v13
	v_mbcnt_lo_u32_b32 v11, -1, 0
	s_xor_b64 s[4:5], s[0:1], -1
	s_movk_i32 s8, 0x64
	v_mbcnt_hi_u32_b32 v11, -1, v11
.LBB139_1:                              ; =>This Inner Loop Header: Depth=1
	s_waitcnt vmcnt(1)
	v_add_f32_e32 v13, v8, v7
	s_waitcnt vmcnt(0)
	v_add_f32_e32 v12, v12, v13
	ds_write_b32 v9, v12
	s_waitcnt lgkmcnt(0)
	s_barrier
	s_and_saveexec_b64 s[6:7], vcc
	s_cbranch_execz .LBB139_3
; %bb.2:                                ;   in Loop: Header=BB139_1 Depth=1
	ds_read2_b32 v[13:14], v10 offset1:1
	ds_read2_b32 v[15:16], v10 offset0:2 offset1:3
	v_and_b32_e32 v17, 15, v11
	v_cmp_eq_u32_e64 s[2:3], 0, v17
	s_waitcnt lgkmcnt(1)
	v_add_f32_e32 v18, v13, v14
	s_waitcnt lgkmcnt(0)
	v_add_f32_e32 v18, v18, v15
	v_add_f32_e32 v18, v18, v16
	s_nop 1
	v_mov_b32_dpp v19, v18 row_shr:1 row_mask:0xf bank_mask:0xf
	v_add_f32_e32 v19, v18, v19
	v_cndmask_b32_e64 v18, v19, v18, s[2:3]
	v_cmp_lt_u32_e64 s[2:3], 1, v17
	s_nop 0
	v_mov_b32_dpp v19, v18 row_shr:2 row_mask:0xf bank_mask:0xf
	v_add_f32_e32 v19, v18, v19
	v_cndmask_b32_e64 v18, v18, v19, s[2:3]
	v_cmp_lt_u32_e64 s[2:3], 3, v17
	;; [unrolled: 5-line block ×3, first 2 shown]
	s_nop 0
	v_mov_b32_dpp v19, v18 row_shr:8 row_mask:0xf bank_mask:0xf
	v_add_f32_e32 v19, v18, v19
	v_cndmask_b32_e64 v17, v18, v19, s[2:3]
	v_and_b32_e32 v19, 16, v11
	v_cmp_eq_u32_e64 s[2:3], 0, v19
	v_mov_b32_dpp v18, v17 row_bcast:15 row_mask:0xf bank_mask:0xf
	v_add_f32_e32 v18, v17, v18
	v_cndmask_b32_e64 v17, v18, v17, s[2:3]
	v_cmp_lt_u32_e64 s[2:3], 31, v11
	v_and_b32_e32 v19, 64, v11
	v_mov_b32_dpp v18, v17 row_bcast:31 row_mask:0xf bank_mask:0xf
	v_add_f32_e32 v18, v17, v18
	v_cndmask_b32_e64 v17, v17, v18, s[2:3]
	v_add_u32_e32 v18, -1, v11
	v_cmp_lt_i32_e64 s[2:3], v18, v19
	v_cndmask_b32_e64 v18, v18, v11, s[2:3]
	v_lshlrev_b32_e32 v18, 2, v18
	ds_bpermute_b32 v17, v18, v17
	s_waitcnt lgkmcnt(0)
	v_add_f32_e32 v13, v13, v17
	v_cndmask_b32_e64 v12, v13, v12, s[0:1]
	v_add_f32_e32 v13, v14, v12
	ds_write2_b32 v10, v12, v13 offset1:1
	v_add_f32_e32 v12, v15, v13
	v_add_f32_e32 v13, v16, v12
	ds_write2_b32 v10, v12, v13 offset0:2 offset1:3
.LBB139_3:                              ;   in Loop: Header=BB139_1 Depth=1
	s_or_b64 exec, exec, s[6:7]
	v_mov_b32_e32 v13, s12
	s_waitcnt lgkmcnt(0)
	s_barrier
	s_and_saveexec_b64 s[2:3], s[4:5]
	s_cbranch_execz .LBB139_5
; %bb.4:                                ;   in Loop: Header=BB139_1 Depth=1
	ds_read_b32 v12, v0
	s_waitcnt lgkmcnt(0)
	v_add_f32_e32 v13, s12, v12
.LBB139_5:                              ;   in Loop: Header=BB139_1 Depth=1
	s_or_b64 exec, exec, s[2:3]
	v_add_f32_e32 v14, v8, v13
	s_add_i32 s8, s8, -1
	s_cmp_lg_u32 s8, 0
	v_add_f32_e32 v12, v7, v14
	s_cbranch_scc0 .LBB139_7
; %bb.6:                                ;   in Loop: Header=BB139_1 Depth=1
	v_mov_b32_e32 v8, v13
	v_mov_b32_e32 v7, v14
	s_branch .LBB139_1
.LBB139_7:
	v_mov_b32_e32 v7, s11
	v_add_co_u32_e32 v0, vcc, s10, v1
	v_addc_co_u32_e32 v1, vcc, v7, v2, vcc
	global_store_dword v[0:1], v13, off
	v_mov_b32_e32 v1, s11
	v_add_co_u32_e32 v0, vcc, s10, v3
	v_addc_co_u32_e32 v1, vcc, v1, v4, vcc
	global_store_dword v[0:1], v14, off
	;; [unrolled: 4-line block ×3, first 2 shown]
	s_endpgm
	.section	.rodata,"a",@progbits
	.p2align	6, 0x0
	.amdhsa_kernel _Z6kernelI14exclusive_scanILN6hipcub18BlockScanAlgorithmE1EEfLj256ELj3ELj100EEvPKT0_PS4_S4_
		.amdhsa_group_segment_fixed_size 1056
		.amdhsa_private_segment_fixed_size 0
		.amdhsa_kernarg_size 280
		.amdhsa_user_sgpr_count 6
		.amdhsa_user_sgpr_private_segment_buffer 1
		.amdhsa_user_sgpr_dispatch_ptr 0
		.amdhsa_user_sgpr_queue_ptr 0
		.amdhsa_user_sgpr_kernarg_segment_ptr 1
		.amdhsa_user_sgpr_dispatch_id 0
		.amdhsa_user_sgpr_flat_scratch_init 0
		.amdhsa_user_sgpr_private_segment_size 0
		.amdhsa_uses_dynamic_stack 0
		.amdhsa_system_sgpr_private_segment_wavefront_offset 0
		.amdhsa_system_sgpr_workgroup_id_x 1
		.amdhsa_system_sgpr_workgroup_id_y 0
		.amdhsa_system_sgpr_workgroup_id_z 0
		.amdhsa_system_sgpr_workgroup_info 0
		.amdhsa_system_vgpr_workitem_id 0
		.amdhsa_next_free_vgpr 20
		.amdhsa_next_free_sgpr 13
		.amdhsa_reserve_vcc 1
		.amdhsa_reserve_flat_scratch 0
		.amdhsa_float_round_mode_32 0
		.amdhsa_float_round_mode_16_64 0
		.amdhsa_float_denorm_mode_32 3
		.amdhsa_float_denorm_mode_16_64 3
		.amdhsa_dx10_clamp 1
		.amdhsa_ieee_mode 1
		.amdhsa_fp16_overflow 0
		.amdhsa_exception_fp_ieee_invalid_op 0
		.amdhsa_exception_fp_denorm_src 0
		.amdhsa_exception_fp_ieee_div_zero 0
		.amdhsa_exception_fp_ieee_overflow 0
		.amdhsa_exception_fp_ieee_underflow 0
		.amdhsa_exception_fp_ieee_inexact 0
		.amdhsa_exception_int_div_zero 0
	.end_amdhsa_kernel
	.section	.text._Z6kernelI14exclusive_scanILN6hipcub18BlockScanAlgorithmE1EEfLj256ELj3ELj100EEvPKT0_PS4_S4_,"axG",@progbits,_Z6kernelI14exclusive_scanILN6hipcub18BlockScanAlgorithmE1EEfLj256ELj3ELj100EEvPKT0_PS4_S4_,comdat
.Lfunc_end139:
	.size	_Z6kernelI14exclusive_scanILN6hipcub18BlockScanAlgorithmE1EEfLj256ELj3ELj100EEvPKT0_PS4_S4_, .Lfunc_end139-_Z6kernelI14exclusive_scanILN6hipcub18BlockScanAlgorithmE1EEfLj256ELj3ELj100EEvPKT0_PS4_S4_
                                        ; -- End function
	.set _Z6kernelI14exclusive_scanILN6hipcub18BlockScanAlgorithmE1EEfLj256ELj3ELj100EEvPKT0_PS4_S4_.num_vgpr, 20
	.set _Z6kernelI14exclusive_scanILN6hipcub18BlockScanAlgorithmE1EEfLj256ELj3ELj100EEvPKT0_PS4_S4_.num_agpr, 0
	.set _Z6kernelI14exclusive_scanILN6hipcub18BlockScanAlgorithmE1EEfLj256ELj3ELj100EEvPKT0_PS4_S4_.numbered_sgpr, 13
	.set _Z6kernelI14exclusive_scanILN6hipcub18BlockScanAlgorithmE1EEfLj256ELj3ELj100EEvPKT0_PS4_S4_.num_named_barrier, 0
	.set _Z6kernelI14exclusive_scanILN6hipcub18BlockScanAlgorithmE1EEfLj256ELj3ELj100EEvPKT0_PS4_S4_.private_seg_size, 0
	.set _Z6kernelI14exclusive_scanILN6hipcub18BlockScanAlgorithmE1EEfLj256ELj3ELj100EEvPKT0_PS4_S4_.uses_vcc, 1
	.set _Z6kernelI14exclusive_scanILN6hipcub18BlockScanAlgorithmE1EEfLj256ELj3ELj100EEvPKT0_PS4_S4_.uses_flat_scratch, 0
	.set _Z6kernelI14exclusive_scanILN6hipcub18BlockScanAlgorithmE1EEfLj256ELj3ELj100EEvPKT0_PS4_S4_.has_dyn_sized_stack, 0
	.set _Z6kernelI14exclusive_scanILN6hipcub18BlockScanAlgorithmE1EEfLj256ELj3ELj100EEvPKT0_PS4_S4_.has_recursion, 0
	.set _Z6kernelI14exclusive_scanILN6hipcub18BlockScanAlgorithmE1EEfLj256ELj3ELj100EEvPKT0_PS4_S4_.has_indirect_call, 0
	.section	.AMDGPU.csdata,"",@progbits
; Kernel info:
; codeLenInByte = 728
; TotalNumSgprs: 17
; NumVgprs: 20
; ScratchSize: 0
; MemoryBound: 0
; FloatMode: 240
; IeeeMode: 1
; LDSByteSize: 1056 bytes/workgroup (compile time only)
; SGPRBlocks: 2
; VGPRBlocks: 4
; NumSGPRsForWavesPerEU: 17
; NumVGPRsForWavesPerEU: 20
; Occupancy: 10
; WaveLimiterHint : 0
; COMPUTE_PGM_RSRC2:SCRATCH_EN: 0
; COMPUTE_PGM_RSRC2:USER_SGPR: 6
; COMPUTE_PGM_RSRC2:TRAP_HANDLER: 0
; COMPUTE_PGM_RSRC2:TGID_X_EN: 1
; COMPUTE_PGM_RSRC2:TGID_Y_EN: 0
; COMPUTE_PGM_RSRC2:TGID_Z_EN: 0
; COMPUTE_PGM_RSRC2:TIDIG_COMP_CNT: 0
	.section	.text._Z6kernelI14exclusive_scanILN6hipcub18BlockScanAlgorithmE1EEfLj256ELj4ELj100EEvPKT0_PS4_S4_,"axG",@progbits,_Z6kernelI14exclusive_scanILN6hipcub18BlockScanAlgorithmE1EEfLj256ELj4ELj100EEvPKT0_PS4_S4_,comdat
	.protected	_Z6kernelI14exclusive_scanILN6hipcub18BlockScanAlgorithmE1EEfLj256ELj4ELj100EEvPKT0_PS4_S4_ ; -- Begin function _Z6kernelI14exclusive_scanILN6hipcub18BlockScanAlgorithmE1EEfLj256ELj4ELj100EEvPKT0_PS4_S4_
	.globl	_Z6kernelI14exclusive_scanILN6hipcub18BlockScanAlgorithmE1EEfLj256ELj4ELj100EEvPKT0_PS4_S4_
	.p2align	8
	.type	_Z6kernelI14exclusive_scanILN6hipcub18BlockScanAlgorithmE1EEfLj256ELj4ELj100EEvPKT0_PS4_S4_,@function
_Z6kernelI14exclusive_scanILN6hipcub18BlockScanAlgorithmE1EEfLj256ELj4ELj100EEvPKT0_PS4_S4_: ; @_Z6kernelI14exclusive_scanILN6hipcub18BlockScanAlgorithmE1EEfLj256ELj4ELj100EEvPKT0_PS4_S4_
; %bb.0:
	s_load_dword s0, s[4:5], 0x24
	s_load_dwordx4 s[8:11], s[4:5], 0x0
	s_load_dword s12, s[4:5], 0x10
	v_mov_b32_e32 v2, 0
	v_lshrrev_b32_e32 v5, 3, v0
	s_waitcnt lgkmcnt(0)
	s_and_b32 s0, s0, 0xffff
	s_mul_i32 s6, s6, s0
	v_add_lshl_u32 v1, s6, v0, 2
	v_lshlrev_b64 v[8:9], 2, v[1:2]
	v_mov_b32_e32 v2, s9
	v_add_co_u32_e32 v1, vcc, s8, v8
	v_addc_co_u32_e32 v2, vcc, v2, v9, vcc
	global_load_dwordx4 v[1:4], v[1:2], off
	v_and_b32_e32 v5, 28, v5
	v_lshl_add_u32 v10, v0, 2, v5
	v_subrev_co_u32_e64 v5, s[0:1], 1, v0
	v_cmp_gt_u32_e32 vcc, 64, v0
	v_lshrrev_b32_e32 v6, 1, v0
	v_lshlrev_b32_e32 v7, 4, v0
	v_lshrrev_b32_e32 v0, 3, v5
	v_and_b32_e32 v0, 0x1ffffffc, v0
	v_and_b32_e32 v6, 0x7c, v6
	v_lshl_add_u32 v0, v5, 2, v0
	v_mbcnt_lo_u32_b32 v5, -1, 0
	s_xor_b64 s[4:5], s[0:1], -1
	s_movk_i32 s8, 0x64
	v_add_u32_e32 v11, v6, v7
	v_mbcnt_hi_u32_b32 v12, -1, v5
.LBB140_1:                              ; =>This Inner Loop Header: Depth=1
	s_waitcnt vmcnt(0)
	v_add_f32_e32 v5, v1, v2
	v_add_f32_e32 v5, v3, v5
	;; [unrolled: 1-line block ×3, first 2 shown]
	ds_write_b32 v10, v4
	s_waitcnt lgkmcnt(0)
	s_barrier
	s_and_saveexec_b64 s[6:7], vcc
	s_cbranch_execz .LBB140_3
; %bb.2:                                ;   in Loop: Header=BB140_1 Depth=1
	ds_read2_b32 v[5:6], v11 offset1:1
	ds_read2_b32 v[13:14], v11 offset0:2 offset1:3
	v_and_b32_e32 v7, 15, v12
	v_cmp_eq_u32_e64 s[2:3], 0, v7
	s_waitcnt lgkmcnt(1)
	v_add_f32_e32 v15, v5, v6
	s_waitcnt lgkmcnt(0)
	v_add_f32_e32 v15, v15, v13
	v_add_f32_e32 v15, v15, v14
	s_nop 1
	v_mov_b32_dpp v16, v15 row_shr:1 row_mask:0xf bank_mask:0xf
	v_add_f32_e32 v16, v15, v16
	v_cndmask_b32_e64 v15, v16, v15, s[2:3]
	v_cmp_lt_u32_e64 s[2:3], 1, v7
	s_nop 0
	v_mov_b32_dpp v16, v15 row_shr:2 row_mask:0xf bank_mask:0xf
	v_add_f32_e32 v16, v15, v16
	v_cndmask_b32_e64 v15, v15, v16, s[2:3]
	v_cmp_lt_u32_e64 s[2:3], 3, v7
	;; [unrolled: 5-line block ×3, first 2 shown]
	s_nop 0
	v_mov_b32_dpp v16, v15 row_shr:8 row_mask:0xf bank_mask:0xf
	v_add_f32_e32 v16, v15, v16
	v_cndmask_b32_e64 v7, v15, v16, s[2:3]
	v_and_b32_e32 v16, 16, v12
	v_cmp_eq_u32_e64 s[2:3], 0, v16
	v_mov_b32_dpp v15, v7 row_bcast:15 row_mask:0xf bank_mask:0xf
	v_add_f32_e32 v15, v7, v15
	v_cndmask_b32_e64 v7, v15, v7, s[2:3]
	v_cmp_lt_u32_e64 s[2:3], 31, v12
	v_and_b32_e32 v16, 64, v12
	v_mov_b32_dpp v15, v7 row_bcast:31 row_mask:0xf bank_mask:0xf
	v_add_f32_e32 v15, v7, v15
	v_cndmask_b32_e64 v7, v7, v15, s[2:3]
	v_add_u32_e32 v15, -1, v12
	v_cmp_lt_i32_e64 s[2:3], v15, v16
	v_cndmask_b32_e64 v15, v15, v12, s[2:3]
	v_lshlrev_b32_e32 v15, 2, v15
	ds_bpermute_b32 v7, v15, v7
	s_waitcnt lgkmcnt(0)
	v_add_f32_e32 v5, v5, v7
	v_cndmask_b32_e64 v4, v5, v4, s[0:1]
	v_add_f32_e32 v5, v6, v4
	ds_write2_b32 v11, v4, v5 offset1:1
	v_add_f32_e32 v4, v13, v5
	v_add_f32_e32 v5, v14, v4
	ds_write2_b32 v11, v4, v5 offset0:2 offset1:3
.LBB140_3:                              ;   in Loop: Header=BB140_1 Depth=1
	s_or_b64 exec, exec, s[6:7]
	v_mov_b32_e32 v5, s12
	s_waitcnt lgkmcnt(0)
	s_barrier
	s_and_saveexec_b64 s[2:3], s[4:5]
	s_cbranch_execz .LBB140_5
; %bb.4:                                ;   in Loop: Header=BB140_1 Depth=1
	ds_read_b32 v4, v0
	s_waitcnt lgkmcnt(0)
	v_add_f32_e32 v5, s12, v4
.LBB140_5:                              ;   in Loop: Header=BB140_1 Depth=1
	s_or_b64 exec, exec, s[2:3]
	v_add_f32_e32 v6, v1, v5
	v_add_f32_e32 v7, v2, v6
	s_add_i32 s8, s8, -1
	s_cmp_lg_u32 s8, 0
	v_add_f32_e32 v4, v3, v7
	s_cbranch_scc0 .LBB140_7
; %bb.6:                                ;   in Loop: Header=BB140_1 Depth=1
	v_mov_b32_e32 v1, v5
	v_mov_b32_e32 v2, v6
	;; [unrolled: 1-line block ×3, first 2 shown]
	s_branch .LBB140_1
.LBB140_7:
	v_mov_b32_e32 v1, s11
	v_add_co_u32_e32 v0, vcc, s10, v8
	v_addc_co_u32_e32 v1, vcc, v1, v9, vcc
	v_mov_b32_e32 v8, v4
	global_store_dwordx4 v[0:1], v[5:8], off
	s_endpgm
	.section	.rodata,"a",@progbits
	.p2align	6, 0x0
	.amdhsa_kernel _Z6kernelI14exclusive_scanILN6hipcub18BlockScanAlgorithmE1EEfLj256ELj4ELj100EEvPKT0_PS4_S4_
		.amdhsa_group_segment_fixed_size 1056
		.amdhsa_private_segment_fixed_size 0
		.amdhsa_kernarg_size 280
		.amdhsa_user_sgpr_count 6
		.amdhsa_user_sgpr_private_segment_buffer 1
		.amdhsa_user_sgpr_dispatch_ptr 0
		.amdhsa_user_sgpr_queue_ptr 0
		.amdhsa_user_sgpr_kernarg_segment_ptr 1
		.amdhsa_user_sgpr_dispatch_id 0
		.amdhsa_user_sgpr_flat_scratch_init 0
		.amdhsa_user_sgpr_private_segment_size 0
		.amdhsa_uses_dynamic_stack 0
		.amdhsa_system_sgpr_private_segment_wavefront_offset 0
		.amdhsa_system_sgpr_workgroup_id_x 1
		.amdhsa_system_sgpr_workgroup_id_y 0
		.amdhsa_system_sgpr_workgroup_id_z 0
		.amdhsa_system_sgpr_workgroup_info 0
		.amdhsa_system_vgpr_workitem_id 0
		.amdhsa_next_free_vgpr 17
		.amdhsa_next_free_sgpr 13
		.amdhsa_reserve_vcc 1
		.amdhsa_reserve_flat_scratch 0
		.amdhsa_float_round_mode_32 0
		.amdhsa_float_round_mode_16_64 0
		.amdhsa_float_denorm_mode_32 3
		.amdhsa_float_denorm_mode_16_64 3
		.amdhsa_dx10_clamp 1
		.amdhsa_ieee_mode 1
		.amdhsa_fp16_overflow 0
		.amdhsa_exception_fp_ieee_invalid_op 0
		.amdhsa_exception_fp_denorm_src 0
		.amdhsa_exception_fp_ieee_div_zero 0
		.amdhsa_exception_fp_ieee_overflow 0
		.amdhsa_exception_fp_ieee_underflow 0
		.amdhsa_exception_fp_ieee_inexact 0
		.amdhsa_exception_int_div_zero 0
	.end_amdhsa_kernel
	.section	.text._Z6kernelI14exclusive_scanILN6hipcub18BlockScanAlgorithmE1EEfLj256ELj4ELj100EEvPKT0_PS4_S4_,"axG",@progbits,_Z6kernelI14exclusive_scanILN6hipcub18BlockScanAlgorithmE1EEfLj256ELj4ELj100EEvPKT0_PS4_S4_,comdat
.Lfunc_end140:
	.size	_Z6kernelI14exclusive_scanILN6hipcub18BlockScanAlgorithmE1EEfLj256ELj4ELj100EEvPKT0_PS4_S4_, .Lfunc_end140-_Z6kernelI14exclusive_scanILN6hipcub18BlockScanAlgorithmE1EEfLj256ELj4ELj100EEvPKT0_PS4_S4_
                                        ; -- End function
	.set _Z6kernelI14exclusive_scanILN6hipcub18BlockScanAlgorithmE1EEfLj256ELj4ELj100EEvPKT0_PS4_S4_.num_vgpr, 17
	.set _Z6kernelI14exclusive_scanILN6hipcub18BlockScanAlgorithmE1EEfLj256ELj4ELj100EEvPKT0_PS4_S4_.num_agpr, 0
	.set _Z6kernelI14exclusive_scanILN6hipcub18BlockScanAlgorithmE1EEfLj256ELj4ELj100EEvPKT0_PS4_S4_.numbered_sgpr, 13
	.set _Z6kernelI14exclusive_scanILN6hipcub18BlockScanAlgorithmE1EEfLj256ELj4ELj100EEvPKT0_PS4_S4_.num_named_barrier, 0
	.set _Z6kernelI14exclusive_scanILN6hipcub18BlockScanAlgorithmE1EEfLj256ELj4ELj100EEvPKT0_PS4_S4_.private_seg_size, 0
	.set _Z6kernelI14exclusive_scanILN6hipcub18BlockScanAlgorithmE1EEfLj256ELj4ELj100EEvPKT0_PS4_S4_.uses_vcc, 1
	.set _Z6kernelI14exclusive_scanILN6hipcub18BlockScanAlgorithmE1EEfLj256ELj4ELj100EEvPKT0_PS4_S4_.uses_flat_scratch, 0
	.set _Z6kernelI14exclusive_scanILN6hipcub18BlockScanAlgorithmE1EEfLj256ELj4ELj100EEvPKT0_PS4_S4_.has_dyn_sized_stack, 0
	.set _Z6kernelI14exclusive_scanILN6hipcub18BlockScanAlgorithmE1EEfLj256ELj4ELj100EEvPKT0_PS4_S4_.has_recursion, 0
	.set _Z6kernelI14exclusive_scanILN6hipcub18BlockScanAlgorithmE1EEfLj256ELj4ELj100EEvPKT0_PS4_S4_.has_indirect_call, 0
	.section	.AMDGPU.csdata,"",@progbits
; Kernel info:
; codeLenInByte = 632
; TotalNumSgprs: 17
; NumVgprs: 17
; ScratchSize: 0
; MemoryBound: 0
; FloatMode: 240
; IeeeMode: 1
; LDSByteSize: 1056 bytes/workgroup (compile time only)
; SGPRBlocks: 2
; VGPRBlocks: 4
; NumSGPRsForWavesPerEU: 17
; NumVGPRsForWavesPerEU: 17
; Occupancy: 10
; WaveLimiterHint : 0
; COMPUTE_PGM_RSRC2:SCRATCH_EN: 0
; COMPUTE_PGM_RSRC2:USER_SGPR: 6
; COMPUTE_PGM_RSRC2:TRAP_HANDLER: 0
; COMPUTE_PGM_RSRC2:TGID_X_EN: 1
; COMPUTE_PGM_RSRC2:TGID_Y_EN: 0
; COMPUTE_PGM_RSRC2:TGID_Z_EN: 0
; COMPUTE_PGM_RSRC2:TIDIG_COMP_CNT: 0
	.section	.text._Z6kernelI14exclusive_scanILN6hipcub18BlockScanAlgorithmE1EEfLj256ELj8ELj100EEvPKT0_PS4_S4_,"axG",@progbits,_Z6kernelI14exclusive_scanILN6hipcub18BlockScanAlgorithmE1EEfLj256ELj8ELj100EEvPKT0_PS4_S4_,comdat
	.protected	_Z6kernelI14exclusive_scanILN6hipcub18BlockScanAlgorithmE1EEfLj256ELj8ELj100EEvPKT0_PS4_S4_ ; -- Begin function _Z6kernelI14exclusive_scanILN6hipcub18BlockScanAlgorithmE1EEfLj256ELj8ELj100EEvPKT0_PS4_S4_
	.globl	_Z6kernelI14exclusive_scanILN6hipcub18BlockScanAlgorithmE1EEfLj256ELj8ELj100EEvPKT0_PS4_S4_
	.p2align	8
	.type	_Z6kernelI14exclusive_scanILN6hipcub18BlockScanAlgorithmE1EEfLj256ELj8ELj100EEvPKT0_PS4_S4_,@function
_Z6kernelI14exclusive_scanILN6hipcub18BlockScanAlgorithmE1EEfLj256ELj8ELj100EEvPKT0_PS4_S4_: ; @_Z6kernelI14exclusive_scanILN6hipcub18BlockScanAlgorithmE1EEfLj256ELj8ELj100EEvPKT0_PS4_S4_
; %bb.0:
	s_load_dword s0, s[4:5], 0x24
	s_load_dwordx4 s[8:11], s[4:5], 0x0
	s_load_dword s12, s[4:5], 0x10
	v_mov_b32_e32 v2, 0
	v_lshlrev_b32_e32 v11, 4, v0
	s_waitcnt lgkmcnt(0)
	s_and_b32 s0, s0, 0xffff
	s_mul_i32 s6, s6, s0
	v_add_lshl_u32 v1, s6, v0, 3
	v_lshlrev_b64 v[16:17], 2, v[1:2]
	v_mov_b32_e32 v1, s9
	v_add_co_u32_e32 v9, vcc, s8, v16
	v_addc_co_u32_e32 v10, vcc, v1, v17, vcc
	global_load_dwordx4 v[5:8], v[9:10], off
	global_load_dwordx4 v[1:4], v[9:10], off offset:16
	v_lshrrev_b32_e32 v9, 3, v0
	v_and_b32_e32 v9, 28, v9
	v_lshl_add_u32 v18, v0, 2, v9
	v_subrev_co_u32_e64 v9, s[0:1], 1, v0
	v_cmp_gt_u32_e32 vcc, 64, v0
	v_lshrrev_b32_e32 v10, 1, v0
	v_lshrrev_b32_e32 v0, 3, v9
	v_and_b32_e32 v0, 0x1ffffffc, v0
	v_and_b32_e32 v10, 0x7c, v10
	v_lshl_add_u32 v0, v9, 2, v0
	v_mbcnt_lo_u32_b32 v9, -1, 0
	s_xor_b64 s[4:5], s[0:1], -1
	s_movk_i32 s8, 0x64
	v_add_u32_e32 v19, v10, v11
	v_mbcnt_hi_u32_b32 v20, -1, v9
.LBB141_1:                              ; =>This Inner Loop Header: Depth=1
	s_waitcnt vmcnt(1)
	v_add_f32_e32 v9, v5, v6
	v_add_f32_e32 v9, v7, v9
	;; [unrolled: 1-line block ×3, first 2 shown]
	s_waitcnt vmcnt(0)
	v_add_f32_e32 v9, v1, v9
	v_add_f32_e32 v9, v2, v9
	;; [unrolled: 1-line block ×4, first 2 shown]
	ds_write_b32 v18, v4
	s_waitcnt lgkmcnt(0)
	s_barrier
	s_and_saveexec_b64 s[6:7], vcc
	s_cbranch_execz .LBB141_3
; %bb.2:                                ;   in Loop: Header=BB141_1 Depth=1
	ds_read2_b32 v[9:10], v19 offset1:1
	ds_read2_b32 v[11:12], v19 offset0:2 offset1:3
	v_and_b32_e32 v13, 15, v20
	v_cmp_eq_u32_e64 s[2:3], 0, v13
	s_waitcnt lgkmcnt(1)
	v_add_f32_e32 v14, v9, v10
	s_waitcnt lgkmcnt(0)
	v_add_f32_e32 v14, v14, v11
	v_add_f32_e32 v14, v14, v12
	s_nop 1
	v_mov_b32_dpp v15, v14 row_shr:1 row_mask:0xf bank_mask:0xf
	v_add_f32_e32 v15, v14, v15
	v_cndmask_b32_e64 v14, v15, v14, s[2:3]
	v_cmp_lt_u32_e64 s[2:3], 1, v13
	s_nop 0
	v_mov_b32_dpp v15, v14 row_shr:2 row_mask:0xf bank_mask:0xf
	v_add_f32_e32 v15, v14, v15
	v_cndmask_b32_e64 v14, v14, v15, s[2:3]
	v_cmp_lt_u32_e64 s[2:3], 3, v13
	;; [unrolled: 5-line block ×3, first 2 shown]
	s_nop 0
	v_mov_b32_dpp v15, v14 row_shr:8 row_mask:0xf bank_mask:0xf
	v_add_f32_e32 v15, v14, v15
	v_cndmask_b32_e64 v13, v14, v15, s[2:3]
	v_and_b32_e32 v15, 16, v20
	v_cmp_eq_u32_e64 s[2:3], 0, v15
	v_mov_b32_dpp v14, v13 row_bcast:15 row_mask:0xf bank_mask:0xf
	v_add_f32_e32 v14, v13, v14
	v_cndmask_b32_e64 v13, v14, v13, s[2:3]
	v_cmp_lt_u32_e64 s[2:3], 31, v20
	v_and_b32_e32 v15, 64, v20
	v_mov_b32_dpp v14, v13 row_bcast:31 row_mask:0xf bank_mask:0xf
	v_add_f32_e32 v14, v13, v14
	v_cndmask_b32_e64 v13, v13, v14, s[2:3]
	v_add_u32_e32 v14, -1, v20
	v_cmp_lt_i32_e64 s[2:3], v14, v15
	v_cndmask_b32_e64 v14, v14, v20, s[2:3]
	v_lshlrev_b32_e32 v14, 2, v14
	ds_bpermute_b32 v13, v14, v13
	s_waitcnt lgkmcnt(0)
	v_add_f32_e32 v9, v9, v13
	v_cndmask_b32_e64 v4, v9, v4, s[0:1]
	v_add_f32_e32 v9, v10, v4
	ds_write2_b32 v19, v4, v9 offset1:1
	v_add_f32_e32 v4, v11, v9
	v_add_f32_e32 v9, v12, v4
	ds_write2_b32 v19, v4, v9 offset0:2 offset1:3
.LBB141_3:                              ;   in Loop: Header=BB141_1 Depth=1
	s_or_b64 exec, exec, s[6:7]
	v_mov_b32_e32 v9, s12
	s_waitcnt lgkmcnt(0)
	s_barrier
	s_and_saveexec_b64 s[2:3], s[4:5]
	s_cbranch_execz .LBB141_5
; %bb.4:                                ;   in Loop: Header=BB141_1 Depth=1
	ds_read_b32 v4, v0
	s_waitcnt lgkmcnt(0)
	v_add_f32_e32 v9, s12, v4
.LBB141_5:                              ;   in Loop: Header=BB141_1 Depth=1
	s_or_b64 exec, exec, s[2:3]
	v_add_f32_e32 v10, v5, v9
	v_add_f32_e32 v11, v6, v10
	;; [unrolled: 1-line block ×6, first 2 shown]
	s_add_i32 s8, s8, -1
	s_cmp_lg_u32 s8, 0
	v_add_f32_e32 v4, v3, v15
	s_cbranch_scc0 .LBB141_7
; %bb.6:                                ;   in Loop: Header=BB141_1 Depth=1
	v_mov_b32_e32 v5, v9
	v_mov_b32_e32 v6, v10
	;; [unrolled: 1-line block ×7, first 2 shown]
	s_branch .LBB141_1
.LBB141_7:
	v_mov_b32_e32 v1, s11
	v_add_co_u32_e32 v0, vcc, s10, v16
	v_addc_co_u32_e32 v1, vcc, v1, v17, vcc
	v_mov_b32_e32 v16, v4
	global_store_dwordx4 v[0:1], v[9:12], off
	global_store_dwordx4 v[0:1], v[13:16], off offset:16
	s_endpgm
	.section	.rodata,"a",@progbits
	.p2align	6, 0x0
	.amdhsa_kernel _Z6kernelI14exclusive_scanILN6hipcub18BlockScanAlgorithmE1EEfLj256ELj8ELj100EEvPKT0_PS4_S4_
		.amdhsa_group_segment_fixed_size 1056
		.amdhsa_private_segment_fixed_size 0
		.amdhsa_kernarg_size 280
		.amdhsa_user_sgpr_count 6
		.amdhsa_user_sgpr_private_segment_buffer 1
		.amdhsa_user_sgpr_dispatch_ptr 0
		.amdhsa_user_sgpr_queue_ptr 0
		.amdhsa_user_sgpr_kernarg_segment_ptr 1
		.amdhsa_user_sgpr_dispatch_id 0
		.amdhsa_user_sgpr_flat_scratch_init 0
		.amdhsa_user_sgpr_private_segment_size 0
		.amdhsa_uses_dynamic_stack 0
		.amdhsa_system_sgpr_private_segment_wavefront_offset 0
		.amdhsa_system_sgpr_workgroup_id_x 1
		.amdhsa_system_sgpr_workgroup_id_y 0
		.amdhsa_system_sgpr_workgroup_id_z 0
		.amdhsa_system_sgpr_workgroup_info 0
		.amdhsa_system_vgpr_workitem_id 0
		.amdhsa_next_free_vgpr 21
		.amdhsa_next_free_sgpr 13
		.amdhsa_reserve_vcc 1
		.amdhsa_reserve_flat_scratch 0
		.amdhsa_float_round_mode_32 0
		.amdhsa_float_round_mode_16_64 0
		.amdhsa_float_denorm_mode_32 3
		.amdhsa_float_denorm_mode_16_64 3
		.amdhsa_dx10_clamp 1
		.amdhsa_ieee_mode 1
		.amdhsa_fp16_overflow 0
		.amdhsa_exception_fp_ieee_invalid_op 0
		.amdhsa_exception_fp_denorm_src 0
		.amdhsa_exception_fp_ieee_div_zero 0
		.amdhsa_exception_fp_ieee_overflow 0
		.amdhsa_exception_fp_ieee_underflow 0
		.amdhsa_exception_fp_ieee_inexact 0
		.amdhsa_exception_int_div_zero 0
	.end_amdhsa_kernel
	.section	.text._Z6kernelI14exclusive_scanILN6hipcub18BlockScanAlgorithmE1EEfLj256ELj8ELj100EEvPKT0_PS4_S4_,"axG",@progbits,_Z6kernelI14exclusive_scanILN6hipcub18BlockScanAlgorithmE1EEfLj256ELj8ELj100EEvPKT0_PS4_S4_,comdat
.Lfunc_end141:
	.size	_Z6kernelI14exclusive_scanILN6hipcub18BlockScanAlgorithmE1EEfLj256ELj8ELj100EEvPKT0_PS4_S4_, .Lfunc_end141-_Z6kernelI14exclusive_scanILN6hipcub18BlockScanAlgorithmE1EEfLj256ELj8ELj100EEvPKT0_PS4_S4_
                                        ; -- End function
	.set _Z6kernelI14exclusive_scanILN6hipcub18BlockScanAlgorithmE1EEfLj256ELj8ELj100EEvPKT0_PS4_S4_.num_vgpr, 21
	.set _Z6kernelI14exclusive_scanILN6hipcub18BlockScanAlgorithmE1EEfLj256ELj8ELj100EEvPKT0_PS4_S4_.num_agpr, 0
	.set _Z6kernelI14exclusive_scanILN6hipcub18BlockScanAlgorithmE1EEfLj256ELj8ELj100EEvPKT0_PS4_S4_.numbered_sgpr, 13
	.set _Z6kernelI14exclusive_scanILN6hipcub18BlockScanAlgorithmE1EEfLj256ELj8ELj100EEvPKT0_PS4_S4_.num_named_barrier, 0
	.set _Z6kernelI14exclusive_scanILN6hipcub18BlockScanAlgorithmE1EEfLj256ELj8ELj100EEvPKT0_PS4_S4_.private_seg_size, 0
	.set _Z6kernelI14exclusive_scanILN6hipcub18BlockScanAlgorithmE1EEfLj256ELj8ELj100EEvPKT0_PS4_S4_.uses_vcc, 1
	.set _Z6kernelI14exclusive_scanILN6hipcub18BlockScanAlgorithmE1EEfLj256ELj8ELj100EEvPKT0_PS4_S4_.uses_flat_scratch, 0
	.set _Z6kernelI14exclusive_scanILN6hipcub18BlockScanAlgorithmE1EEfLj256ELj8ELj100EEvPKT0_PS4_S4_.has_dyn_sized_stack, 0
	.set _Z6kernelI14exclusive_scanILN6hipcub18BlockScanAlgorithmE1EEfLj256ELj8ELj100EEvPKT0_PS4_S4_.has_recursion, 0
	.set _Z6kernelI14exclusive_scanILN6hipcub18BlockScanAlgorithmE1EEfLj256ELj8ELj100EEvPKT0_PS4_S4_.has_indirect_call, 0
	.section	.AMDGPU.csdata,"",@progbits
; Kernel info:
; codeLenInByte = 700
; TotalNumSgprs: 17
; NumVgprs: 21
; ScratchSize: 0
; MemoryBound: 0
; FloatMode: 240
; IeeeMode: 1
; LDSByteSize: 1056 bytes/workgroup (compile time only)
; SGPRBlocks: 2
; VGPRBlocks: 5
; NumSGPRsForWavesPerEU: 17
; NumVGPRsForWavesPerEU: 21
; Occupancy: 10
; WaveLimiterHint : 0
; COMPUTE_PGM_RSRC2:SCRATCH_EN: 0
; COMPUTE_PGM_RSRC2:USER_SGPR: 6
; COMPUTE_PGM_RSRC2:TRAP_HANDLER: 0
; COMPUTE_PGM_RSRC2:TGID_X_EN: 1
; COMPUTE_PGM_RSRC2:TGID_Y_EN: 0
; COMPUTE_PGM_RSRC2:TGID_Z_EN: 0
; COMPUTE_PGM_RSRC2:TIDIG_COMP_CNT: 0
	.section	.text._Z6kernelI14exclusive_scanILN6hipcub18BlockScanAlgorithmE1EEfLj256ELj11ELj100EEvPKT0_PS4_S4_,"axG",@progbits,_Z6kernelI14exclusive_scanILN6hipcub18BlockScanAlgorithmE1EEfLj256ELj11ELj100EEvPKT0_PS4_S4_,comdat
	.protected	_Z6kernelI14exclusive_scanILN6hipcub18BlockScanAlgorithmE1EEfLj256ELj11ELj100EEvPKT0_PS4_S4_ ; -- Begin function _Z6kernelI14exclusive_scanILN6hipcub18BlockScanAlgorithmE1EEfLj256ELj11ELj100EEvPKT0_PS4_S4_
	.globl	_Z6kernelI14exclusive_scanILN6hipcub18BlockScanAlgorithmE1EEfLj256ELj11ELj100EEvPKT0_PS4_S4_
	.p2align	8
	.type	_Z6kernelI14exclusive_scanILN6hipcub18BlockScanAlgorithmE1EEfLj256ELj11ELj100EEvPKT0_PS4_S4_,@function
_Z6kernelI14exclusive_scanILN6hipcub18BlockScanAlgorithmE1EEfLj256ELj11ELj100EEvPKT0_PS4_S4_: ; @_Z6kernelI14exclusive_scanILN6hipcub18BlockScanAlgorithmE1EEfLj256ELj11ELj100EEvPKT0_PS4_S4_
; %bb.0:
	s_load_dword s0, s[4:5], 0x24
	s_load_dwordx4 s[8:11], s[4:5], 0x0
	s_load_dword s12, s[4:5], 0x10
	v_mov_b32_e32 v22, 0
	v_mov_b32_e32 v4, v22
	s_waitcnt lgkmcnt(0)
	s_and_b32 s0, s0, 0xffff
	s_mul_i32 s6, s6, s0
	v_add_u32_e32 v1, s6, v0
	v_mul_lo_u32 v21, v1, 11
	v_mov_b32_e32 v3, s9
	v_mov_b32_e32 v5, s9
	;; [unrolled: 1-line block ×3, first 2 shown]
	v_lshlrev_b64 v[1:2], 2, v[21:22]
	v_mov_b32_e32 v7, s9
	v_add_co_u32_e32 v17, vcc, s8, v1
	v_addc_co_u32_e32 v18, vcc, v3, v2, vcc
	v_add_u32_e32 v3, 1, v21
	v_lshlrev_b64 v[3:4], 2, v[3:4]
	v_mov_b32_e32 v8, v22
	v_add_co_u32_e32 v19, vcc, s8, v3
	v_addc_co_u32_e32 v20, vcc, v5, v4, vcc
	v_add_u32_e32 v5, 2, v21
	v_lshlrev_b64 v[5:6], 2, v[5:6]
	v_mov_b32_e32 v9, s9
	v_add_co_u32_e32 v31, vcc, s8, v5
	v_addc_co_u32_e32 v32, vcc, v7, v6, vcc
	v_add_u32_e32 v7, 3, v21
	v_lshlrev_b64 v[7:8], 2, v[7:8]
	v_mov_b32_e32 v10, v22
	v_add_co_u32_e32 v33, vcc, s8, v7
	v_addc_co_u32_e32 v34, vcc, v9, v8, vcc
	v_add_u32_e32 v9, 4, v21
	v_lshlrev_b64 v[9:10], 2, v[9:10]
	v_mov_b32_e32 v11, s9
	v_add_co_u32_e32 v35, vcc, s8, v9
	v_addc_co_u32_e32 v36, vcc, v11, v10, vcc
	v_add_u32_e32 v11, 5, v21
	v_mov_b32_e32 v12, v22
	v_lshlrev_b64 v[11:12], 2, v[11:12]
	v_mov_b32_e32 v13, s9
	v_add_co_u32_e32 v37, vcc, s8, v11
	v_addc_co_u32_e32 v38, vcc, v13, v12, vcc
	v_add_u32_e32 v13, 6, v21
	v_mov_b32_e32 v14, v22
	v_lshlrev_b64 v[13:14], 2, v[13:14]
	v_mov_b32_e32 v15, s9
	v_add_co_u32_e32 v39, vcc, s8, v13
	v_addc_co_u32_e32 v40, vcc, v15, v14, vcc
	v_add_u32_e32 v15, 7, v21
	v_mov_b32_e32 v16, v22
	v_lshlrev_b64 v[15:16], 2, v[15:16]
	v_mov_b32_e32 v23, s9
	v_add_co_u32_e32 v41, vcc, s8, v15
	v_addc_co_u32_e32 v42, vcc, v23, v16, vcc
	global_load_dword v30, v[17:18], off
	global_load_dword v29, v[19:20], off
	;; [unrolled: 1-line block ×8, first 2 shown]
	v_add_u32_e32 v17, 8, v21
	v_mov_b32_e32 v18, v22
	v_lshlrev_b64 v[17:18], 2, v[17:18]
	v_mov_b32_e32 v19, s9
	v_add_co_u32_e32 v33, vcc, s8, v17
	v_addc_co_u32_e32 v34, vcc, v19, v18, vcc
	v_add_u32_e32 v19, 9, v21
	v_mov_b32_e32 v20, v22
	v_lshlrev_b64 v[19:20], 2, v[19:20]
	v_add_u32_e32 v21, 10, v21
	v_mov_b32_e32 v31, s9
	v_add_co_u32_e32 v36, vcc, s8, v19
	v_lshlrev_b64 v[21:22], 2, v[21:22]
	v_addc_co_u32_e32 v37, vcc, v31, v20, vcc
	v_add_co_u32_e32 v38, vcc, s8, v21
	v_addc_co_u32_e32 v39, vcc, v31, v22, vcc
	global_load_dword v32, v[33:34], off
	global_load_dword v31, v[36:37], off
	;; [unrolled: 1-line block ×3, first 2 shown]
	v_subrev_co_u32_e32 v33, vcc, 1, v0
	v_lshrrev_b32_e32 v34, 3, v33
	v_and_b32_e32 v34, 0x1ffffffc, v34
	v_lshl_add_u32 v33, v33, 2, v34
	v_lshrrev_b32_e32 v34, 3, v0
	v_and_b32_e32 v34, 28, v34
	v_lshrrev_b32_e32 v36, 1, v0
	v_lshl_add_u32 v34, v0, 2, v34
	v_cmp_gt_u32_e64 s[0:1], 64, v0
	v_and_b32_e32 v36, 0x7c, v36
	v_lshlrev_b32_e32 v0, 4, v0
	v_add_u32_e32 v0, v36, v0
	v_mbcnt_lo_u32_b32 v36, -1, 0
	s_xor_b64 s[6:7], vcc, -1
	s_movk_i32 s13, 0x64
	v_mbcnt_hi_u32_b32 v36, -1, v36
.LBB142_1:                              ; =>This Inner Loop Header: Depth=1
	s_waitcnt vmcnt(9)
	v_add_f32_e32 v37, v29, v30
	s_waitcnt vmcnt(8)
	v_add_f32_e32 v37, v28, v37
	;; [unrolled: 2-line block ×10, first 2 shown]
	ds_write_b32 v34, v35
	s_waitcnt lgkmcnt(0)
	s_barrier
	s_and_saveexec_b64 s[8:9], s[0:1]
	s_cbranch_execz .LBB142_3
; %bb.2:                                ;   in Loop: Header=BB142_1 Depth=1
	ds_read2_b32 v[37:38], v0 offset1:1
	ds_read2_b32 v[39:40], v0 offset0:2 offset1:3
	v_and_b32_e32 v41, 15, v36
	v_cmp_eq_u32_e64 s[2:3], 0, v41
	v_cmp_lt_u32_e64 s[4:5], 1, v41
	s_waitcnt lgkmcnt(1)
	v_add_f32_e32 v42, v37, v38
	s_waitcnt lgkmcnt(0)
	v_add_f32_e32 v42, v42, v39
	v_add_f32_e32 v42, v42, v40
	s_nop 1
	v_mov_b32_dpp v43, v42 row_shr:1 row_mask:0xf bank_mask:0xf
	v_add_f32_e32 v43, v42, v43
	v_cndmask_b32_e64 v42, v43, v42, s[2:3]
	v_cmp_lt_u32_e64 s[2:3], 3, v41
	s_nop 0
	v_mov_b32_dpp v43, v42 row_shr:2 row_mask:0xf bank_mask:0xf
	v_add_f32_e32 v43, v42, v43
	v_cndmask_b32_e64 v42, v42, v43, s[4:5]
	s_nop 1
	v_mov_b32_dpp v43, v42 row_shr:4 row_mask:0xf bank_mask:0xf
	v_add_f32_e32 v43, v42, v43
	v_cndmask_b32_e64 v42, v42, v43, s[2:3]
	v_cmp_lt_u32_e64 s[2:3], 7, v41
	s_nop 0
	v_mov_b32_dpp v43, v42 row_shr:8 row_mask:0xf bank_mask:0xf
	v_add_f32_e32 v43, v42, v43
	v_cndmask_b32_e64 v41, v42, v43, s[2:3]
	v_and_b32_e32 v43, 16, v36
	v_cmp_eq_u32_e64 s[2:3], 0, v43
	v_mov_b32_dpp v42, v41 row_bcast:15 row_mask:0xf bank_mask:0xf
	v_add_f32_e32 v42, v41, v42
	v_cndmask_b32_e64 v41, v42, v41, s[2:3]
	v_cmp_lt_u32_e64 s[2:3], 31, v36
	v_and_b32_e32 v43, 64, v36
	v_mov_b32_dpp v42, v41 row_bcast:31 row_mask:0xf bank_mask:0xf
	v_add_f32_e32 v42, v41, v42
	v_cndmask_b32_e64 v41, v41, v42, s[2:3]
	v_add_u32_e32 v42, -1, v36
	v_cmp_lt_i32_e64 s[2:3], v42, v43
	v_cndmask_b32_e64 v42, v42, v36, s[2:3]
	v_lshlrev_b32_e32 v42, 2, v42
	ds_bpermute_b32 v41, v42, v41
	s_waitcnt lgkmcnt(0)
	v_add_f32_e32 v37, v37, v41
	v_cndmask_b32_e32 v35, v37, v35, vcc
	v_add_f32_e32 v37, v38, v35
	ds_write2_b32 v0, v35, v37 offset1:1
	v_add_f32_e32 v35, v39, v37
	v_add_f32_e32 v37, v40, v35
	ds_write2_b32 v0, v35, v37 offset0:2 offset1:3
.LBB142_3:                              ;   in Loop: Header=BB142_1 Depth=1
	s_or_b64 exec, exec, s[8:9]
	v_mov_b32_e32 v37, s12
	s_waitcnt lgkmcnt(0)
	s_barrier
	s_and_saveexec_b64 s[2:3], s[6:7]
	s_cbranch_execz .LBB142_5
; %bb.4:                                ;   in Loop: Header=BB142_1 Depth=1
	ds_read_b32 v35, v33
	s_waitcnt lgkmcnt(0)
	v_add_f32_e32 v37, s12, v35
.LBB142_5:                              ;   in Loop: Header=BB142_1 Depth=1
	s_or_b64 exec, exec, s[2:3]
	v_add_f32_e32 v38, v30, v37
	v_add_f32_e32 v30, v29, v38
	;; [unrolled: 1-line block ×9, first 2 shown]
	s_add_i32 s13, s13, -1
	s_cmp_lg_u32 s13, 0
	v_add_f32_e32 v35, v31, v23
	s_cbranch_scc0 .LBB142_7
; %bb.6:                                ;   in Loop: Header=BB142_1 Depth=1
	v_mov_b32_e32 v31, v23
	v_mov_b32_e32 v32, v24
	;; [unrolled: 1-line block ×10, first 2 shown]
	s_branch .LBB142_1
.LBB142_7:
	v_mov_b32_e32 v31, s11
	v_add_co_u32_e32 v0, vcc, s10, v1
	v_addc_co_u32_e32 v1, vcc, v31, v2, vcc
	global_store_dword v[0:1], v37, off
	v_mov_b32_e32 v1, s11
	v_add_co_u32_e32 v0, vcc, s10, v3
	v_addc_co_u32_e32 v1, vcc, v1, v4, vcc
	global_store_dword v[0:1], v38, off
	;; [unrolled: 4-line block ×11, first 2 shown]
	s_endpgm
	.section	.rodata,"a",@progbits
	.p2align	6, 0x0
	.amdhsa_kernel _Z6kernelI14exclusive_scanILN6hipcub18BlockScanAlgorithmE1EEfLj256ELj11ELj100EEvPKT0_PS4_S4_
		.amdhsa_group_segment_fixed_size 1056
		.amdhsa_private_segment_fixed_size 0
		.amdhsa_kernarg_size 280
		.amdhsa_user_sgpr_count 6
		.amdhsa_user_sgpr_private_segment_buffer 1
		.amdhsa_user_sgpr_dispatch_ptr 0
		.amdhsa_user_sgpr_queue_ptr 0
		.amdhsa_user_sgpr_kernarg_segment_ptr 1
		.amdhsa_user_sgpr_dispatch_id 0
		.amdhsa_user_sgpr_flat_scratch_init 0
		.amdhsa_user_sgpr_private_segment_size 0
		.amdhsa_uses_dynamic_stack 0
		.amdhsa_system_sgpr_private_segment_wavefront_offset 0
		.amdhsa_system_sgpr_workgroup_id_x 1
		.amdhsa_system_sgpr_workgroup_id_y 0
		.amdhsa_system_sgpr_workgroup_id_z 0
		.amdhsa_system_sgpr_workgroup_info 0
		.amdhsa_system_vgpr_workitem_id 0
		.amdhsa_next_free_vgpr 44
		.amdhsa_next_free_sgpr 14
		.amdhsa_reserve_vcc 1
		.amdhsa_reserve_flat_scratch 0
		.amdhsa_float_round_mode_32 0
		.amdhsa_float_round_mode_16_64 0
		.amdhsa_float_denorm_mode_32 3
		.amdhsa_float_denorm_mode_16_64 3
		.amdhsa_dx10_clamp 1
		.amdhsa_ieee_mode 1
		.amdhsa_fp16_overflow 0
		.amdhsa_exception_fp_ieee_invalid_op 0
		.amdhsa_exception_fp_denorm_src 0
		.amdhsa_exception_fp_ieee_div_zero 0
		.amdhsa_exception_fp_ieee_overflow 0
		.amdhsa_exception_fp_ieee_underflow 0
		.amdhsa_exception_fp_ieee_inexact 0
		.amdhsa_exception_int_div_zero 0
	.end_amdhsa_kernel
	.section	.text._Z6kernelI14exclusive_scanILN6hipcub18BlockScanAlgorithmE1EEfLj256ELj11ELj100EEvPKT0_PS4_S4_,"axG",@progbits,_Z6kernelI14exclusive_scanILN6hipcub18BlockScanAlgorithmE1EEfLj256ELj11ELj100EEvPKT0_PS4_S4_,comdat
.Lfunc_end142:
	.size	_Z6kernelI14exclusive_scanILN6hipcub18BlockScanAlgorithmE1EEfLj256ELj11ELj100EEvPKT0_PS4_S4_, .Lfunc_end142-_Z6kernelI14exclusive_scanILN6hipcub18BlockScanAlgorithmE1EEfLj256ELj11ELj100EEvPKT0_PS4_S4_
                                        ; -- End function
	.set _Z6kernelI14exclusive_scanILN6hipcub18BlockScanAlgorithmE1EEfLj256ELj11ELj100EEvPKT0_PS4_S4_.num_vgpr, 44
	.set _Z6kernelI14exclusive_scanILN6hipcub18BlockScanAlgorithmE1EEfLj256ELj11ELj100EEvPKT0_PS4_S4_.num_agpr, 0
	.set _Z6kernelI14exclusive_scanILN6hipcub18BlockScanAlgorithmE1EEfLj256ELj11ELj100EEvPKT0_PS4_S4_.numbered_sgpr, 14
	.set _Z6kernelI14exclusive_scanILN6hipcub18BlockScanAlgorithmE1EEfLj256ELj11ELj100EEvPKT0_PS4_S4_.num_named_barrier, 0
	.set _Z6kernelI14exclusive_scanILN6hipcub18BlockScanAlgorithmE1EEfLj256ELj11ELj100EEvPKT0_PS4_S4_.private_seg_size, 0
	.set _Z6kernelI14exclusive_scanILN6hipcub18BlockScanAlgorithmE1EEfLj256ELj11ELj100EEvPKT0_PS4_S4_.uses_vcc, 1
	.set _Z6kernelI14exclusive_scanILN6hipcub18BlockScanAlgorithmE1EEfLj256ELj11ELj100EEvPKT0_PS4_S4_.uses_flat_scratch, 0
	.set _Z6kernelI14exclusive_scanILN6hipcub18BlockScanAlgorithmE1EEfLj256ELj11ELj100EEvPKT0_PS4_S4_.has_dyn_sized_stack, 0
	.set _Z6kernelI14exclusive_scanILN6hipcub18BlockScanAlgorithmE1EEfLj256ELj11ELj100EEvPKT0_PS4_S4_.has_recursion, 0
	.set _Z6kernelI14exclusive_scanILN6hipcub18BlockScanAlgorithmE1EEfLj256ELj11ELj100EEvPKT0_PS4_S4_.has_indirect_call, 0
	.section	.AMDGPU.csdata,"",@progbits
; Kernel info:
; codeLenInByte = 1300
; TotalNumSgprs: 18
; NumVgprs: 44
; ScratchSize: 0
; MemoryBound: 0
; FloatMode: 240
; IeeeMode: 1
; LDSByteSize: 1056 bytes/workgroup (compile time only)
; SGPRBlocks: 2
; VGPRBlocks: 10
; NumSGPRsForWavesPerEU: 18
; NumVGPRsForWavesPerEU: 44
; Occupancy: 5
; WaveLimiterHint : 0
; COMPUTE_PGM_RSRC2:SCRATCH_EN: 0
; COMPUTE_PGM_RSRC2:USER_SGPR: 6
; COMPUTE_PGM_RSRC2:TRAP_HANDLER: 0
; COMPUTE_PGM_RSRC2:TGID_X_EN: 1
; COMPUTE_PGM_RSRC2:TGID_Y_EN: 0
; COMPUTE_PGM_RSRC2:TGID_Z_EN: 0
; COMPUTE_PGM_RSRC2:TIDIG_COMP_CNT: 0
	.section	.text._Z6kernelI14exclusive_scanILN6hipcub18BlockScanAlgorithmE1EEfLj256ELj16ELj100EEvPKT0_PS4_S4_,"axG",@progbits,_Z6kernelI14exclusive_scanILN6hipcub18BlockScanAlgorithmE1EEfLj256ELj16ELj100EEvPKT0_PS4_S4_,comdat
	.protected	_Z6kernelI14exclusive_scanILN6hipcub18BlockScanAlgorithmE1EEfLj256ELj16ELj100EEvPKT0_PS4_S4_ ; -- Begin function _Z6kernelI14exclusive_scanILN6hipcub18BlockScanAlgorithmE1EEfLj256ELj16ELj100EEvPKT0_PS4_S4_
	.globl	_Z6kernelI14exclusive_scanILN6hipcub18BlockScanAlgorithmE1EEfLj256ELj16ELj100EEvPKT0_PS4_S4_
	.p2align	8
	.type	_Z6kernelI14exclusive_scanILN6hipcub18BlockScanAlgorithmE1EEfLj256ELj16ELj100EEvPKT0_PS4_S4_,@function
_Z6kernelI14exclusive_scanILN6hipcub18BlockScanAlgorithmE1EEfLj256ELj16ELj100EEvPKT0_PS4_S4_: ; @_Z6kernelI14exclusive_scanILN6hipcub18BlockScanAlgorithmE1EEfLj256ELj16ELj100EEvPKT0_PS4_S4_
; %bb.0:
	s_load_dword s0, s[4:5], 0x24
	s_load_dwordx4 s[8:11], s[4:5], 0x0
	s_load_dword s12, s[4:5], 0x10
	v_mov_b32_e32 v2, 0
	s_movk_i32 s13, 0x64
	s_waitcnt lgkmcnt(0)
	s_and_b32 s0, s0, 0xffff
	s_mul_i32 s6, s6, s0
	v_add_lshl_u32 v1, s6, v0, 4
	v_lshlrev_b64 v[21:22], 2, v[1:2]
	v_mov_b32_e32 v1, s9
	v_add_co_u32_e32 v17, vcc, s8, v21
	v_addc_co_u32_e32 v18, vcc, v1, v22, vcc
	global_load_dwordx4 v[9:12], v[17:18], off
	global_load_dwordx4 v[5:8], v[17:18], off offset:16
	global_load_dwordx4 v[13:16], v[17:18], off offset:32
	;; [unrolled: 1-line block ×3, first 2 shown]
	v_lshrrev_b32_e32 v17, 3, v0
	v_and_b32_e32 v17, 28, v17
	v_lshl_add_u32 v23, v0, 2, v17
	v_subrev_co_u32_e64 v17, s[0:1], 1, v0
	v_lshrrev_b32_e32 v18, 1, v0
	v_cmp_gt_u32_e32 vcc, 64, v0
	v_and_b32_e32 v18, 0x7c, v18
	v_lshlrev_b32_e32 v0, 4, v0
	v_lshrrev_b32_e32 v19, 3, v17
	v_and_b32_e32 v19, 0x1ffffffc, v19
	v_add_u32_e32 v25, v18, v0
	v_mbcnt_lo_u32_b32 v0, -1, 0
	s_xor_b64 s[6:7], s[0:1], -1
	v_lshl_add_u32 v24, v17, 2, v19
	v_mbcnt_hi_u32_b32 v26, -1, v0
.LBB143_1:                              ; =>This Inner Loop Header: Depth=1
	s_waitcnt vmcnt(3)
	v_add_f32_e32 v0, v10, v9
	v_add_f32_e32 v0, v11, v0
	v_add_f32_e32 v0, v12, v0
	s_waitcnt vmcnt(2)
	v_add_f32_e32 v0, v5, v0
	v_add_f32_e32 v0, v6, v0
	v_add_f32_e32 v0, v7, v0
	v_add_f32_e32 v0, v8, v0
	s_waitcnt vmcnt(1)
	v_add_f32_e32 v0, v13, v0
	;; [unrolled: 5-line block ×3, first 2 shown]
	v_add_f32_e32 v0, v2, v0
	v_add_f32_e32 v0, v3, v0
	;; [unrolled: 1-line block ×3, first 2 shown]
	ds_write_b32 v23, v0
	s_waitcnt lgkmcnt(0)
	s_barrier
	s_and_saveexec_b64 s[8:9], vcc
	s_cbranch_execz .LBB143_3
; %bb.2:                                ;   in Loop: Header=BB143_1 Depth=1
	ds_read2_b32 v[17:18], v25 offset1:1
	ds_read2_b32 v[19:20], v25 offset0:2 offset1:3
	v_and_b32_e32 v4, 15, v26
	v_cmp_eq_u32_e64 s[2:3], 0, v4
	v_cmp_lt_u32_e64 s[4:5], 1, v4
	s_waitcnt lgkmcnt(1)
	v_add_f32_e32 v27, v17, v18
	s_waitcnt lgkmcnt(0)
	v_add_f32_e32 v27, v27, v19
	v_add_f32_e32 v27, v27, v20
	s_nop 1
	v_mov_b32_dpp v28, v27 row_shr:1 row_mask:0xf bank_mask:0xf
	v_add_f32_e32 v28, v27, v28
	v_cndmask_b32_e64 v27, v28, v27, s[2:3]
	v_cmp_lt_u32_e64 s[2:3], 3, v4
	s_nop 0
	v_mov_b32_dpp v28, v27 row_shr:2 row_mask:0xf bank_mask:0xf
	v_add_f32_e32 v28, v27, v28
	v_cndmask_b32_e64 v27, v27, v28, s[4:5]
	s_nop 1
	v_mov_b32_dpp v28, v27 row_shr:4 row_mask:0xf bank_mask:0xf
	v_add_f32_e32 v28, v27, v28
	v_cndmask_b32_e64 v27, v27, v28, s[2:3]
	v_cmp_lt_u32_e64 s[2:3], 7, v4
	s_nop 0
	v_mov_b32_dpp v28, v27 row_shr:8 row_mask:0xf bank_mask:0xf
	v_add_f32_e32 v28, v27, v28
	v_cndmask_b32_e64 v4, v27, v28, s[2:3]
	v_and_b32_e32 v28, 16, v26
	v_cmp_eq_u32_e64 s[2:3], 0, v28
	v_mov_b32_dpp v27, v4 row_bcast:15 row_mask:0xf bank_mask:0xf
	v_add_f32_e32 v27, v4, v27
	v_cndmask_b32_e64 v4, v27, v4, s[2:3]
	v_cmp_lt_u32_e64 s[2:3], 31, v26
	v_and_b32_e32 v28, 64, v26
	v_mov_b32_dpp v27, v4 row_bcast:31 row_mask:0xf bank_mask:0xf
	v_add_f32_e32 v27, v4, v27
	v_cndmask_b32_e64 v4, v4, v27, s[2:3]
	v_add_u32_e32 v27, -1, v26
	v_cmp_lt_i32_e64 s[2:3], v27, v28
	v_cndmask_b32_e64 v27, v27, v26, s[2:3]
	v_lshlrev_b32_e32 v27, 2, v27
	ds_bpermute_b32 v4, v27, v4
	s_waitcnt lgkmcnt(0)
	v_add_f32_e32 v4, v17, v4
	v_cndmask_b32_e64 v0, v4, v0, s[0:1]
	v_add_f32_e32 v4, v18, v0
	ds_write2_b32 v25, v0, v4 offset1:1
	v_add_f32_e32 v0, v19, v4
	v_add_f32_e32 v4, v20, v0
	ds_write2_b32 v25, v0, v4 offset0:2 offset1:3
.LBB143_3:                              ;   in Loop: Header=BB143_1 Depth=1
	s_or_b64 exec, exec, s[8:9]
	v_mov_b32_e32 v17, s12
	s_waitcnt lgkmcnt(0)
	s_barrier
	s_and_saveexec_b64 s[2:3], s[6:7]
	s_cbranch_execz .LBB143_5
; %bb.4:                                ;   in Loop: Header=BB143_1 Depth=1
	ds_read_b32 v0, v24
	s_waitcnt lgkmcnt(0)
	v_add_f32_e32 v17, s12, v0
.LBB143_5:                              ;   in Loop: Header=BB143_1 Depth=1
	s_or_b64 exec, exec, s[2:3]
	v_add_f32_e32 v18, v9, v17
	v_add_f32_e32 v19, v10, v18
	;; [unrolled: 1-line block ×14, first 2 shown]
	s_add_i32 s13, s13, -1
	s_cmp_lg_u32 s13, 0
	v_add_f32_e32 v4, v3, v2
	s_cbranch_scc0 .LBB143_7
; %bb.6:                                ;   in Loop: Header=BB143_1 Depth=1
	v_mov_b32_e32 v3, v2
	v_mov_b32_e32 v2, v1
	v_mov_b32_e32 v1, v0
	v_mov_b32_e32 v16, v8
	v_mov_b32_e32 v15, v7
	v_mov_b32_e32 v14, v6
	v_mov_b32_e32 v13, v5
	v_mov_b32_e32 v8, v12
	v_mov_b32_e32 v7, v11
	v_mov_b32_e32 v6, v10
	v_mov_b32_e32 v5, v9
	v_mov_b32_e32 v12, v20
	v_mov_b32_e32 v11, v19
	v_mov_b32_e32 v10, v18
	v_mov_b32_e32 v9, v17
	s_branch .LBB143_1
.LBB143_7:
	v_mov_b32_e32 v3, s11
	v_add_co_u32_e32 v13, vcc, s10, v21
	v_addc_co_u32_e32 v14, vcc, v3, v22, vcc
	v_mov_b32_e32 v3, v4
	global_store_dwordx4 v[13:14], v[17:20], off
	global_store_dwordx4 v[13:14], v[9:12], off offset:16
	global_store_dwordx4 v[13:14], v[5:8], off offset:32
	;; [unrolled: 1-line block ×3, first 2 shown]
	s_endpgm
	.section	.rodata,"a",@progbits
	.p2align	6, 0x0
	.amdhsa_kernel _Z6kernelI14exclusive_scanILN6hipcub18BlockScanAlgorithmE1EEfLj256ELj16ELj100EEvPKT0_PS4_S4_
		.amdhsa_group_segment_fixed_size 1056
		.amdhsa_private_segment_fixed_size 0
		.amdhsa_kernarg_size 280
		.amdhsa_user_sgpr_count 6
		.amdhsa_user_sgpr_private_segment_buffer 1
		.amdhsa_user_sgpr_dispatch_ptr 0
		.amdhsa_user_sgpr_queue_ptr 0
		.amdhsa_user_sgpr_kernarg_segment_ptr 1
		.amdhsa_user_sgpr_dispatch_id 0
		.amdhsa_user_sgpr_flat_scratch_init 0
		.amdhsa_user_sgpr_private_segment_size 0
		.amdhsa_uses_dynamic_stack 0
		.amdhsa_system_sgpr_private_segment_wavefront_offset 0
		.amdhsa_system_sgpr_workgroup_id_x 1
		.amdhsa_system_sgpr_workgroup_id_y 0
		.amdhsa_system_sgpr_workgroup_id_z 0
		.amdhsa_system_sgpr_workgroup_info 0
		.amdhsa_system_vgpr_workitem_id 0
		.amdhsa_next_free_vgpr 29
		.amdhsa_next_free_sgpr 14
		.amdhsa_reserve_vcc 1
		.amdhsa_reserve_flat_scratch 0
		.amdhsa_float_round_mode_32 0
		.amdhsa_float_round_mode_16_64 0
		.amdhsa_float_denorm_mode_32 3
		.amdhsa_float_denorm_mode_16_64 3
		.amdhsa_dx10_clamp 1
		.amdhsa_ieee_mode 1
		.amdhsa_fp16_overflow 0
		.amdhsa_exception_fp_ieee_invalid_op 0
		.amdhsa_exception_fp_denorm_src 0
		.amdhsa_exception_fp_ieee_div_zero 0
		.amdhsa_exception_fp_ieee_overflow 0
		.amdhsa_exception_fp_ieee_underflow 0
		.amdhsa_exception_fp_ieee_inexact 0
		.amdhsa_exception_int_div_zero 0
	.end_amdhsa_kernel
	.section	.text._Z6kernelI14exclusive_scanILN6hipcub18BlockScanAlgorithmE1EEfLj256ELj16ELj100EEvPKT0_PS4_S4_,"axG",@progbits,_Z6kernelI14exclusive_scanILN6hipcub18BlockScanAlgorithmE1EEfLj256ELj16ELj100EEvPKT0_PS4_S4_,comdat
.Lfunc_end143:
	.size	_Z6kernelI14exclusive_scanILN6hipcub18BlockScanAlgorithmE1EEfLj256ELj16ELj100EEvPKT0_PS4_S4_, .Lfunc_end143-_Z6kernelI14exclusive_scanILN6hipcub18BlockScanAlgorithmE1EEfLj256ELj16ELj100EEvPKT0_PS4_S4_
                                        ; -- End function
	.set _Z6kernelI14exclusive_scanILN6hipcub18BlockScanAlgorithmE1EEfLj256ELj16ELj100EEvPKT0_PS4_S4_.num_vgpr, 29
	.set _Z6kernelI14exclusive_scanILN6hipcub18BlockScanAlgorithmE1EEfLj256ELj16ELj100EEvPKT0_PS4_S4_.num_agpr, 0
	.set _Z6kernelI14exclusive_scanILN6hipcub18BlockScanAlgorithmE1EEfLj256ELj16ELj100EEvPKT0_PS4_S4_.numbered_sgpr, 14
	.set _Z6kernelI14exclusive_scanILN6hipcub18BlockScanAlgorithmE1EEfLj256ELj16ELj100EEvPKT0_PS4_S4_.num_named_barrier, 0
	.set _Z6kernelI14exclusive_scanILN6hipcub18BlockScanAlgorithmE1EEfLj256ELj16ELj100EEvPKT0_PS4_S4_.private_seg_size, 0
	.set _Z6kernelI14exclusive_scanILN6hipcub18BlockScanAlgorithmE1EEfLj256ELj16ELj100EEvPKT0_PS4_S4_.uses_vcc, 1
	.set _Z6kernelI14exclusive_scanILN6hipcub18BlockScanAlgorithmE1EEfLj256ELj16ELj100EEvPKT0_PS4_S4_.uses_flat_scratch, 0
	.set _Z6kernelI14exclusive_scanILN6hipcub18BlockScanAlgorithmE1EEfLj256ELj16ELj100EEvPKT0_PS4_S4_.has_dyn_sized_stack, 0
	.set _Z6kernelI14exclusive_scanILN6hipcub18BlockScanAlgorithmE1EEfLj256ELj16ELj100EEvPKT0_PS4_S4_.has_recursion, 0
	.set _Z6kernelI14exclusive_scanILN6hipcub18BlockScanAlgorithmE1EEfLj256ELj16ELj100EEvPKT0_PS4_S4_.has_indirect_call, 0
	.section	.AMDGPU.csdata,"",@progbits
; Kernel info:
; codeLenInByte = 836
; TotalNumSgprs: 18
; NumVgprs: 29
; ScratchSize: 0
; MemoryBound: 0
; FloatMode: 240
; IeeeMode: 1
; LDSByteSize: 1056 bytes/workgroup (compile time only)
; SGPRBlocks: 2
; VGPRBlocks: 7
; NumSGPRsForWavesPerEU: 18
; NumVGPRsForWavesPerEU: 29
; Occupancy: 8
; WaveLimiterHint : 0
; COMPUTE_PGM_RSRC2:SCRATCH_EN: 0
; COMPUTE_PGM_RSRC2:USER_SGPR: 6
; COMPUTE_PGM_RSRC2:TRAP_HANDLER: 0
; COMPUTE_PGM_RSRC2:TGID_X_EN: 1
; COMPUTE_PGM_RSRC2:TGID_Y_EN: 0
; COMPUTE_PGM_RSRC2:TGID_Z_EN: 0
; COMPUTE_PGM_RSRC2:TIDIG_COMP_CNT: 0
	.section	.text._Z6kernelI14exclusive_scanILN6hipcub18BlockScanAlgorithmE1EEdLj256ELj1ELj100EEvPKT0_PS4_S4_,"axG",@progbits,_Z6kernelI14exclusive_scanILN6hipcub18BlockScanAlgorithmE1EEdLj256ELj1ELj100EEvPKT0_PS4_S4_,comdat
	.protected	_Z6kernelI14exclusive_scanILN6hipcub18BlockScanAlgorithmE1EEdLj256ELj1ELj100EEvPKT0_PS4_S4_ ; -- Begin function _Z6kernelI14exclusive_scanILN6hipcub18BlockScanAlgorithmE1EEdLj256ELj1ELj100EEvPKT0_PS4_S4_
	.globl	_Z6kernelI14exclusive_scanILN6hipcub18BlockScanAlgorithmE1EEdLj256ELj1ELj100EEvPKT0_PS4_S4_
	.p2align	8
	.type	_Z6kernelI14exclusive_scanILN6hipcub18BlockScanAlgorithmE1EEdLj256ELj1ELj100EEvPKT0_PS4_S4_,@function
_Z6kernelI14exclusive_scanILN6hipcub18BlockScanAlgorithmE1EEdLj256ELj1ELj100EEvPKT0_PS4_S4_: ; @_Z6kernelI14exclusive_scanILN6hipcub18BlockScanAlgorithmE1EEdLj256ELj1ELj100EEvPKT0_PS4_S4_
; %bb.0:
	s_load_dword s0, s[4:5], 0x24
	s_load_dwordx4 s[8:11], s[4:5], 0x0
	s_load_dwordx2 s[12:13], s[4:5], 0x10
	v_mov_b32_e32 v2, 0
	s_movk_i32 s14, 0x64
	s_waitcnt lgkmcnt(0)
	s_and_b32 s0, s0, 0xffff
	s_mul_i32 s6, s6, s0
	v_add_u32_e32 v1, s6, v0
	v_lshlrev_b64 v[8:9], 3, v[1:2]
	v_mov_b32_e32 v2, s9
	v_add_co_u32_e32 v1, vcc, s8, v8
	v_addc_co_u32_e32 v2, vcc, v2, v9, vcc
	global_load_dwordx2 v[10:11], v[1:2], off
	v_lshrrev_b32_e32 v1, 2, v0
	v_and_b32_e32 v1, 56, v1
	v_lshl_add_u32 v16, v0, 3, v1
	v_cmp_gt_u32_e32 vcc, 64, v0
	v_subrev_co_u32_e64 v1, s[0:1], 1, v0
	v_and_b32_e32 v2, 0xf8, v0
	v_lshlrev_b32_e32 v0, 5, v0
	v_lshrrev_b32_e32 v3, 2, v1
	v_add_u32_e32 v18, v2, v0
	v_mbcnt_lo_u32_b32 v0, -1, 0
	v_and_b32_e32 v3, 0x3ffffff8, v3
	v_mbcnt_hi_u32_b32 v19, -1, v0
	s_xor_b64 s[4:5], s[0:1], -1
	v_lshl_add_u32 v17, v1, 3, v3
	v_and_b32_e32 v20, 15, v19
	s_branch .LBB144_2
.LBB144_1:                              ;   in Loop: Header=BB144_2 Depth=1
	s_or_b64 exec, exec, s[2:3]
	s_add_i32 s14, s14, -1
	s_cmp_lg_u32 s14, 0
	s_cbranch_scc0 .LBB144_16
.LBB144_2:                              ; =>This Inner Loop Header: Depth=1
	s_waitcnt vmcnt(0)
	ds_write_b64 v16, v[10:11]
	s_waitcnt lgkmcnt(0)
	s_barrier
	s_and_saveexec_b64 s[6:7], vcc
	s_cbranch_execz .LBB144_14
; %bb.3:                                ;   in Loop: Header=BB144_2 Depth=1
	ds_read2_b64 v[4:7], v18 offset1:1
	ds_read2_b64 v[0:3], v18 offset0:2 offset1:3
	v_cmp_ne_u32_e64 s[2:3], 0, v20
	s_waitcnt lgkmcnt(1)
	v_add_f64 v[12:13], v[4:5], v[6:7]
	s_waitcnt lgkmcnt(0)
	v_add_f64 v[12:13], v[12:13], v[0:1]
	v_add_f64 v[12:13], v[12:13], v[2:3]
	s_nop 1
	v_mov_b32_dpp v14, v12 row_shr:1 row_mask:0xf bank_mask:0xf
	v_mov_b32_dpp v15, v13 row_shr:1 row_mask:0xf bank_mask:0xf
	s_and_saveexec_b64 s[8:9], s[2:3]
; %bb.4:                                ;   in Loop: Header=BB144_2 Depth=1
	v_add_f64 v[12:13], v[12:13], v[14:15]
; %bb.5:                                ;   in Loop: Header=BB144_2 Depth=1
	s_or_b64 exec, exec, s[8:9]
	s_nop 0
	v_mov_b32_dpp v14, v12 row_shr:2 row_mask:0xf bank_mask:0xf
	v_mov_b32_dpp v15, v13 row_shr:2 row_mask:0xf bank_mask:0xf
	v_cmp_lt_u32_e64 s[2:3], 1, v20
	s_and_saveexec_b64 s[8:9], s[2:3]
; %bb.6:                                ;   in Loop: Header=BB144_2 Depth=1
	v_add_f64 v[12:13], v[12:13], v[14:15]
; %bb.7:                                ;   in Loop: Header=BB144_2 Depth=1
	s_or_b64 exec, exec, s[8:9]
	s_nop 0
	v_mov_b32_dpp v14, v12 row_shr:4 row_mask:0xf bank_mask:0xf
	v_mov_b32_dpp v15, v13 row_shr:4 row_mask:0xf bank_mask:0xf
	v_cmp_lt_u32_e64 s[2:3], 3, v20
	;; [unrolled: 9-line block ×3, first 2 shown]
	s_and_saveexec_b64 s[8:9], s[2:3]
; %bb.10:                               ;   in Loop: Header=BB144_2 Depth=1
	v_add_f64 v[12:13], v[12:13], v[14:15]
; %bb.11:                               ;   in Loop: Header=BB144_2 Depth=1
	s_or_b64 exec, exec, s[8:9]
	v_and_b32_e32 v21, 16, v19
	v_mov_b32_dpp v14, v12 row_bcast:15 row_mask:0xf bank_mask:0xf
	v_mov_b32_dpp v15, v13 row_bcast:15 row_mask:0xf bank_mask:0xf
	v_cmp_ne_u32_e64 s[2:3], 0, v21
	s_and_saveexec_b64 s[8:9], s[2:3]
; %bb.12:                               ;   in Loop: Header=BB144_2 Depth=1
	v_add_f64 v[12:13], v[12:13], v[14:15]
; %bb.13:                               ;   in Loop: Header=BB144_2 Depth=1
	s_or_b64 exec, exec, s[8:9]
	s_nop 0
	v_mov_b32_dpp v14, v12 row_bcast:31 row_mask:0xf bank_mask:0xf
	v_mov_b32_dpp v15, v13 row_bcast:31 row_mask:0xf bank_mask:0xf
	v_add_f64 v[14:15], v[12:13], v[14:15]
	v_add_u32_e32 v21, -1, v19
	v_and_b32_e32 v22, 64, v19
	v_cmp_lt_i32_e64 s[2:3], v21, v22
	v_cndmask_b32_e64 v21, v21, v19, s[2:3]
	v_cmp_lt_u32_e64 s[2:3], 31, v19
	v_cndmask_b32_e64 v13, v13, v15, s[2:3]
	v_cndmask_b32_e64 v12, v12, v14, s[2:3]
	v_lshlrev_b32_e32 v14, 2, v21
	ds_bpermute_b32 v12, v14, v12
	ds_bpermute_b32 v13, v14, v13
	s_waitcnt lgkmcnt(0)
	v_add_f64 v[4:5], v[4:5], v[12:13]
	v_cndmask_b32_e64 v5, v5, v11, s[0:1]
	v_cndmask_b32_e64 v4, v4, v10, s[0:1]
	v_add_f64 v[6:7], v[6:7], v[4:5]
	v_add_f64 v[0:1], v[0:1], v[6:7]
	;; [unrolled: 1-line block ×3, first 2 shown]
	ds_write2_b64 v18, v[4:5], v[6:7] offset1:1
	ds_write2_b64 v18, v[0:1], v[2:3] offset0:2 offset1:3
.LBB144_14:                             ;   in Loop: Header=BB144_2 Depth=1
	s_or_b64 exec, exec, s[6:7]
	v_mov_b32_e32 v10, s12
	v_mov_b32_e32 v11, s13
	s_waitcnt lgkmcnt(0)
	s_barrier
	s_and_saveexec_b64 s[2:3], s[4:5]
	s_cbranch_execz .LBB144_1
; %bb.15:                               ;   in Loop: Header=BB144_2 Depth=1
	ds_read_b64 v[0:1], v17
	s_waitcnt lgkmcnt(0)
	v_add_f64 v[10:11], s[12:13], v[0:1]
	s_branch .LBB144_1
.LBB144_16:
	v_mov_b32_e32 v1, s11
	v_add_co_u32_e32 v0, vcc, s10, v8
	v_addc_co_u32_e32 v1, vcc, v1, v9, vcc
	global_store_dwordx2 v[0:1], v[10:11], off
	s_endpgm
	.section	.rodata,"a",@progbits
	.p2align	6, 0x0
	.amdhsa_kernel _Z6kernelI14exclusive_scanILN6hipcub18BlockScanAlgorithmE1EEdLj256ELj1ELj100EEvPKT0_PS4_S4_
		.amdhsa_group_segment_fixed_size 2112
		.amdhsa_private_segment_fixed_size 0
		.amdhsa_kernarg_size 280
		.amdhsa_user_sgpr_count 6
		.amdhsa_user_sgpr_private_segment_buffer 1
		.amdhsa_user_sgpr_dispatch_ptr 0
		.amdhsa_user_sgpr_queue_ptr 0
		.amdhsa_user_sgpr_kernarg_segment_ptr 1
		.amdhsa_user_sgpr_dispatch_id 0
		.amdhsa_user_sgpr_flat_scratch_init 0
		.amdhsa_user_sgpr_private_segment_size 0
		.amdhsa_uses_dynamic_stack 0
		.amdhsa_system_sgpr_private_segment_wavefront_offset 0
		.amdhsa_system_sgpr_workgroup_id_x 1
		.amdhsa_system_sgpr_workgroup_id_y 0
		.amdhsa_system_sgpr_workgroup_id_z 0
		.amdhsa_system_sgpr_workgroup_info 0
		.amdhsa_system_vgpr_workitem_id 0
		.amdhsa_next_free_vgpr 23
		.amdhsa_next_free_sgpr 15
		.amdhsa_reserve_vcc 1
		.amdhsa_reserve_flat_scratch 0
		.amdhsa_float_round_mode_32 0
		.amdhsa_float_round_mode_16_64 0
		.amdhsa_float_denorm_mode_32 3
		.amdhsa_float_denorm_mode_16_64 3
		.amdhsa_dx10_clamp 1
		.amdhsa_ieee_mode 1
		.amdhsa_fp16_overflow 0
		.amdhsa_exception_fp_ieee_invalid_op 0
		.amdhsa_exception_fp_denorm_src 0
		.amdhsa_exception_fp_ieee_div_zero 0
		.amdhsa_exception_fp_ieee_overflow 0
		.amdhsa_exception_fp_ieee_underflow 0
		.amdhsa_exception_fp_ieee_inexact 0
		.amdhsa_exception_int_div_zero 0
	.end_amdhsa_kernel
	.section	.text._Z6kernelI14exclusive_scanILN6hipcub18BlockScanAlgorithmE1EEdLj256ELj1ELj100EEvPKT0_PS4_S4_,"axG",@progbits,_Z6kernelI14exclusive_scanILN6hipcub18BlockScanAlgorithmE1EEdLj256ELj1ELj100EEvPKT0_PS4_S4_,comdat
.Lfunc_end144:
	.size	_Z6kernelI14exclusive_scanILN6hipcub18BlockScanAlgorithmE1EEdLj256ELj1ELj100EEvPKT0_PS4_S4_, .Lfunc_end144-_Z6kernelI14exclusive_scanILN6hipcub18BlockScanAlgorithmE1EEdLj256ELj1ELj100EEvPKT0_PS4_S4_
                                        ; -- End function
	.set _Z6kernelI14exclusive_scanILN6hipcub18BlockScanAlgorithmE1EEdLj256ELj1ELj100EEvPKT0_PS4_S4_.num_vgpr, 23
	.set _Z6kernelI14exclusive_scanILN6hipcub18BlockScanAlgorithmE1EEdLj256ELj1ELj100EEvPKT0_PS4_S4_.num_agpr, 0
	.set _Z6kernelI14exclusive_scanILN6hipcub18BlockScanAlgorithmE1EEdLj256ELj1ELj100EEvPKT0_PS4_S4_.numbered_sgpr, 15
	.set _Z6kernelI14exclusive_scanILN6hipcub18BlockScanAlgorithmE1EEdLj256ELj1ELj100EEvPKT0_PS4_S4_.num_named_barrier, 0
	.set _Z6kernelI14exclusive_scanILN6hipcub18BlockScanAlgorithmE1EEdLj256ELj1ELj100EEvPKT0_PS4_S4_.private_seg_size, 0
	.set _Z6kernelI14exclusive_scanILN6hipcub18BlockScanAlgorithmE1EEdLj256ELj1ELj100EEvPKT0_PS4_S4_.uses_vcc, 1
	.set _Z6kernelI14exclusive_scanILN6hipcub18BlockScanAlgorithmE1EEdLj256ELj1ELj100EEvPKT0_PS4_S4_.uses_flat_scratch, 0
	.set _Z6kernelI14exclusive_scanILN6hipcub18BlockScanAlgorithmE1EEdLj256ELj1ELj100EEvPKT0_PS4_S4_.has_dyn_sized_stack, 0
	.set _Z6kernelI14exclusive_scanILN6hipcub18BlockScanAlgorithmE1EEdLj256ELj1ELj100EEvPKT0_PS4_S4_.has_recursion, 0
	.set _Z6kernelI14exclusive_scanILN6hipcub18BlockScanAlgorithmE1EEdLj256ELj1ELj100EEvPKT0_PS4_S4_.has_indirect_call, 0
	.section	.AMDGPU.csdata,"",@progbits
; Kernel info:
; codeLenInByte = 724
; TotalNumSgprs: 19
; NumVgprs: 23
; ScratchSize: 0
; MemoryBound: 0
; FloatMode: 240
; IeeeMode: 1
; LDSByteSize: 2112 bytes/workgroup (compile time only)
; SGPRBlocks: 2
; VGPRBlocks: 5
; NumSGPRsForWavesPerEU: 19
; NumVGPRsForWavesPerEU: 23
; Occupancy: 10
; WaveLimiterHint : 0
; COMPUTE_PGM_RSRC2:SCRATCH_EN: 0
; COMPUTE_PGM_RSRC2:USER_SGPR: 6
; COMPUTE_PGM_RSRC2:TRAP_HANDLER: 0
; COMPUTE_PGM_RSRC2:TGID_X_EN: 1
; COMPUTE_PGM_RSRC2:TGID_Y_EN: 0
; COMPUTE_PGM_RSRC2:TGID_Z_EN: 0
; COMPUTE_PGM_RSRC2:TIDIG_COMP_CNT: 0
	.section	.text._Z6kernelI14exclusive_scanILN6hipcub18BlockScanAlgorithmE1EEdLj256ELj3ELj100EEvPKT0_PS4_S4_,"axG",@progbits,_Z6kernelI14exclusive_scanILN6hipcub18BlockScanAlgorithmE1EEdLj256ELj3ELj100EEvPKT0_PS4_S4_,comdat
	.protected	_Z6kernelI14exclusive_scanILN6hipcub18BlockScanAlgorithmE1EEdLj256ELj3ELj100EEvPKT0_PS4_S4_ ; -- Begin function _Z6kernelI14exclusive_scanILN6hipcub18BlockScanAlgorithmE1EEdLj256ELj3ELj100EEvPKT0_PS4_S4_
	.globl	_Z6kernelI14exclusive_scanILN6hipcub18BlockScanAlgorithmE1EEdLj256ELj3ELj100EEvPKT0_PS4_S4_
	.p2align	8
	.type	_Z6kernelI14exclusive_scanILN6hipcub18BlockScanAlgorithmE1EEdLj256ELj3ELj100EEvPKT0_PS4_S4_,@function
_Z6kernelI14exclusive_scanILN6hipcub18BlockScanAlgorithmE1EEdLj256ELj3ELj100EEvPKT0_PS4_S4_: ; @_Z6kernelI14exclusive_scanILN6hipcub18BlockScanAlgorithmE1EEdLj256ELj3ELj100EEvPKT0_PS4_S4_
; %bb.0:
	s_load_dword s0, s[4:5], 0x24
	s_load_dwordx4 s[8:11], s[4:5], 0x0
	s_load_dwordx2 s[12:13], s[4:5], 0x10
	v_mov_b32_e32 v2, 0
	v_mov_b32_e32 v6, v2
	s_waitcnt lgkmcnt(0)
	s_and_b32 s0, s0, 0xffff
	s_mul_i32 s6, s6, s0
	v_add_u32_e32 v1, s6, v0
	v_lshl_add_u32 v1, v1, 1, v1
	v_lshlrev_b64 v[8:9], 3, v[1:2]
	v_add_u32_e32 v5, 1, v1
	v_mov_b32_e32 v4, s9
	v_add_co_u32_e32 v3, vcc, s8, v8
	v_lshlrev_b64 v[10:11], 3, v[5:6]
	v_addc_co_u32_e32 v4, vcc, v4, v9, vcc
	v_add_u32_e32 v1, 2, v1
	v_mov_b32_e32 v6, s9
	v_add_co_u32_e32 v5, vcc, s8, v10
	v_lshlrev_b64 v[12:13], 3, v[1:2]
	v_addc_co_u32_e32 v6, vcc, v6, v11, vcc
	v_mov_b32_e32 v1, s9
	v_add_co_u32_e32 v18, vcc, s8, v12
	v_addc_co_u32_e32 v19, vcc, v1, v13, vcc
	global_load_dwordx2 v[14:15], v[3:4], off
	global_load_dwordx2 v[16:17], v[5:6], off
	;; [unrolled: 1-line block ×3, first 2 shown]
	v_lshrrev_b32_e32 v3, 2, v0
	v_and_b32_e32 v3, 56, v3
	v_lshl_add_u32 v24, v0, 3, v3
	v_subrev_co_u32_e64 v3, s[0:1], 1, v0
	v_cmp_gt_u32_e32 vcc, 64, v0
	v_and_b32_e32 v4, 0xf8, v0
	v_lshlrev_b32_e32 v0, 5, v0
	v_lshrrev_b32_e32 v5, 2, v3
	v_and_b32_e32 v5, 0x3ffffff8, v5
	v_add_u32_e32 v26, v4, v0
	v_mbcnt_lo_u32_b32 v0, -1, 0
	s_xor_b64 s[4:5], s[0:1], -1
	v_lshl_add_u32 v25, v3, 3, v5
	s_movk_i32 s14, 0x64
	v_mbcnt_hi_u32_b32 v27, -1, v0
.LBB145_1:                              ; =>This Inner Loop Header: Depth=1
	s_waitcnt vmcnt(1)
	v_add_f64 v[3:4], v[14:15], v[16:17]
	s_waitcnt vmcnt(0)
	v_add_f64 v[18:19], v[1:2], v[3:4]
	ds_write_b64 v24, v[18:19]
	s_waitcnt lgkmcnt(0)
	s_barrier
	s_and_saveexec_b64 s[6:7], vcc
	s_cbranch_execz .LBB145_13
; %bb.2:                                ;   in Loop: Header=BB145_1 Depth=1
	ds_read2_b64 v[4:7], v26 offset1:1
	ds_read2_b64 v[0:3], v26 offset0:2 offset1:3
	v_and_b32_e32 v28, 15, v27
	v_cmp_ne_u32_e64 s[2:3], 0, v28
	s_waitcnt lgkmcnt(1)
	v_add_f64 v[20:21], v[4:5], v[6:7]
	s_waitcnt lgkmcnt(0)
	v_add_f64 v[20:21], v[20:21], v[0:1]
	v_add_f64 v[20:21], v[20:21], v[2:3]
	s_nop 1
	v_mov_b32_dpp v22, v20 row_shr:1 row_mask:0xf bank_mask:0xf
	v_mov_b32_dpp v23, v21 row_shr:1 row_mask:0xf bank_mask:0xf
	s_and_saveexec_b64 s[8:9], s[2:3]
; %bb.3:                                ;   in Loop: Header=BB145_1 Depth=1
	v_add_f64 v[20:21], v[20:21], v[22:23]
; %bb.4:                                ;   in Loop: Header=BB145_1 Depth=1
	s_or_b64 exec, exec, s[8:9]
	s_nop 0
	v_mov_b32_dpp v22, v20 row_shr:2 row_mask:0xf bank_mask:0xf
	v_mov_b32_dpp v23, v21 row_shr:2 row_mask:0xf bank_mask:0xf
	v_cmp_lt_u32_e64 s[2:3], 1, v28
	s_and_saveexec_b64 s[8:9], s[2:3]
; %bb.5:                                ;   in Loop: Header=BB145_1 Depth=1
	v_add_f64 v[20:21], v[20:21], v[22:23]
; %bb.6:                                ;   in Loop: Header=BB145_1 Depth=1
	s_or_b64 exec, exec, s[8:9]
	s_nop 0
	v_mov_b32_dpp v22, v20 row_shr:4 row_mask:0xf bank_mask:0xf
	v_mov_b32_dpp v23, v21 row_shr:4 row_mask:0xf bank_mask:0xf
	v_cmp_lt_u32_e64 s[2:3], 3, v28
	;; [unrolled: 9-line block ×3, first 2 shown]
	s_and_saveexec_b64 s[8:9], s[2:3]
; %bb.9:                                ;   in Loop: Header=BB145_1 Depth=1
	v_add_f64 v[20:21], v[20:21], v[22:23]
; %bb.10:                               ;   in Loop: Header=BB145_1 Depth=1
	s_or_b64 exec, exec, s[8:9]
	v_and_b32_e32 v28, 16, v27
	v_mov_b32_dpp v22, v20 row_bcast:15 row_mask:0xf bank_mask:0xf
	v_mov_b32_dpp v23, v21 row_bcast:15 row_mask:0xf bank_mask:0xf
	v_cmp_ne_u32_e64 s[2:3], 0, v28
	s_and_saveexec_b64 s[8:9], s[2:3]
; %bb.11:                               ;   in Loop: Header=BB145_1 Depth=1
	v_add_f64 v[20:21], v[20:21], v[22:23]
; %bb.12:                               ;   in Loop: Header=BB145_1 Depth=1
	s_or_b64 exec, exec, s[8:9]
	s_nop 0
	v_mov_b32_dpp v22, v20 row_bcast:31 row_mask:0xf bank_mask:0xf
	v_mov_b32_dpp v23, v21 row_bcast:31 row_mask:0xf bank_mask:0xf
	v_add_f64 v[22:23], v[20:21], v[22:23]
	v_add_u32_e32 v28, -1, v27
	v_and_b32_e32 v29, 64, v27
	v_cmp_lt_i32_e64 s[2:3], v28, v29
	v_cndmask_b32_e64 v28, v28, v27, s[2:3]
	v_cmp_lt_u32_e64 s[2:3], 31, v27
	v_cndmask_b32_e64 v21, v21, v23, s[2:3]
	v_cndmask_b32_e64 v20, v20, v22, s[2:3]
	v_lshlrev_b32_e32 v22, 2, v28
	ds_bpermute_b32 v20, v22, v20
	ds_bpermute_b32 v21, v22, v21
	s_waitcnt lgkmcnt(0)
	v_add_f64 v[4:5], v[4:5], v[20:21]
	v_cndmask_b32_e64 v5, v5, v19, s[0:1]
	v_cndmask_b32_e64 v4, v4, v18, s[0:1]
	v_add_f64 v[6:7], v[6:7], v[4:5]
	v_add_f64 v[0:1], v[0:1], v[6:7]
	;; [unrolled: 1-line block ×3, first 2 shown]
	ds_write2_b64 v26, v[4:5], v[6:7] offset1:1
	ds_write2_b64 v26, v[0:1], v[2:3] offset0:2 offset1:3
.LBB145_13:                             ;   in Loop: Header=BB145_1 Depth=1
	s_or_b64 exec, exec, s[6:7]
	v_mov_b32_e32 v3, s12
	v_mov_b32_e32 v4, s13
	s_waitcnt lgkmcnt(0)
	s_barrier
	s_and_saveexec_b64 s[2:3], s[4:5]
	s_cbranch_execz .LBB145_15
; %bb.14:                               ;   in Loop: Header=BB145_1 Depth=1
	ds_read_b64 v[0:1], v25
	s_waitcnt lgkmcnt(0)
	v_add_f64 v[3:4], s[12:13], v[0:1]
.LBB145_15:                             ;   in Loop: Header=BB145_1 Depth=1
	s_or_b64 exec, exec, s[2:3]
	v_add_f64 v[5:6], v[14:15], v[3:4]
	s_add_i32 s14, s14, -1
	s_cmp_lg_u32 s14, 0
	v_add_f64 v[1:2], v[16:17], v[5:6]
	s_cbranch_scc0 .LBB145_17
; %bb.16:                               ;   in Loop: Header=BB145_1 Depth=1
	v_mov_b32_e32 v15, v4
	v_mov_b32_e32 v17, v6
	v_mov_b32_e32 v14, v3
	v_mov_b32_e32 v16, v5
	s_branch .LBB145_1
.LBB145_17:
	v_mov_b32_e32 v0, s11
	v_add_co_u32_e32 v7, vcc, s10, v8
	v_addc_co_u32_e32 v8, vcc, v0, v9, vcc
	global_store_dwordx2 v[7:8], v[3:4], off
	v_add_co_u32_e32 v3, vcc, s10, v10
	v_addc_co_u32_e32 v4, vcc, v0, v11, vcc
	global_store_dwordx2 v[3:4], v[5:6], off
	;; [unrolled: 3-line block ×3, first 2 shown]
	s_endpgm
	.section	.rodata,"a",@progbits
	.p2align	6, 0x0
	.amdhsa_kernel _Z6kernelI14exclusive_scanILN6hipcub18BlockScanAlgorithmE1EEdLj256ELj3ELj100EEvPKT0_PS4_S4_
		.amdhsa_group_segment_fixed_size 2112
		.amdhsa_private_segment_fixed_size 0
		.amdhsa_kernarg_size 280
		.amdhsa_user_sgpr_count 6
		.amdhsa_user_sgpr_private_segment_buffer 1
		.amdhsa_user_sgpr_dispatch_ptr 0
		.amdhsa_user_sgpr_queue_ptr 0
		.amdhsa_user_sgpr_kernarg_segment_ptr 1
		.amdhsa_user_sgpr_dispatch_id 0
		.amdhsa_user_sgpr_flat_scratch_init 0
		.amdhsa_user_sgpr_private_segment_size 0
		.amdhsa_uses_dynamic_stack 0
		.amdhsa_system_sgpr_private_segment_wavefront_offset 0
		.amdhsa_system_sgpr_workgroup_id_x 1
		.amdhsa_system_sgpr_workgroup_id_y 0
		.amdhsa_system_sgpr_workgroup_id_z 0
		.amdhsa_system_sgpr_workgroup_info 0
		.amdhsa_system_vgpr_workitem_id 0
		.amdhsa_next_free_vgpr 30
		.amdhsa_next_free_sgpr 15
		.amdhsa_reserve_vcc 1
		.amdhsa_reserve_flat_scratch 0
		.amdhsa_float_round_mode_32 0
		.amdhsa_float_round_mode_16_64 0
		.amdhsa_float_denorm_mode_32 3
		.amdhsa_float_denorm_mode_16_64 3
		.amdhsa_dx10_clamp 1
		.amdhsa_ieee_mode 1
		.amdhsa_fp16_overflow 0
		.amdhsa_exception_fp_ieee_invalid_op 0
		.amdhsa_exception_fp_denorm_src 0
		.amdhsa_exception_fp_ieee_div_zero 0
		.amdhsa_exception_fp_ieee_overflow 0
		.amdhsa_exception_fp_ieee_underflow 0
		.amdhsa_exception_fp_ieee_inexact 0
		.amdhsa_exception_int_div_zero 0
	.end_amdhsa_kernel
	.section	.text._Z6kernelI14exclusive_scanILN6hipcub18BlockScanAlgorithmE1EEdLj256ELj3ELj100EEvPKT0_PS4_S4_,"axG",@progbits,_Z6kernelI14exclusive_scanILN6hipcub18BlockScanAlgorithmE1EEdLj256ELj3ELj100EEvPKT0_PS4_S4_,comdat
.Lfunc_end145:
	.size	_Z6kernelI14exclusive_scanILN6hipcub18BlockScanAlgorithmE1EEdLj256ELj3ELj100EEvPKT0_PS4_S4_, .Lfunc_end145-_Z6kernelI14exclusive_scanILN6hipcub18BlockScanAlgorithmE1EEdLj256ELj3ELj100EEvPKT0_PS4_S4_
                                        ; -- End function
	.set _Z6kernelI14exclusive_scanILN6hipcub18BlockScanAlgorithmE1EEdLj256ELj3ELj100EEvPKT0_PS4_S4_.num_vgpr, 30
	.set _Z6kernelI14exclusive_scanILN6hipcub18BlockScanAlgorithmE1EEdLj256ELj3ELj100EEvPKT0_PS4_S4_.num_agpr, 0
	.set _Z6kernelI14exclusive_scanILN6hipcub18BlockScanAlgorithmE1EEdLj256ELj3ELj100EEvPKT0_PS4_S4_.numbered_sgpr, 15
	.set _Z6kernelI14exclusive_scanILN6hipcub18BlockScanAlgorithmE1EEdLj256ELj3ELj100EEvPKT0_PS4_S4_.num_named_barrier, 0
	.set _Z6kernelI14exclusive_scanILN6hipcub18BlockScanAlgorithmE1EEdLj256ELj3ELj100EEvPKT0_PS4_S4_.private_seg_size, 0
	.set _Z6kernelI14exclusive_scanILN6hipcub18BlockScanAlgorithmE1EEdLj256ELj3ELj100EEvPKT0_PS4_S4_.uses_vcc, 1
	.set _Z6kernelI14exclusive_scanILN6hipcub18BlockScanAlgorithmE1EEdLj256ELj3ELj100EEvPKT0_PS4_S4_.uses_flat_scratch, 0
	.set _Z6kernelI14exclusive_scanILN6hipcub18BlockScanAlgorithmE1EEdLj256ELj3ELj100EEvPKT0_PS4_S4_.has_dyn_sized_stack, 0
	.set _Z6kernelI14exclusive_scanILN6hipcub18BlockScanAlgorithmE1EEdLj256ELj3ELj100EEvPKT0_PS4_S4_.has_recursion, 0
	.set _Z6kernelI14exclusive_scanILN6hipcub18BlockScanAlgorithmE1EEdLj256ELj3ELj100EEvPKT0_PS4_S4_.has_indirect_call, 0
	.section	.AMDGPU.csdata,"",@progbits
; Kernel info:
; codeLenInByte = 880
; TotalNumSgprs: 19
; NumVgprs: 30
; ScratchSize: 0
; MemoryBound: 0
; FloatMode: 240
; IeeeMode: 1
; LDSByteSize: 2112 bytes/workgroup (compile time only)
; SGPRBlocks: 2
; VGPRBlocks: 7
; NumSGPRsForWavesPerEU: 19
; NumVGPRsForWavesPerEU: 30
; Occupancy: 8
; WaveLimiterHint : 0
; COMPUTE_PGM_RSRC2:SCRATCH_EN: 0
; COMPUTE_PGM_RSRC2:USER_SGPR: 6
; COMPUTE_PGM_RSRC2:TRAP_HANDLER: 0
; COMPUTE_PGM_RSRC2:TGID_X_EN: 1
; COMPUTE_PGM_RSRC2:TGID_Y_EN: 0
; COMPUTE_PGM_RSRC2:TGID_Z_EN: 0
; COMPUTE_PGM_RSRC2:TIDIG_COMP_CNT: 0
	.section	.text._Z6kernelI14exclusive_scanILN6hipcub18BlockScanAlgorithmE1EEdLj256ELj4ELj100EEvPKT0_PS4_S4_,"axG",@progbits,_Z6kernelI14exclusive_scanILN6hipcub18BlockScanAlgorithmE1EEdLj256ELj4ELj100EEvPKT0_PS4_S4_,comdat
	.protected	_Z6kernelI14exclusive_scanILN6hipcub18BlockScanAlgorithmE1EEdLj256ELj4ELj100EEvPKT0_PS4_S4_ ; -- Begin function _Z6kernelI14exclusive_scanILN6hipcub18BlockScanAlgorithmE1EEdLj256ELj4ELj100EEvPKT0_PS4_S4_
	.globl	_Z6kernelI14exclusive_scanILN6hipcub18BlockScanAlgorithmE1EEdLj256ELj4ELj100EEvPKT0_PS4_S4_
	.p2align	8
	.type	_Z6kernelI14exclusive_scanILN6hipcub18BlockScanAlgorithmE1EEdLj256ELj4ELj100EEvPKT0_PS4_S4_,@function
_Z6kernelI14exclusive_scanILN6hipcub18BlockScanAlgorithmE1EEdLj256ELj4ELj100EEvPKT0_PS4_S4_: ; @_Z6kernelI14exclusive_scanILN6hipcub18BlockScanAlgorithmE1EEdLj256ELj4ELj100EEvPKT0_PS4_S4_
; %bb.0:
	s_load_dword s0, s[4:5], 0x24
	s_load_dwordx4 s[8:11], s[4:5], 0x0
	s_load_dwordx2 s[12:13], s[4:5], 0x10
	v_mov_b32_e32 v2, 0
	v_lshlrev_b32_e32 v11, 5, v0
	s_waitcnt lgkmcnt(0)
	s_and_b32 s0, s0, 0xffff
	s_mul_i32 s6, s6, s0
	v_add_lshl_u32 v1, s6, v0, 2
	v_lshlrev_b64 v[17:18], 3, v[1:2]
	v_mov_b32_e32 v1, s9
	v_add_co_u32_e32 v9, vcc, s8, v17
	v_addc_co_u32_e32 v10, vcc, v1, v18, vcc
	global_load_dwordx4 v[1:4], v[9:10], off offset:16
	global_load_dwordx4 v[5:8], v[9:10], off
	v_lshrrev_b32_e32 v9, 2, v0
	v_and_b32_e32 v9, 56, v9
	v_lshl_add_u32 v23, v0, 3, v9
	v_subrev_co_u32_e64 v9, s[0:1], 1, v0
	v_cmp_gt_u32_e32 vcc, 64, v0
	v_and_b32_e32 v10, 0xf8, v0
	v_lshrrev_b32_e32 v0, 2, v9
	v_and_b32_e32 v0, 0x3ffffff8, v0
	v_lshl_add_u32 v0, v9, 3, v0
	v_mbcnt_lo_u32_b32 v9, -1, 0
	s_xor_b64 s[4:5], s[0:1], -1
	s_movk_i32 s14, 0x64
	v_add_u32_e32 v24, v10, v11
	v_mbcnt_hi_u32_b32 v25, -1, v9
.LBB146_1:                              ; =>This Inner Loop Header: Depth=1
	s_waitcnt vmcnt(0)
	v_add_f64 v[9:10], v[5:6], v[7:8]
	v_add_f64 v[9:10], v[1:2], v[9:10]
	;; [unrolled: 1-line block ×3, first 2 shown]
	ds_write_b64 v23, v[3:4]
	s_waitcnt lgkmcnt(0)
	s_barrier
	s_and_saveexec_b64 s[6:7], vcc
	s_cbranch_execz .LBB146_13
; %bb.2:                                ;   in Loop: Header=BB146_1 Depth=1
	ds_read2_b64 v[13:16], v24 offset1:1
	ds_read2_b64 v[9:12], v24 offset0:2 offset1:3
	v_and_b32_e32 v26, 15, v25
	v_cmp_ne_u32_e64 s[2:3], 0, v26
	s_waitcnt lgkmcnt(1)
	v_add_f64 v[19:20], v[13:14], v[15:16]
	s_waitcnt lgkmcnt(0)
	v_add_f64 v[19:20], v[19:20], v[9:10]
	v_add_f64 v[19:20], v[19:20], v[11:12]
	s_nop 1
	v_mov_b32_dpp v21, v19 row_shr:1 row_mask:0xf bank_mask:0xf
	v_mov_b32_dpp v22, v20 row_shr:1 row_mask:0xf bank_mask:0xf
	s_and_saveexec_b64 s[8:9], s[2:3]
; %bb.3:                                ;   in Loop: Header=BB146_1 Depth=1
	v_add_f64 v[19:20], v[19:20], v[21:22]
; %bb.4:                                ;   in Loop: Header=BB146_1 Depth=1
	s_or_b64 exec, exec, s[8:9]
	s_nop 0
	v_mov_b32_dpp v21, v19 row_shr:2 row_mask:0xf bank_mask:0xf
	v_mov_b32_dpp v22, v20 row_shr:2 row_mask:0xf bank_mask:0xf
	v_cmp_lt_u32_e64 s[2:3], 1, v26
	s_and_saveexec_b64 s[8:9], s[2:3]
; %bb.5:                                ;   in Loop: Header=BB146_1 Depth=1
	v_add_f64 v[19:20], v[19:20], v[21:22]
; %bb.6:                                ;   in Loop: Header=BB146_1 Depth=1
	s_or_b64 exec, exec, s[8:9]
	s_nop 0
	v_mov_b32_dpp v21, v19 row_shr:4 row_mask:0xf bank_mask:0xf
	v_mov_b32_dpp v22, v20 row_shr:4 row_mask:0xf bank_mask:0xf
	v_cmp_lt_u32_e64 s[2:3], 3, v26
	s_and_saveexec_b64 s[8:9], s[2:3]
; %bb.7:                                ;   in Loop: Header=BB146_1 Depth=1
	v_add_f64 v[19:20], v[19:20], v[21:22]
; %bb.8:                                ;   in Loop: Header=BB146_1 Depth=1
	s_or_b64 exec, exec, s[8:9]
	s_nop 0
	v_mov_b32_dpp v21, v19 row_shr:8 row_mask:0xf bank_mask:0xf
	v_mov_b32_dpp v22, v20 row_shr:8 row_mask:0xf bank_mask:0xf
	v_cmp_lt_u32_e64 s[2:3], 7, v26
	s_and_saveexec_b64 s[8:9], s[2:3]
; %bb.9:                                ;   in Loop: Header=BB146_1 Depth=1
	v_add_f64 v[19:20], v[19:20], v[21:22]
; %bb.10:                               ;   in Loop: Header=BB146_1 Depth=1
	s_or_b64 exec, exec, s[8:9]
	v_and_b32_e32 v26, 16, v25
	v_mov_b32_dpp v21, v19 row_bcast:15 row_mask:0xf bank_mask:0xf
	v_mov_b32_dpp v22, v20 row_bcast:15 row_mask:0xf bank_mask:0xf
	v_cmp_ne_u32_e64 s[2:3], 0, v26
	s_and_saveexec_b64 s[8:9], s[2:3]
; %bb.11:                               ;   in Loop: Header=BB146_1 Depth=1
	v_add_f64 v[19:20], v[19:20], v[21:22]
; %bb.12:                               ;   in Loop: Header=BB146_1 Depth=1
	s_or_b64 exec, exec, s[8:9]
	s_nop 0
	v_mov_b32_dpp v21, v19 row_bcast:31 row_mask:0xf bank_mask:0xf
	v_mov_b32_dpp v22, v20 row_bcast:31 row_mask:0xf bank_mask:0xf
	v_add_f64 v[21:22], v[19:20], v[21:22]
	v_add_u32_e32 v26, -1, v25
	v_and_b32_e32 v27, 64, v25
	v_cmp_lt_i32_e64 s[2:3], v26, v27
	v_cndmask_b32_e64 v26, v26, v25, s[2:3]
	v_cmp_lt_u32_e64 s[2:3], 31, v25
	v_cndmask_b32_e64 v20, v20, v22, s[2:3]
	v_cndmask_b32_e64 v19, v19, v21, s[2:3]
	v_lshlrev_b32_e32 v21, 2, v26
	ds_bpermute_b32 v19, v21, v19
	ds_bpermute_b32 v20, v21, v20
	s_waitcnt lgkmcnt(0)
	v_add_f64 v[13:14], v[13:14], v[19:20]
	v_cndmask_b32_e64 v4, v14, v4, s[0:1]
	v_cndmask_b32_e64 v3, v13, v3, s[0:1]
	v_add_f64 v[13:14], v[15:16], v[3:4]
	v_add_f64 v[9:10], v[9:10], v[13:14]
	;; [unrolled: 1-line block ×3, first 2 shown]
	ds_write2_b64 v24, v[3:4], v[13:14] offset1:1
	ds_write2_b64 v24, v[9:10], v[11:12] offset0:2 offset1:3
.LBB146_13:                             ;   in Loop: Header=BB146_1 Depth=1
	s_or_b64 exec, exec, s[6:7]
	v_mov_b32_e32 v9, s12
	v_mov_b32_e32 v10, s13
	s_waitcnt lgkmcnt(0)
	s_barrier
	s_and_saveexec_b64 s[2:3], s[4:5]
	s_cbranch_execz .LBB146_15
; %bb.14:                               ;   in Loop: Header=BB146_1 Depth=1
	ds_read_b64 v[3:4], v0
	s_waitcnt lgkmcnt(0)
	v_add_f64 v[9:10], s[12:13], v[3:4]
.LBB146_15:                             ;   in Loop: Header=BB146_1 Depth=1
	s_or_b64 exec, exec, s[2:3]
	v_add_f64 v[11:12], v[5:6], v[9:10]
	s_add_i32 s14, s14, -1
	s_cmp_lg_u32 s14, 0
	v_add_f64 v[13:14], v[7:8], v[11:12]
	v_add_f64 v[3:4], v[1:2], v[13:14]
	s_cbranch_scc0 .LBB146_17
; %bb.16:                               ;   in Loop: Header=BB146_1 Depth=1
	v_mov_b32_e32 v5, v9
	v_mov_b32_e32 v7, v11
	;; [unrolled: 1-line block ×6, first 2 shown]
	s_branch .LBB146_1
.LBB146_17:
	v_mov_b32_e32 v1, s11
	v_add_co_u32_e32 v0, vcc, s10, v17
	v_addc_co_u32_e32 v1, vcc, v1, v18, vcc
	v_mov_b32_e32 v15, v3
	v_mov_b32_e32 v16, v4
	global_store_dwordx4 v[0:1], v[9:12], off
	global_store_dwordx4 v[0:1], v[13:16], off offset:16
	s_endpgm
	.section	.rodata,"a",@progbits
	.p2align	6, 0x0
	.amdhsa_kernel _Z6kernelI14exclusive_scanILN6hipcub18BlockScanAlgorithmE1EEdLj256ELj4ELj100EEvPKT0_PS4_S4_
		.amdhsa_group_segment_fixed_size 2112
		.amdhsa_private_segment_fixed_size 0
		.amdhsa_kernarg_size 280
		.amdhsa_user_sgpr_count 6
		.amdhsa_user_sgpr_private_segment_buffer 1
		.amdhsa_user_sgpr_dispatch_ptr 0
		.amdhsa_user_sgpr_queue_ptr 0
		.amdhsa_user_sgpr_kernarg_segment_ptr 1
		.amdhsa_user_sgpr_dispatch_id 0
		.amdhsa_user_sgpr_flat_scratch_init 0
		.amdhsa_user_sgpr_private_segment_size 0
		.amdhsa_uses_dynamic_stack 0
		.amdhsa_system_sgpr_private_segment_wavefront_offset 0
		.amdhsa_system_sgpr_workgroup_id_x 1
		.amdhsa_system_sgpr_workgroup_id_y 0
		.amdhsa_system_sgpr_workgroup_id_z 0
		.amdhsa_system_sgpr_workgroup_info 0
		.amdhsa_system_vgpr_workitem_id 0
		.amdhsa_next_free_vgpr 28
		.amdhsa_next_free_sgpr 15
		.amdhsa_reserve_vcc 1
		.amdhsa_reserve_flat_scratch 0
		.amdhsa_float_round_mode_32 0
		.amdhsa_float_round_mode_16_64 0
		.amdhsa_float_denorm_mode_32 3
		.amdhsa_float_denorm_mode_16_64 3
		.amdhsa_dx10_clamp 1
		.amdhsa_ieee_mode 1
		.amdhsa_fp16_overflow 0
		.amdhsa_exception_fp_ieee_invalid_op 0
		.amdhsa_exception_fp_denorm_src 0
		.amdhsa_exception_fp_ieee_div_zero 0
		.amdhsa_exception_fp_ieee_overflow 0
		.amdhsa_exception_fp_ieee_underflow 0
		.amdhsa_exception_fp_ieee_inexact 0
		.amdhsa_exception_int_div_zero 0
	.end_amdhsa_kernel
	.section	.text._Z6kernelI14exclusive_scanILN6hipcub18BlockScanAlgorithmE1EEdLj256ELj4ELj100EEvPKT0_PS4_S4_,"axG",@progbits,_Z6kernelI14exclusive_scanILN6hipcub18BlockScanAlgorithmE1EEdLj256ELj4ELj100EEvPKT0_PS4_S4_,comdat
.Lfunc_end146:
	.size	_Z6kernelI14exclusive_scanILN6hipcub18BlockScanAlgorithmE1EEdLj256ELj4ELj100EEvPKT0_PS4_S4_, .Lfunc_end146-_Z6kernelI14exclusive_scanILN6hipcub18BlockScanAlgorithmE1EEdLj256ELj4ELj100EEvPKT0_PS4_S4_
                                        ; -- End function
	.set _Z6kernelI14exclusive_scanILN6hipcub18BlockScanAlgorithmE1EEdLj256ELj4ELj100EEvPKT0_PS4_S4_.num_vgpr, 28
	.set _Z6kernelI14exclusive_scanILN6hipcub18BlockScanAlgorithmE1EEdLj256ELj4ELj100EEvPKT0_PS4_S4_.num_agpr, 0
	.set _Z6kernelI14exclusive_scanILN6hipcub18BlockScanAlgorithmE1EEdLj256ELj4ELj100EEvPKT0_PS4_S4_.numbered_sgpr, 15
	.set _Z6kernelI14exclusive_scanILN6hipcub18BlockScanAlgorithmE1EEdLj256ELj4ELj100EEvPKT0_PS4_S4_.num_named_barrier, 0
	.set _Z6kernelI14exclusive_scanILN6hipcub18BlockScanAlgorithmE1EEdLj256ELj4ELj100EEvPKT0_PS4_S4_.private_seg_size, 0
	.set _Z6kernelI14exclusive_scanILN6hipcub18BlockScanAlgorithmE1EEdLj256ELj4ELj100EEvPKT0_PS4_S4_.uses_vcc, 1
	.set _Z6kernelI14exclusive_scanILN6hipcub18BlockScanAlgorithmE1EEdLj256ELj4ELj100EEvPKT0_PS4_S4_.uses_flat_scratch, 0
	.set _Z6kernelI14exclusive_scanILN6hipcub18BlockScanAlgorithmE1EEdLj256ELj4ELj100EEvPKT0_PS4_S4_.has_dyn_sized_stack, 0
	.set _Z6kernelI14exclusive_scanILN6hipcub18BlockScanAlgorithmE1EEdLj256ELj4ELj100EEvPKT0_PS4_S4_.has_recursion, 0
	.set _Z6kernelI14exclusive_scanILN6hipcub18BlockScanAlgorithmE1EEdLj256ELj4ELj100EEvPKT0_PS4_S4_.has_indirect_call, 0
	.section	.AMDGPU.csdata,"",@progbits
; Kernel info:
; codeLenInByte = 820
; TotalNumSgprs: 19
; NumVgprs: 28
; ScratchSize: 0
; MemoryBound: 0
; FloatMode: 240
; IeeeMode: 1
; LDSByteSize: 2112 bytes/workgroup (compile time only)
; SGPRBlocks: 2
; VGPRBlocks: 6
; NumSGPRsForWavesPerEU: 19
; NumVGPRsForWavesPerEU: 28
; Occupancy: 9
; WaveLimiterHint : 0
; COMPUTE_PGM_RSRC2:SCRATCH_EN: 0
; COMPUTE_PGM_RSRC2:USER_SGPR: 6
; COMPUTE_PGM_RSRC2:TRAP_HANDLER: 0
; COMPUTE_PGM_RSRC2:TGID_X_EN: 1
; COMPUTE_PGM_RSRC2:TGID_Y_EN: 0
; COMPUTE_PGM_RSRC2:TGID_Z_EN: 0
; COMPUTE_PGM_RSRC2:TIDIG_COMP_CNT: 0
	.section	.text._Z6kernelI14exclusive_scanILN6hipcub18BlockScanAlgorithmE1EEdLj256ELj8ELj100EEvPKT0_PS4_S4_,"axG",@progbits,_Z6kernelI14exclusive_scanILN6hipcub18BlockScanAlgorithmE1EEdLj256ELj8ELj100EEvPKT0_PS4_S4_,comdat
	.protected	_Z6kernelI14exclusive_scanILN6hipcub18BlockScanAlgorithmE1EEdLj256ELj8ELj100EEvPKT0_PS4_S4_ ; -- Begin function _Z6kernelI14exclusive_scanILN6hipcub18BlockScanAlgorithmE1EEdLj256ELj8ELj100EEvPKT0_PS4_S4_
	.globl	_Z6kernelI14exclusive_scanILN6hipcub18BlockScanAlgorithmE1EEdLj256ELj8ELj100EEvPKT0_PS4_S4_
	.p2align	8
	.type	_Z6kernelI14exclusive_scanILN6hipcub18BlockScanAlgorithmE1EEdLj256ELj8ELj100EEvPKT0_PS4_S4_,@function
_Z6kernelI14exclusive_scanILN6hipcub18BlockScanAlgorithmE1EEdLj256ELj8ELj100EEvPKT0_PS4_S4_: ; @_Z6kernelI14exclusive_scanILN6hipcub18BlockScanAlgorithmE1EEdLj256ELj8ELj100EEvPKT0_PS4_S4_
; %bb.0:
	s_load_dword s0, s[4:5], 0x24
	s_load_dwordx4 s[8:11], s[4:5], 0x0
	s_load_dwordx2 s[12:13], s[4:5], 0x10
	v_mov_b32_e32 v2, 0
	v_lshlrev_b32_e32 v19, 5, v0
	s_waitcnt lgkmcnt(0)
	s_and_b32 s0, s0, 0xffff
	s_mul_i32 s6, s6, s0
	v_add_lshl_u32 v1, s6, v0, 3
	v_lshlrev_b64 v[25:26], 3, v[1:2]
	v_mov_b32_e32 v1, s9
	v_add_co_u32_e32 v17, vcc, s8, v25
	v_addc_co_u32_e32 v18, vcc, v1, v26, vcc
	global_load_dwordx4 v[1:4], v[17:18], off offset:48
	global_load_dwordx4 v[5:8], v[17:18], off offset:32
	;; [unrolled: 1-line block ×3, first 2 shown]
	global_load_dwordx4 v[13:16], v[17:18], off
	v_lshrrev_b32_e32 v17, 2, v0
	v_and_b32_e32 v17, 56, v17
	v_lshl_add_u32 v31, v0, 3, v17
	v_subrev_co_u32_e64 v17, s[0:1], 1, v0
	v_cmp_gt_u32_e32 vcc, 64, v0
	v_and_b32_e32 v18, 0xf8, v0
	v_lshrrev_b32_e32 v0, 2, v17
	v_and_b32_e32 v0, 0x3ffffff8, v0
	v_lshl_add_u32 v0, v17, 3, v0
	v_mbcnt_lo_u32_b32 v17, -1, 0
	s_xor_b64 s[4:5], s[0:1], -1
	s_movk_i32 s14, 0x64
	v_add_u32_e32 v32, v18, v19
	v_mbcnt_hi_u32_b32 v33, -1, v17
.LBB147_1:                              ; =>This Inner Loop Header: Depth=1
	s_waitcnt vmcnt(0)
	v_add_f64 v[17:18], v[15:16], v[13:14]
	v_add_f64 v[17:18], v[9:10], v[17:18]
	;; [unrolled: 1-line block ×7, first 2 shown]
	ds_write_b64 v31, v[3:4]
	s_waitcnt lgkmcnt(0)
	s_barrier
	s_and_saveexec_b64 s[6:7], vcc
	s_cbranch_execz .LBB147_13
; %bb.2:                                ;   in Loop: Header=BB147_1 Depth=1
	ds_read2_b64 v[17:20], v32 offset1:1
	ds_read2_b64 v[21:24], v32 offset0:2 offset1:3
	v_and_b32_e32 v34, 15, v33
	v_cmp_ne_u32_e64 s[2:3], 0, v34
	s_waitcnt lgkmcnt(1)
	v_add_f64 v[27:28], v[17:18], v[19:20]
	s_waitcnt lgkmcnt(0)
	v_add_f64 v[27:28], v[27:28], v[21:22]
	v_add_f64 v[27:28], v[27:28], v[23:24]
	s_nop 1
	v_mov_b32_dpp v29, v27 row_shr:1 row_mask:0xf bank_mask:0xf
	v_mov_b32_dpp v30, v28 row_shr:1 row_mask:0xf bank_mask:0xf
	s_and_saveexec_b64 s[8:9], s[2:3]
; %bb.3:                                ;   in Loop: Header=BB147_1 Depth=1
	v_add_f64 v[27:28], v[27:28], v[29:30]
; %bb.4:                                ;   in Loop: Header=BB147_1 Depth=1
	s_or_b64 exec, exec, s[8:9]
	s_nop 0
	v_mov_b32_dpp v29, v27 row_shr:2 row_mask:0xf bank_mask:0xf
	v_mov_b32_dpp v30, v28 row_shr:2 row_mask:0xf bank_mask:0xf
	v_cmp_lt_u32_e64 s[2:3], 1, v34
	s_and_saveexec_b64 s[8:9], s[2:3]
; %bb.5:                                ;   in Loop: Header=BB147_1 Depth=1
	v_add_f64 v[27:28], v[27:28], v[29:30]
; %bb.6:                                ;   in Loop: Header=BB147_1 Depth=1
	s_or_b64 exec, exec, s[8:9]
	s_nop 0
	v_mov_b32_dpp v29, v27 row_shr:4 row_mask:0xf bank_mask:0xf
	v_mov_b32_dpp v30, v28 row_shr:4 row_mask:0xf bank_mask:0xf
	v_cmp_lt_u32_e64 s[2:3], 3, v34
	;; [unrolled: 9-line block ×3, first 2 shown]
	s_and_saveexec_b64 s[8:9], s[2:3]
; %bb.9:                                ;   in Loop: Header=BB147_1 Depth=1
	v_add_f64 v[27:28], v[27:28], v[29:30]
; %bb.10:                               ;   in Loop: Header=BB147_1 Depth=1
	s_or_b64 exec, exec, s[8:9]
	v_and_b32_e32 v34, 16, v33
	v_mov_b32_dpp v29, v27 row_bcast:15 row_mask:0xf bank_mask:0xf
	v_mov_b32_dpp v30, v28 row_bcast:15 row_mask:0xf bank_mask:0xf
	v_cmp_ne_u32_e64 s[2:3], 0, v34
	s_and_saveexec_b64 s[8:9], s[2:3]
; %bb.11:                               ;   in Loop: Header=BB147_1 Depth=1
	v_add_f64 v[27:28], v[27:28], v[29:30]
; %bb.12:                               ;   in Loop: Header=BB147_1 Depth=1
	s_or_b64 exec, exec, s[8:9]
	s_nop 0
	v_mov_b32_dpp v29, v27 row_bcast:31 row_mask:0xf bank_mask:0xf
	v_mov_b32_dpp v30, v28 row_bcast:31 row_mask:0xf bank_mask:0xf
	v_add_f64 v[29:30], v[27:28], v[29:30]
	v_add_u32_e32 v34, -1, v33
	v_and_b32_e32 v35, 64, v33
	v_cmp_lt_i32_e64 s[2:3], v34, v35
	v_cndmask_b32_e64 v34, v34, v33, s[2:3]
	v_cmp_lt_u32_e64 s[2:3], 31, v33
	v_cndmask_b32_e64 v28, v28, v30, s[2:3]
	v_cndmask_b32_e64 v27, v27, v29, s[2:3]
	v_lshlrev_b32_e32 v29, 2, v34
	ds_bpermute_b32 v27, v29, v27
	ds_bpermute_b32 v28, v29, v28
	s_waitcnt lgkmcnt(0)
	v_add_f64 v[17:18], v[17:18], v[27:28]
	v_cndmask_b32_e64 v4, v18, v4, s[0:1]
	v_cndmask_b32_e64 v3, v17, v3, s[0:1]
	v_add_f64 v[17:18], v[19:20], v[3:4]
	v_add_f64 v[19:20], v[21:22], v[17:18]
	;; [unrolled: 1-line block ×3, first 2 shown]
	ds_write2_b64 v32, v[3:4], v[17:18] offset1:1
	ds_write2_b64 v32, v[19:20], v[21:22] offset0:2 offset1:3
.LBB147_13:                             ;   in Loop: Header=BB147_1 Depth=1
	s_or_b64 exec, exec, s[6:7]
	v_mov_b32_e32 v18, s13
	v_mov_b32_e32 v17, s12
	s_waitcnt lgkmcnt(0)
	s_barrier
	s_and_saveexec_b64 s[2:3], s[4:5]
	s_cbranch_execz .LBB147_15
; %bb.14:                               ;   in Loop: Header=BB147_1 Depth=1
	ds_read_b64 v[3:4], v0
	s_waitcnt lgkmcnt(0)
	v_add_f64 v[17:18], s[12:13], v[3:4]
.LBB147_15:                             ;   in Loop: Header=BB147_1 Depth=1
	s_or_b64 exec, exec, s[2:3]
	v_add_f64 v[19:20], v[13:14], v[17:18]
	s_add_i32 s14, s14, -1
	s_cmp_lg_u32 s14, 0
	v_add_f64 v[13:14], v[15:16], v[19:20]
	v_add_f64 v[15:16], v[9:10], v[13:14]
	;; [unrolled: 1-line block ×6, first 2 shown]
	s_cbranch_scc0 .LBB147_17
; %bb.16:                               ;   in Loop: Header=BB147_1 Depth=1
	v_mov_b32_e32 v1, v5
	v_mov_b32_e32 v2, v6
	;; [unrolled: 1-line block ×14, first 2 shown]
	s_branch .LBB147_1
.LBB147_17:
	v_mov_b32_e32 v1, s11
	v_add_co_u32_e32 v0, vcc, s10, v25
	v_addc_co_u32_e32 v1, vcc, v1, v26, vcc
	v_mov_b32_e32 v7, v3
	v_mov_b32_e32 v8, v4
	global_store_dwordx4 v[0:1], v[17:20], off
	global_store_dwordx4 v[0:1], v[13:16], off offset:16
	global_store_dwordx4 v[0:1], v[9:12], off offset:32
	;; [unrolled: 1-line block ×3, first 2 shown]
	s_endpgm
	.section	.rodata,"a",@progbits
	.p2align	6, 0x0
	.amdhsa_kernel _Z6kernelI14exclusive_scanILN6hipcub18BlockScanAlgorithmE1EEdLj256ELj8ELj100EEvPKT0_PS4_S4_
		.amdhsa_group_segment_fixed_size 2112
		.amdhsa_private_segment_fixed_size 0
		.amdhsa_kernarg_size 280
		.amdhsa_user_sgpr_count 6
		.amdhsa_user_sgpr_private_segment_buffer 1
		.amdhsa_user_sgpr_dispatch_ptr 0
		.amdhsa_user_sgpr_queue_ptr 0
		.amdhsa_user_sgpr_kernarg_segment_ptr 1
		.amdhsa_user_sgpr_dispatch_id 0
		.amdhsa_user_sgpr_flat_scratch_init 0
		.amdhsa_user_sgpr_private_segment_size 0
		.amdhsa_uses_dynamic_stack 0
		.amdhsa_system_sgpr_private_segment_wavefront_offset 0
		.amdhsa_system_sgpr_workgroup_id_x 1
		.amdhsa_system_sgpr_workgroup_id_y 0
		.amdhsa_system_sgpr_workgroup_id_z 0
		.amdhsa_system_sgpr_workgroup_info 0
		.amdhsa_system_vgpr_workitem_id 0
		.amdhsa_next_free_vgpr 36
		.amdhsa_next_free_sgpr 15
		.amdhsa_reserve_vcc 1
		.amdhsa_reserve_flat_scratch 0
		.amdhsa_float_round_mode_32 0
		.amdhsa_float_round_mode_16_64 0
		.amdhsa_float_denorm_mode_32 3
		.amdhsa_float_denorm_mode_16_64 3
		.amdhsa_dx10_clamp 1
		.amdhsa_ieee_mode 1
		.amdhsa_fp16_overflow 0
		.amdhsa_exception_fp_ieee_invalid_op 0
		.amdhsa_exception_fp_denorm_src 0
		.amdhsa_exception_fp_ieee_div_zero 0
		.amdhsa_exception_fp_ieee_overflow 0
		.amdhsa_exception_fp_ieee_underflow 0
		.amdhsa_exception_fp_ieee_inexact 0
		.amdhsa_exception_int_div_zero 0
	.end_amdhsa_kernel
	.section	.text._Z6kernelI14exclusive_scanILN6hipcub18BlockScanAlgorithmE1EEdLj256ELj8ELj100EEvPKT0_PS4_S4_,"axG",@progbits,_Z6kernelI14exclusive_scanILN6hipcub18BlockScanAlgorithmE1EEdLj256ELj8ELj100EEvPKT0_PS4_S4_,comdat
.Lfunc_end147:
	.size	_Z6kernelI14exclusive_scanILN6hipcub18BlockScanAlgorithmE1EEdLj256ELj8ELj100EEvPKT0_PS4_S4_, .Lfunc_end147-_Z6kernelI14exclusive_scanILN6hipcub18BlockScanAlgorithmE1EEdLj256ELj8ELj100EEvPKT0_PS4_S4_
                                        ; -- End function
	.set _Z6kernelI14exclusive_scanILN6hipcub18BlockScanAlgorithmE1EEdLj256ELj8ELj100EEvPKT0_PS4_S4_.num_vgpr, 36
	.set _Z6kernelI14exclusive_scanILN6hipcub18BlockScanAlgorithmE1EEdLj256ELj8ELj100EEvPKT0_PS4_S4_.num_agpr, 0
	.set _Z6kernelI14exclusive_scanILN6hipcub18BlockScanAlgorithmE1EEdLj256ELj8ELj100EEvPKT0_PS4_S4_.numbered_sgpr, 15
	.set _Z6kernelI14exclusive_scanILN6hipcub18BlockScanAlgorithmE1EEdLj256ELj8ELj100EEvPKT0_PS4_S4_.num_named_barrier, 0
	.set _Z6kernelI14exclusive_scanILN6hipcub18BlockScanAlgorithmE1EEdLj256ELj8ELj100EEvPKT0_PS4_S4_.private_seg_size, 0
	.set _Z6kernelI14exclusive_scanILN6hipcub18BlockScanAlgorithmE1EEdLj256ELj8ELj100EEvPKT0_PS4_S4_.uses_vcc, 1
	.set _Z6kernelI14exclusive_scanILN6hipcub18BlockScanAlgorithmE1EEdLj256ELj8ELj100EEvPKT0_PS4_S4_.uses_flat_scratch, 0
	.set _Z6kernelI14exclusive_scanILN6hipcub18BlockScanAlgorithmE1EEdLj256ELj8ELj100EEvPKT0_PS4_S4_.has_dyn_sized_stack, 0
	.set _Z6kernelI14exclusive_scanILN6hipcub18BlockScanAlgorithmE1EEdLj256ELj8ELj100EEvPKT0_PS4_S4_.has_recursion, 0
	.set _Z6kernelI14exclusive_scanILN6hipcub18BlockScanAlgorithmE1EEdLj256ELj8ELj100EEvPKT0_PS4_S4_.has_indirect_call, 0
	.section	.AMDGPU.csdata,"",@progbits
; Kernel info:
; codeLenInByte = 948
; TotalNumSgprs: 19
; NumVgprs: 36
; ScratchSize: 0
; MemoryBound: 0
; FloatMode: 240
; IeeeMode: 1
; LDSByteSize: 2112 bytes/workgroup (compile time only)
; SGPRBlocks: 2
; VGPRBlocks: 8
; NumSGPRsForWavesPerEU: 19
; NumVGPRsForWavesPerEU: 36
; Occupancy: 7
; WaveLimiterHint : 0
; COMPUTE_PGM_RSRC2:SCRATCH_EN: 0
; COMPUTE_PGM_RSRC2:USER_SGPR: 6
; COMPUTE_PGM_RSRC2:TRAP_HANDLER: 0
; COMPUTE_PGM_RSRC2:TGID_X_EN: 1
; COMPUTE_PGM_RSRC2:TGID_Y_EN: 0
; COMPUTE_PGM_RSRC2:TGID_Z_EN: 0
; COMPUTE_PGM_RSRC2:TIDIG_COMP_CNT: 0
	.section	.text._Z6kernelI14exclusive_scanILN6hipcub18BlockScanAlgorithmE1EEdLj256ELj11ELj100EEvPKT0_PS4_S4_,"axG",@progbits,_Z6kernelI14exclusive_scanILN6hipcub18BlockScanAlgorithmE1EEdLj256ELj11ELj100EEvPKT0_PS4_S4_,comdat
	.protected	_Z6kernelI14exclusive_scanILN6hipcub18BlockScanAlgorithmE1EEdLj256ELj11ELj100EEvPKT0_PS4_S4_ ; -- Begin function _Z6kernelI14exclusive_scanILN6hipcub18BlockScanAlgorithmE1EEdLj256ELj11ELj100EEvPKT0_PS4_S4_
	.globl	_Z6kernelI14exclusive_scanILN6hipcub18BlockScanAlgorithmE1EEdLj256ELj11ELj100EEvPKT0_PS4_S4_
	.p2align	8
	.type	_Z6kernelI14exclusive_scanILN6hipcub18BlockScanAlgorithmE1EEdLj256ELj11ELj100EEvPKT0_PS4_S4_,@function
_Z6kernelI14exclusive_scanILN6hipcub18BlockScanAlgorithmE1EEdLj256ELj11ELj100EEvPKT0_PS4_S4_: ; @_Z6kernelI14exclusive_scanILN6hipcub18BlockScanAlgorithmE1EEdLj256ELj11ELj100EEvPKT0_PS4_S4_
; %bb.0:
	s_load_dword s0, s[4:5], 0x24
	s_load_dwordx4 s[8:11], s[4:5], 0x0
	v_mov_b32_e32 v2, 0
	v_mov_b32_e32 v8, v2
	s_load_dwordx2 s[4:5], s[4:5], 0x10
	s_waitcnt lgkmcnt(0)
	s_and_b32 s0, s0, 0xffff
	s_mul_i32 s6, s6, s0
	v_add_u32_e32 v1, s6, v0
	v_mul_lo_u32 v1, v1, 11
	v_mov_b32_e32 v4, s9
	v_cmp_gt_u32_e64 s[0:1], 64, v0
	s_movk_i32 s14, 0x64
	v_lshlrev_b64 v[28:29], 3, v[1:2]
	v_add_u32_e32 v3, 1, v1
	v_add_co_u32_e32 v5, vcc, s8, v28
	v_addc_co_u32_e32 v6, vcc, v4, v29, vcc
	v_mov_b32_e32 v4, v2
	v_lshlrev_b64 v[26:27], 3, v[3:4]
	v_add_u32_e32 v7, 2, v1
	v_mov_b32_e32 v4, s9
	v_add_co_u32_e32 v3, vcc, s8, v26
	v_lshlrev_b64 v[24:25], 3, v[7:8]
	v_addc_co_u32_e32 v4, vcc, v4, v27, vcc
	v_mov_b32_e32 v7, s9
	v_add_co_u32_e32 v46, vcc, s8, v24
	v_addc_co_u32_e32 v47, vcc, v7, v25, vcc
	v_add_u32_e32 v7, 3, v1
	v_lshlrev_b64 v[22:23], 3, v[7:8]
	v_mov_b32_e32 v7, s9
	v_add_co_u32_e32 v50, vcc, s8, v22
	v_addc_co_u32_e32 v51, vcc, v7, v23, vcc
	v_add_u32_e32 v7, 4, v1
	v_lshlrev_b64 v[20:21], 3, v[7:8]
	;; [unrolled: 5-line block ×7, first 2 shown]
	v_add_u32_e32 v1, 10, v1
	v_mov_b32_e32 v7, s9
	v_add_co_u32_e32 v62, vcc, s8, v10
	v_lshlrev_b64 v[8:9], 3, v[1:2]
	v_addc_co_u32_e32 v63, vcc, v7, v11, vcc
	v_mov_b32_e32 v1, s9
	v_add_co_u32_e32 v64, vcc, s8, v8
	v_addc_co_u32_e32 v65, vcc, v1, v9, vcc
	global_load_dwordx2 v[48:49], v[5:6], off
	global_load_dwordx2 v[44:45], v[3:4], off
	;; [unrolled: 1-line block ×9, first 2 shown]
                                        ; kill: killed $vgpr3 killed $vgpr4
                                        ; kill: killed $vgpr52 killed $vgpr53
                                        ; kill: killed $vgpr56 killed $vgpr57
                                        ; kill: killed $vgpr60 killed $vgpr61
                                        ; kill: killed $vgpr5 killed $vgpr6
                                        ; kill: killed $vgpr46 killed $vgpr47
                                        ; kill: killed $vgpr50 killed $vgpr51
                                        ; kill: killed $vgpr54 killed $vgpr55
                                        ; kill: killed $vgpr58 killed $vgpr59
	global_load_dwordx2 v[46:47], v[62:63], off
	global_load_dwordx2 v[1:2], v[64:65], off
	v_subrev_co_u32_e32 v3, vcc, 1, v0
	v_lshrrev_b32_e32 v4, 2, v3
	v_and_b32_e32 v4, 0x3ffffff8, v4
	v_lshl_add_u32 v56, v3, 3, v4
	v_lshrrev_b32_e32 v3, 2, v0
	v_and_b32_e32 v3, 56, v3
	v_lshl_add_u32 v57, v0, 3, v3
	v_and_b32_e32 v3, 0xf8, v0
	v_lshlrev_b32_e32 v0, 5, v0
	v_add_u32_e32 v58, v3, v0
	v_mbcnt_lo_u32_b32 v0, -1, 0
	s_xor_b64 s[6:7], vcc, -1
	v_mbcnt_hi_u32_b32 v59, -1, v0
.LBB148_1:                              ; =>This Inner Loop Header: Depth=1
	s_waitcnt vmcnt(9)
	v_add_f64 v[3:4], v[44:45], v[48:49]
	s_waitcnt vmcnt(8)
	v_add_f64 v[3:4], v[42:43], v[3:4]
	;; [unrolled: 2-line block ×10, first 2 shown]
	ds_write_b64 v57, v[50:51]
	s_waitcnt lgkmcnt(0)
	s_barrier
	s_and_saveexec_b64 s[8:9], s[0:1]
	s_cbranch_execz .LBB148_13
; %bb.2:                                ;   in Loop: Header=BB148_1 Depth=1
	ds_read2_b64 v[4:7], v58 offset1:1
	ds_read2_b64 v[0:3], v58 offset0:2 offset1:3
	v_and_b32_e32 v60, 15, v59
	v_cmp_ne_u32_e64 s[2:3], 0, v60
	s_waitcnt lgkmcnt(1)
	v_add_f64 v[52:53], v[4:5], v[6:7]
	s_waitcnt lgkmcnt(0)
	v_add_f64 v[52:53], v[52:53], v[0:1]
	v_add_f64 v[52:53], v[52:53], v[2:3]
	s_nop 1
	v_mov_b32_dpp v54, v52 row_shr:1 row_mask:0xf bank_mask:0xf
	v_mov_b32_dpp v55, v53 row_shr:1 row_mask:0xf bank_mask:0xf
	s_and_saveexec_b64 s[12:13], s[2:3]
; %bb.3:                                ;   in Loop: Header=BB148_1 Depth=1
	v_add_f64 v[52:53], v[52:53], v[54:55]
; %bb.4:                                ;   in Loop: Header=BB148_1 Depth=1
	s_or_b64 exec, exec, s[12:13]
	s_nop 0
	v_mov_b32_dpp v54, v52 row_shr:2 row_mask:0xf bank_mask:0xf
	v_mov_b32_dpp v55, v53 row_shr:2 row_mask:0xf bank_mask:0xf
	v_cmp_lt_u32_e64 s[2:3], 1, v60
	s_and_saveexec_b64 s[12:13], s[2:3]
; %bb.5:                                ;   in Loop: Header=BB148_1 Depth=1
	v_add_f64 v[52:53], v[52:53], v[54:55]
; %bb.6:                                ;   in Loop: Header=BB148_1 Depth=1
	s_or_b64 exec, exec, s[12:13]
	s_nop 0
	v_mov_b32_dpp v54, v52 row_shr:4 row_mask:0xf bank_mask:0xf
	v_mov_b32_dpp v55, v53 row_shr:4 row_mask:0xf bank_mask:0xf
	v_cmp_lt_u32_e64 s[2:3], 3, v60
	;; [unrolled: 9-line block ×3, first 2 shown]
	s_and_saveexec_b64 s[12:13], s[2:3]
; %bb.9:                                ;   in Loop: Header=BB148_1 Depth=1
	v_add_f64 v[52:53], v[52:53], v[54:55]
; %bb.10:                               ;   in Loop: Header=BB148_1 Depth=1
	s_or_b64 exec, exec, s[12:13]
	v_and_b32_e32 v60, 16, v59
	v_mov_b32_dpp v54, v52 row_bcast:15 row_mask:0xf bank_mask:0xf
	v_mov_b32_dpp v55, v53 row_bcast:15 row_mask:0xf bank_mask:0xf
	v_cmp_ne_u32_e64 s[2:3], 0, v60
	s_and_saveexec_b64 s[12:13], s[2:3]
; %bb.11:                               ;   in Loop: Header=BB148_1 Depth=1
	v_add_f64 v[52:53], v[52:53], v[54:55]
; %bb.12:                               ;   in Loop: Header=BB148_1 Depth=1
	s_or_b64 exec, exec, s[12:13]
	s_nop 0
	v_mov_b32_dpp v54, v52 row_bcast:31 row_mask:0xf bank_mask:0xf
	v_mov_b32_dpp v55, v53 row_bcast:31 row_mask:0xf bank_mask:0xf
	v_add_f64 v[54:55], v[52:53], v[54:55]
	v_add_u32_e32 v60, -1, v59
	v_and_b32_e32 v61, 64, v59
	v_cmp_lt_i32_e64 s[2:3], v60, v61
	v_cndmask_b32_e64 v60, v60, v59, s[2:3]
	v_cmp_lt_u32_e64 s[2:3], 31, v59
	v_cndmask_b32_e64 v53, v53, v55, s[2:3]
	v_cndmask_b32_e64 v52, v52, v54, s[2:3]
	v_lshlrev_b32_e32 v54, 2, v60
	ds_bpermute_b32 v52, v54, v52
	ds_bpermute_b32 v53, v54, v53
	s_waitcnt lgkmcnt(0)
	v_add_f64 v[4:5], v[4:5], v[52:53]
	v_cndmask_b32_e32 v5, v5, v51, vcc
	v_cndmask_b32_e32 v4, v4, v50, vcc
	v_add_f64 v[6:7], v[6:7], v[4:5]
	v_add_f64 v[0:1], v[0:1], v[6:7]
	;; [unrolled: 1-line block ×3, first 2 shown]
	ds_write2_b64 v58, v[4:5], v[6:7] offset1:1
	ds_write2_b64 v58, v[0:1], v[2:3] offset0:2 offset1:3
.LBB148_13:                             ;   in Loop: Header=BB148_1 Depth=1
	s_or_b64 exec, exec, s[8:9]
	v_mov_b32_e32 v51, s5
	v_mov_b32_e32 v50, s4
	s_waitcnt lgkmcnt(0)
	s_barrier
	s_and_saveexec_b64 s[2:3], s[6:7]
	s_cbranch_execz .LBB148_15
; %bb.14:                               ;   in Loop: Header=BB148_1 Depth=1
	ds_read_b64 v[0:1], v56
	s_waitcnt lgkmcnt(0)
	v_add_f64 v[50:51], s[4:5], v[0:1]
.LBB148_15:                             ;   in Loop: Header=BB148_1 Depth=1
	s_or_b64 exec, exec, s[2:3]
	v_add_f64 v[48:49], v[48:49], v[50:51]
	s_add_i32 s14, s14, -1
	s_cmp_lg_u32 s14, 0
	v_add_f64 v[44:45], v[44:45], v[48:49]
	v_add_f64 v[42:43], v[42:43], v[44:45]
	;; [unrolled: 1-line block ×9, first 2 shown]
	s_cbranch_scc0 .LBB148_17
; %bb.16:                               ;   in Loop: Header=BB148_1 Depth=1
	v_mov_b32_e32 v32, v34
	v_mov_b32_e32 v33, v35
	;; [unrolled: 1-line block ×20, first 2 shown]
	s_branch .LBB148_1
.LBB148_17:
	v_mov_b32_e32 v0, s11
	v_add_co_u32_e32 v28, vcc, s10, v28
	v_addc_co_u32_e32 v29, vcc, v0, v29, vcc
	v_add_co_u32_e32 v26, vcc, s10, v26
	v_addc_co_u32_e32 v27, vcc, v0, v27, vcc
	v_add_co_u32_e32 v24, vcc, s10, v24
	v_addc_co_u32_e32 v25, vcc, v0, v25, vcc
	v_add_co_u32_e32 v22, vcc, s10, v22
	v_addc_co_u32_e32 v23, vcc, v0, v23, vcc
	v_add_co_u32_e32 v20, vcc, s10, v20
	v_addc_co_u32_e32 v21, vcc, v0, v21, vcc
	v_add_co_u32_e32 v18, vcc, s10, v18
	v_addc_co_u32_e32 v19, vcc, v0, v19, vcc
	v_add_co_u32_e32 v16, vcc, s10, v16
	v_addc_co_u32_e32 v17, vcc, v0, v17, vcc
	v_add_co_u32_e32 v14, vcc, s10, v14
	v_addc_co_u32_e32 v15, vcc, v0, v15, vcc
	v_add_co_u32_e32 v12, vcc, s10, v12
	v_addc_co_u32_e32 v13, vcc, v0, v13, vcc
	global_store_dwordx2 v[12:13], v[5:6], off
	v_add_co_u32_e32 v5, vcc, s10, v10
	v_addc_co_u32_e32 v6, vcc, v0, v11, vcc
	global_store_dwordx2 v[5:6], v[3:4], off
	v_add_co_u32_e32 v3, vcc, s10, v8
	v_addc_co_u32_e32 v4, vcc, v0, v9, vcc
	global_store_dwordx2 v[28:29], v[50:51], off
	global_store_dwordx2 v[26:27], v[48:49], off
	;; [unrolled: 1-line block ×9, first 2 shown]
	s_endpgm
	.section	.rodata,"a",@progbits
	.p2align	6, 0x0
	.amdhsa_kernel _Z6kernelI14exclusive_scanILN6hipcub18BlockScanAlgorithmE1EEdLj256ELj11ELj100EEvPKT0_PS4_S4_
		.amdhsa_group_segment_fixed_size 2112
		.amdhsa_private_segment_fixed_size 0
		.amdhsa_kernarg_size 280
		.amdhsa_user_sgpr_count 6
		.amdhsa_user_sgpr_private_segment_buffer 1
		.amdhsa_user_sgpr_dispatch_ptr 0
		.amdhsa_user_sgpr_queue_ptr 0
		.amdhsa_user_sgpr_kernarg_segment_ptr 1
		.amdhsa_user_sgpr_dispatch_id 0
		.amdhsa_user_sgpr_flat_scratch_init 0
		.amdhsa_user_sgpr_private_segment_size 0
		.amdhsa_uses_dynamic_stack 0
		.amdhsa_system_sgpr_private_segment_wavefront_offset 0
		.amdhsa_system_sgpr_workgroup_id_x 1
		.amdhsa_system_sgpr_workgroup_id_y 0
		.amdhsa_system_sgpr_workgroup_id_z 0
		.amdhsa_system_sgpr_workgroup_info 0
		.amdhsa_system_vgpr_workitem_id 0
		.amdhsa_next_free_vgpr 66
		.amdhsa_next_free_sgpr 15
		.amdhsa_reserve_vcc 1
		.amdhsa_reserve_flat_scratch 0
		.amdhsa_float_round_mode_32 0
		.amdhsa_float_round_mode_16_64 0
		.amdhsa_float_denorm_mode_32 3
		.amdhsa_float_denorm_mode_16_64 3
		.amdhsa_dx10_clamp 1
		.amdhsa_ieee_mode 1
		.amdhsa_fp16_overflow 0
		.amdhsa_exception_fp_ieee_invalid_op 0
		.amdhsa_exception_fp_denorm_src 0
		.amdhsa_exception_fp_ieee_div_zero 0
		.amdhsa_exception_fp_ieee_overflow 0
		.amdhsa_exception_fp_ieee_underflow 0
		.amdhsa_exception_fp_ieee_inexact 0
		.amdhsa_exception_int_div_zero 0
	.end_amdhsa_kernel
	.section	.text._Z6kernelI14exclusive_scanILN6hipcub18BlockScanAlgorithmE1EEdLj256ELj11ELj100EEvPKT0_PS4_S4_,"axG",@progbits,_Z6kernelI14exclusive_scanILN6hipcub18BlockScanAlgorithmE1EEdLj256ELj11ELj100EEvPKT0_PS4_S4_,comdat
.Lfunc_end148:
	.size	_Z6kernelI14exclusive_scanILN6hipcub18BlockScanAlgorithmE1EEdLj256ELj11ELj100EEvPKT0_PS4_S4_, .Lfunc_end148-_Z6kernelI14exclusive_scanILN6hipcub18BlockScanAlgorithmE1EEdLj256ELj11ELj100EEvPKT0_PS4_S4_
                                        ; -- End function
	.set _Z6kernelI14exclusive_scanILN6hipcub18BlockScanAlgorithmE1EEdLj256ELj11ELj100EEvPKT0_PS4_S4_.num_vgpr, 66
	.set _Z6kernelI14exclusive_scanILN6hipcub18BlockScanAlgorithmE1EEdLj256ELj11ELj100EEvPKT0_PS4_S4_.num_agpr, 0
	.set _Z6kernelI14exclusive_scanILN6hipcub18BlockScanAlgorithmE1EEdLj256ELj11ELj100EEvPKT0_PS4_S4_.numbered_sgpr, 15
	.set _Z6kernelI14exclusive_scanILN6hipcub18BlockScanAlgorithmE1EEdLj256ELj11ELj100EEvPKT0_PS4_S4_.num_named_barrier, 0
	.set _Z6kernelI14exclusive_scanILN6hipcub18BlockScanAlgorithmE1EEdLj256ELj11ELj100EEvPKT0_PS4_S4_.private_seg_size, 0
	.set _Z6kernelI14exclusive_scanILN6hipcub18BlockScanAlgorithmE1EEdLj256ELj11ELj100EEvPKT0_PS4_S4_.uses_vcc, 1
	.set _Z6kernelI14exclusive_scanILN6hipcub18BlockScanAlgorithmE1EEdLj256ELj11ELj100EEvPKT0_PS4_S4_.uses_flat_scratch, 0
	.set _Z6kernelI14exclusive_scanILN6hipcub18BlockScanAlgorithmE1EEdLj256ELj11ELj100EEvPKT0_PS4_S4_.has_dyn_sized_stack, 0
	.set _Z6kernelI14exclusive_scanILN6hipcub18BlockScanAlgorithmE1EEdLj256ELj11ELj100EEvPKT0_PS4_S4_.has_recursion, 0
	.set _Z6kernelI14exclusive_scanILN6hipcub18BlockScanAlgorithmE1EEdLj256ELj11ELj100EEvPKT0_PS4_S4_.has_indirect_call, 0
	.section	.AMDGPU.csdata,"",@progbits
; Kernel info:
; codeLenInByte = 1484
; TotalNumSgprs: 19
; NumVgprs: 66
; ScratchSize: 0
; MemoryBound: 0
; FloatMode: 240
; IeeeMode: 1
; LDSByteSize: 2112 bytes/workgroup (compile time only)
; SGPRBlocks: 2
; VGPRBlocks: 16
; NumSGPRsForWavesPerEU: 19
; NumVGPRsForWavesPerEU: 66
; Occupancy: 3
; WaveLimiterHint : 0
; COMPUTE_PGM_RSRC2:SCRATCH_EN: 0
; COMPUTE_PGM_RSRC2:USER_SGPR: 6
; COMPUTE_PGM_RSRC2:TRAP_HANDLER: 0
; COMPUTE_PGM_RSRC2:TGID_X_EN: 1
; COMPUTE_PGM_RSRC2:TGID_Y_EN: 0
; COMPUTE_PGM_RSRC2:TGID_Z_EN: 0
; COMPUTE_PGM_RSRC2:TIDIG_COMP_CNT: 0
	.section	.text._Z6kernelI14exclusive_scanILN6hipcub18BlockScanAlgorithmE1EEdLj256ELj16ELj100EEvPKT0_PS4_S4_,"axG",@progbits,_Z6kernelI14exclusive_scanILN6hipcub18BlockScanAlgorithmE1EEdLj256ELj16ELj100EEvPKT0_PS4_S4_,comdat
	.protected	_Z6kernelI14exclusive_scanILN6hipcub18BlockScanAlgorithmE1EEdLj256ELj16ELj100EEvPKT0_PS4_S4_ ; -- Begin function _Z6kernelI14exclusive_scanILN6hipcub18BlockScanAlgorithmE1EEdLj256ELj16ELj100EEvPKT0_PS4_S4_
	.globl	_Z6kernelI14exclusive_scanILN6hipcub18BlockScanAlgorithmE1EEdLj256ELj16ELj100EEvPKT0_PS4_S4_
	.p2align	8
	.type	_Z6kernelI14exclusive_scanILN6hipcub18BlockScanAlgorithmE1EEdLj256ELj16ELj100EEvPKT0_PS4_S4_,@function
_Z6kernelI14exclusive_scanILN6hipcub18BlockScanAlgorithmE1EEdLj256ELj16ELj100EEvPKT0_PS4_S4_: ; @_Z6kernelI14exclusive_scanILN6hipcub18BlockScanAlgorithmE1EEdLj256ELj16ELj100EEvPKT0_PS4_S4_
; %bb.0:
	s_load_dword s0, s[4:5], 0x24
	s_load_dwordx4 s[8:11], s[4:5], 0x0
	s_load_dwordx2 s[12:13], s[4:5], 0x10
	v_mov_b32_e32 v2, 0
	s_movk_i32 s14, 0x64
	s_waitcnt lgkmcnt(0)
	s_and_b32 s0, s0, 0xffff
	s_mul_i32 s6, s6, s0
	v_add_lshl_u32 v1, s6, v0, 4
	v_lshlrev_b64 v[45:46], 3, v[1:2]
	v_mov_b32_e32 v1, s9
	v_add_co_u32_e32 v33, vcc, s8, v45
	v_addc_co_u32_e32 v34, vcc, v1, v46, vcc
	global_load_dwordx4 v[1:4], v[33:34], off offset:48
	global_load_dwordx4 v[5:8], v[33:34], off offset:32
	;; [unrolled: 1-line block ×3, first 2 shown]
	global_load_dwordx4 v[29:32], v[33:34], off
	global_load_dwordx4 v[9:12], v[33:34], off offset:112
	global_load_dwordx4 v[13:16], v[33:34], off offset:96
	;; [unrolled: 1-line block ×4, first 2 shown]
	v_lshrrev_b32_e32 v33, 2, v0
	v_and_b32_e32 v33, 56, v33
	v_lshl_add_u32 v47, v0, 3, v33
	v_subrev_co_u32_e64 v33, s[0:1], 1, v0
	v_cmp_gt_u32_e32 vcc, 64, v0
	v_and_b32_e32 v34, 0xf8, v0
	v_lshlrev_b32_e32 v0, 5, v0
	v_lshrrev_b32_e32 v35, 2, v33
	v_and_b32_e32 v35, 0x3ffffff8, v35
	v_add_u32_e32 v49, v34, v0
	v_mbcnt_lo_u32_b32 v0, -1, 0
	s_xor_b64 s[4:5], s[0:1], -1
	v_lshl_add_u32 v48, v33, 3, v35
	v_mbcnt_hi_u32_b32 v50, -1, v0
.LBB149_1:                              ; =>This Inner Loop Header: Depth=1
	s_waitcnt vmcnt(4)
	v_add_f64 v[33:34], v[31:32], v[29:30]
	v_add_f64 v[33:34], v[25:26], v[33:34]
	;; [unrolled: 1-line block ×7, first 2 shown]
	s_waitcnt vmcnt(0)
	v_add_f64 v[33:34], v[21:22], v[33:34]
	v_add_f64 v[33:34], v[23:24], v[33:34]
	;; [unrolled: 1-line block ×8, first 2 shown]
	ds_write_b64 v47, v[11:12]
	s_waitcnt lgkmcnt(0)
	s_barrier
	s_and_saveexec_b64 s[6:7], vcc
	s_cbranch_execz .LBB149_13
; %bb.2:                                ;   in Loop: Header=BB149_1 Depth=1
	ds_read2_b64 v[33:36], v49 offset1:1
	ds_read2_b64 v[37:40], v49 offset0:2 offset1:3
	v_and_b32_e32 v0, 15, v50
	v_cmp_ne_u32_e64 s[2:3], 0, v0
	s_waitcnt lgkmcnt(1)
	v_add_f64 v[41:42], v[33:34], v[35:36]
	s_waitcnt lgkmcnt(0)
	v_add_f64 v[41:42], v[41:42], v[37:38]
	v_add_f64 v[41:42], v[41:42], v[39:40]
	s_nop 1
	v_mov_b32_dpp v43, v41 row_shr:1 row_mask:0xf bank_mask:0xf
	v_mov_b32_dpp v44, v42 row_shr:1 row_mask:0xf bank_mask:0xf
	s_and_saveexec_b64 s[8:9], s[2:3]
; %bb.3:                                ;   in Loop: Header=BB149_1 Depth=1
	v_add_f64 v[41:42], v[41:42], v[43:44]
; %bb.4:                                ;   in Loop: Header=BB149_1 Depth=1
	s_or_b64 exec, exec, s[8:9]
	s_nop 0
	v_mov_b32_dpp v43, v41 row_shr:2 row_mask:0xf bank_mask:0xf
	v_mov_b32_dpp v44, v42 row_shr:2 row_mask:0xf bank_mask:0xf
	v_cmp_lt_u32_e64 s[2:3], 1, v0
	s_and_saveexec_b64 s[8:9], s[2:3]
; %bb.5:                                ;   in Loop: Header=BB149_1 Depth=1
	v_add_f64 v[41:42], v[41:42], v[43:44]
; %bb.6:                                ;   in Loop: Header=BB149_1 Depth=1
	s_or_b64 exec, exec, s[8:9]
	s_nop 0
	v_mov_b32_dpp v43, v41 row_shr:4 row_mask:0xf bank_mask:0xf
	v_mov_b32_dpp v44, v42 row_shr:4 row_mask:0xf bank_mask:0xf
	v_cmp_lt_u32_e64 s[2:3], 3, v0
	;; [unrolled: 9-line block ×3, first 2 shown]
	s_and_saveexec_b64 s[8:9], s[2:3]
; %bb.9:                                ;   in Loop: Header=BB149_1 Depth=1
	v_add_f64 v[41:42], v[41:42], v[43:44]
; %bb.10:                               ;   in Loop: Header=BB149_1 Depth=1
	s_or_b64 exec, exec, s[8:9]
	v_and_b32_e32 v0, 16, v50
	v_mov_b32_dpp v43, v41 row_bcast:15 row_mask:0xf bank_mask:0xf
	v_mov_b32_dpp v44, v42 row_bcast:15 row_mask:0xf bank_mask:0xf
	v_cmp_ne_u32_e64 s[2:3], 0, v0
	s_and_saveexec_b64 s[8:9], s[2:3]
; %bb.11:                               ;   in Loop: Header=BB149_1 Depth=1
	v_add_f64 v[41:42], v[41:42], v[43:44]
; %bb.12:                               ;   in Loop: Header=BB149_1 Depth=1
	s_or_b64 exec, exec, s[8:9]
	s_nop 0
	v_mov_b32_dpp v43, v41 row_bcast:31 row_mask:0xf bank_mask:0xf
	v_mov_b32_dpp v44, v42 row_bcast:31 row_mask:0xf bank_mask:0xf
	v_add_f64 v[43:44], v[41:42], v[43:44]
	v_add_u32_e32 v0, -1, v50
	v_and_b32_e32 v51, 64, v50
	v_cmp_lt_i32_e64 s[2:3], v0, v51
	v_cndmask_b32_e64 v0, v0, v50, s[2:3]
	v_cmp_lt_u32_e64 s[2:3], 31, v50
	v_lshlrev_b32_e32 v0, 2, v0
	v_cndmask_b32_e64 v42, v42, v44, s[2:3]
	v_cndmask_b32_e64 v41, v41, v43, s[2:3]
	ds_bpermute_b32 v41, v0, v41
	ds_bpermute_b32 v42, v0, v42
	s_waitcnt lgkmcnt(0)
	v_add_f64 v[33:34], v[33:34], v[41:42]
	v_cndmask_b32_e64 v12, v34, v12, s[0:1]
	v_cndmask_b32_e64 v11, v33, v11, s[0:1]
	v_add_f64 v[33:34], v[35:36], v[11:12]
	v_add_f64 v[35:36], v[37:38], v[33:34]
	;; [unrolled: 1-line block ×3, first 2 shown]
	ds_write2_b64 v49, v[11:12], v[33:34] offset1:1
	ds_write2_b64 v49, v[35:36], v[37:38] offset0:2 offset1:3
.LBB149_13:                             ;   in Loop: Header=BB149_1 Depth=1
	s_or_b64 exec, exec, s[6:7]
	v_mov_b32_e32 v34, s13
	v_mov_b32_e32 v33, s12
	s_waitcnt lgkmcnt(0)
	s_barrier
	s_and_saveexec_b64 s[2:3], s[4:5]
	s_cbranch_execz .LBB149_15
; %bb.14:                               ;   in Loop: Header=BB149_1 Depth=1
	ds_read_b64 v[11:12], v48
	s_waitcnt lgkmcnt(0)
	v_add_f64 v[33:34], s[12:13], v[11:12]
.LBB149_15:                             ;   in Loop: Header=BB149_1 Depth=1
	s_or_b64 exec, exec, s[2:3]
	v_add_f64 v[35:36], v[29:30], v[33:34]
	s_add_i32 s14, s14, -1
	s_cmp_lg_u32 s14, 0
	v_add_f64 v[41:42], v[31:32], v[35:36]
	v_add_f64 v[43:44], v[25:26], v[41:42]
	;; [unrolled: 1-line block ×14, first 2 shown]
	s_cbranch_scc0 .LBB149_17
; %bb.16:                               ;   in Loop: Header=BB149_1 Depth=1
	v_mov_b32_e32 v10, v1
	v_mov_b32_e32 v16, v5
	;; [unrolled: 1-line block ×30, first 2 shown]
	s_branch .LBB149_1
.LBB149_17:
	v_mov_b32_e32 v7, s11
	v_add_co_u32_e32 v6, vcc, s10, v45
	v_addc_co_u32_e32 v7, vcc, v7, v46, vcc
	global_store_dwordx4 v[6:7], v[33:36], off
	global_store_dwordx4 v[6:7], v[41:44], off offset:16
	global_store_dwordx4 v[6:7], v[37:40], off offset:32
	;; [unrolled: 1-line block ×6, first 2 shown]
	s_nop 0
	v_mov_b32_e32 v2, v11
	v_mov_b32_e32 v3, v12
	global_store_dwordx4 v[6:7], v[0:3], off offset:112
	s_endpgm
	.section	.rodata,"a",@progbits
	.p2align	6, 0x0
	.amdhsa_kernel _Z6kernelI14exclusive_scanILN6hipcub18BlockScanAlgorithmE1EEdLj256ELj16ELj100EEvPKT0_PS4_S4_
		.amdhsa_group_segment_fixed_size 2112
		.amdhsa_private_segment_fixed_size 0
		.amdhsa_kernarg_size 280
		.amdhsa_user_sgpr_count 6
		.amdhsa_user_sgpr_private_segment_buffer 1
		.amdhsa_user_sgpr_dispatch_ptr 0
		.amdhsa_user_sgpr_queue_ptr 0
		.amdhsa_user_sgpr_kernarg_segment_ptr 1
		.amdhsa_user_sgpr_dispatch_id 0
		.amdhsa_user_sgpr_flat_scratch_init 0
		.amdhsa_user_sgpr_private_segment_size 0
		.amdhsa_uses_dynamic_stack 0
		.amdhsa_system_sgpr_private_segment_wavefront_offset 0
		.amdhsa_system_sgpr_workgroup_id_x 1
		.amdhsa_system_sgpr_workgroup_id_y 0
		.amdhsa_system_sgpr_workgroup_id_z 0
		.amdhsa_system_sgpr_workgroup_info 0
		.amdhsa_system_vgpr_workitem_id 0
		.amdhsa_next_free_vgpr 52
		.amdhsa_next_free_sgpr 15
		.amdhsa_reserve_vcc 1
		.amdhsa_reserve_flat_scratch 0
		.amdhsa_float_round_mode_32 0
		.amdhsa_float_round_mode_16_64 0
		.amdhsa_float_denorm_mode_32 3
		.amdhsa_float_denorm_mode_16_64 3
		.amdhsa_dx10_clamp 1
		.amdhsa_ieee_mode 1
		.amdhsa_fp16_overflow 0
		.amdhsa_exception_fp_ieee_invalid_op 0
		.amdhsa_exception_fp_denorm_src 0
		.amdhsa_exception_fp_ieee_div_zero 0
		.amdhsa_exception_fp_ieee_overflow 0
		.amdhsa_exception_fp_ieee_underflow 0
		.amdhsa_exception_fp_ieee_inexact 0
		.amdhsa_exception_int_div_zero 0
	.end_amdhsa_kernel
	.section	.text._Z6kernelI14exclusive_scanILN6hipcub18BlockScanAlgorithmE1EEdLj256ELj16ELj100EEvPKT0_PS4_S4_,"axG",@progbits,_Z6kernelI14exclusive_scanILN6hipcub18BlockScanAlgorithmE1EEdLj256ELj16ELj100EEvPKT0_PS4_S4_,comdat
.Lfunc_end149:
	.size	_Z6kernelI14exclusive_scanILN6hipcub18BlockScanAlgorithmE1EEdLj256ELj16ELj100EEvPKT0_PS4_S4_, .Lfunc_end149-_Z6kernelI14exclusive_scanILN6hipcub18BlockScanAlgorithmE1EEdLj256ELj16ELj100EEvPKT0_PS4_S4_
                                        ; -- End function
	.set _Z6kernelI14exclusive_scanILN6hipcub18BlockScanAlgorithmE1EEdLj256ELj16ELj100EEvPKT0_PS4_S4_.num_vgpr, 52
	.set _Z6kernelI14exclusive_scanILN6hipcub18BlockScanAlgorithmE1EEdLj256ELj16ELj100EEvPKT0_PS4_S4_.num_agpr, 0
	.set _Z6kernelI14exclusive_scanILN6hipcub18BlockScanAlgorithmE1EEdLj256ELj16ELj100EEvPKT0_PS4_S4_.numbered_sgpr, 15
	.set _Z6kernelI14exclusive_scanILN6hipcub18BlockScanAlgorithmE1EEdLj256ELj16ELj100EEvPKT0_PS4_S4_.num_named_barrier, 0
	.set _Z6kernelI14exclusive_scanILN6hipcub18BlockScanAlgorithmE1EEdLj256ELj16ELj100EEvPKT0_PS4_S4_.private_seg_size, 0
	.set _Z6kernelI14exclusive_scanILN6hipcub18BlockScanAlgorithmE1EEdLj256ELj16ELj100EEvPKT0_PS4_S4_.uses_vcc, 1
	.set _Z6kernelI14exclusive_scanILN6hipcub18BlockScanAlgorithmE1EEdLj256ELj16ELj100EEvPKT0_PS4_S4_.uses_flat_scratch, 0
	.set _Z6kernelI14exclusive_scanILN6hipcub18BlockScanAlgorithmE1EEdLj256ELj16ELj100EEvPKT0_PS4_S4_.has_dyn_sized_stack, 0
	.set _Z6kernelI14exclusive_scanILN6hipcub18BlockScanAlgorithmE1EEdLj256ELj16ELj100EEvPKT0_PS4_S4_.has_recursion, 0
	.set _Z6kernelI14exclusive_scanILN6hipcub18BlockScanAlgorithmE1EEdLj256ELj16ELj100EEvPKT0_PS4_S4_.has_indirect_call, 0
	.section	.AMDGPU.csdata,"",@progbits
; Kernel info:
; codeLenInByte = 1212
; TotalNumSgprs: 19
; NumVgprs: 52
; ScratchSize: 0
; MemoryBound: 1
; FloatMode: 240
; IeeeMode: 1
; LDSByteSize: 2112 bytes/workgroup (compile time only)
; SGPRBlocks: 2
; VGPRBlocks: 12
; NumSGPRsForWavesPerEU: 19
; NumVGPRsForWavesPerEU: 52
; Occupancy: 4
; WaveLimiterHint : 0
; COMPUTE_PGM_RSRC2:SCRATCH_EN: 0
; COMPUTE_PGM_RSRC2:USER_SGPR: 6
; COMPUTE_PGM_RSRC2:TRAP_HANDLER: 0
; COMPUTE_PGM_RSRC2:TGID_X_EN: 1
; COMPUTE_PGM_RSRC2:TGID_Y_EN: 0
; COMPUTE_PGM_RSRC2:TGID_Z_EN: 0
; COMPUTE_PGM_RSRC2:TIDIG_COMP_CNT: 0
	.section	.text._Z6kernelI14exclusive_scanILN6hipcub18BlockScanAlgorithmE1EEhLj256ELj1ELj100EEvPKT0_PS4_S4_,"axG",@progbits,_Z6kernelI14exclusive_scanILN6hipcub18BlockScanAlgorithmE1EEhLj256ELj1ELj100EEvPKT0_PS4_S4_,comdat
	.protected	_Z6kernelI14exclusive_scanILN6hipcub18BlockScanAlgorithmE1EEhLj256ELj1ELj100EEvPKT0_PS4_S4_ ; -- Begin function _Z6kernelI14exclusive_scanILN6hipcub18BlockScanAlgorithmE1EEhLj256ELj1ELj100EEvPKT0_PS4_S4_
	.globl	_Z6kernelI14exclusive_scanILN6hipcub18BlockScanAlgorithmE1EEhLj256ELj1ELj100EEvPKT0_PS4_S4_
	.p2align	8
	.type	_Z6kernelI14exclusive_scanILN6hipcub18BlockScanAlgorithmE1EEhLj256ELj1ELj100EEvPKT0_PS4_S4_,@function
_Z6kernelI14exclusive_scanILN6hipcub18BlockScanAlgorithmE1EEhLj256ELj1ELj100EEvPKT0_PS4_S4_: ; @_Z6kernelI14exclusive_scanILN6hipcub18BlockScanAlgorithmE1EEhLj256ELj1ELj100EEvPKT0_PS4_S4_
; %bb.0:
	s_load_dword s0, s[4:5], 0x24
	s_load_dwordx4 s[8:11], s[4:5], 0x0
	s_load_dword s12, s[4:5], 0x10
	v_lshrrev_b32_e32 v3, 5, v0
	v_lshlrev_b32_e32 v5, 2, v0
	s_waitcnt lgkmcnt(0)
	s_and_b32 s0, s0, 0xffff
	s_mul_i32 s6, s6, s0
	v_add_u32_e32 v1, s6, v0
	global_load_ubyte v2, v1, s[8:9]
	v_lshrrev_b32_e32 v6, 3, v0
	v_cmp_gt_u32_e32 vcc, 64, v0
	v_subrev_co_u32_e64 v4, s[0:1], 1, v0
	v_add_u32_e32 v0, v3, v0
	v_add_u32_e32 v3, v6, v5
	v_mbcnt_lo_u32_b32 v5, -1, 0
	v_lshrrev_b32_e32 v7, 5, v4
	v_mbcnt_hi_u32_b32 v5, -1, v5
	s_xor_b64 s[4:5], s[0:1], -1
	s_movk_i32 s8, 0x64
	v_add_u32_e32 v4, v7, v4
	v_and_b32_e32 v6, 15, v5
	v_and_b32_e32 v7, 16, v5
	v_add_u32_e32 v8, -1, v5
	v_and_b32_e32 v9, 64, v5
	s_branch .LBB150_2
.LBB150_1:                              ;   in Loop: Header=BB150_2 Depth=1
	s_or_b64 exec, exec, s[2:3]
	s_add_i32 s8, s8, -1
	s_cmp_lg_u32 s8, 0
	s_cbranch_scc0 .LBB150_6
.LBB150_2:                              ; =>This Inner Loop Header: Depth=1
	s_waitcnt vmcnt(0)
	ds_write_b8 v0, v2
	s_waitcnt lgkmcnt(0)
	s_barrier
	s_and_saveexec_b64 s[6:7], vcc
	s_cbranch_execz .LBB150_4
; %bb.3:                                ;   in Loop: Header=BB150_2 Depth=1
	ds_read_u8 v10, v3
	ds_read_u8 v11, v3 offset:1
	ds_read_u8 v12, v3 offset:2
	ds_read_u8 v13, v3 offset:3
	v_cmp_ne_u32_e64 s[2:3], 0, v6
	s_waitcnt lgkmcnt(2)
	v_add_u16_e32 v14, v11, v10
	s_waitcnt lgkmcnt(1)
	v_add_u16_e32 v14, v14, v12
	;; [unrolled: 2-line block ×3, first 2 shown]
	v_and_b32_e32 v15, 0xff, v14
	s_nop 1
	v_mov_b32_dpp v15, v15 row_shr:1 row_mask:0xf bank_mask:0xf
	v_cndmask_b32_e64 v15, 0, v15, s[2:3]
	v_add_u16_e32 v14, v15, v14
	v_and_b32_e32 v15, 0xff, v14
	v_cmp_lt_u32_e64 s[2:3], 1, v6
	s_nop 0
	v_mov_b32_dpp v15, v15 row_shr:2 row_mask:0xf bank_mask:0xf
	v_cndmask_b32_e64 v15, 0, v15, s[2:3]
	v_add_u16_e32 v14, v14, v15
	v_and_b32_e32 v15, 0xff, v14
	v_cmp_lt_u32_e64 s[2:3], 3, v6
	;; [unrolled: 6-line block ×3, first 2 shown]
	s_nop 0
	v_mov_b32_dpp v15, v15 row_shr:8 row_mask:0xf bank_mask:0xf
	v_cndmask_b32_e64 v15, 0, v15, s[2:3]
	v_add_u16_e32 v14, v14, v15
	v_and_b32_e32 v15, 0xff, v14
	v_cmp_ne_u32_e64 s[2:3], 0, v7
	s_nop 0
	v_mov_b32_dpp v15, v15 row_bcast:15 row_mask:0xf bank_mask:0xf
	v_cndmask_b32_e64 v15, 0, v15, s[2:3]
	v_add_u16_e32 v14, v14, v15
	v_and_b32_e32 v15, 0xff, v14
	v_cmp_lt_u32_e64 s[2:3], 31, v5
	s_nop 0
	v_mov_b32_dpp v15, v15 row_bcast:31 row_mask:0xf bank_mask:0xf
	v_cndmask_b32_e64 v15, 0, v15, s[2:3]
	v_cmp_lt_i32_e64 s[2:3], v8, v9
	v_add_u16_e32 v14, v14, v15
	v_cndmask_b32_e64 v15, v8, v5, s[2:3]
	v_lshlrev_b32_e32 v15, 2, v15
	v_and_b32_e32 v14, 0xff, v14
	ds_bpermute_b32 v14, v15, v14
	s_waitcnt lgkmcnt(0)
	v_add_u16_e32 v10, v10, v14
	v_cndmask_b32_e64 v2, v10, v2, s[0:1]
	ds_write_b8 v3, v2
	v_add_u16_e32 v2, v2, v11
	ds_write_b8 v3, v2 offset:1
	v_add_u16_e32 v2, v2, v12
	ds_write_b8 v3, v2 offset:2
	;; [unrolled: 2-line block ×3, first 2 shown]
.LBB150_4:                              ;   in Loop: Header=BB150_2 Depth=1
	s_or_b64 exec, exec, s[6:7]
	v_mov_b32_e32 v2, s12
	s_waitcnt lgkmcnt(0)
	s_barrier
	s_and_saveexec_b64 s[2:3], s[4:5]
	s_cbranch_execz .LBB150_1
; %bb.5:                                ;   in Loop: Header=BB150_2 Depth=1
	ds_read_u8 v2, v4
	s_waitcnt lgkmcnt(0)
	v_add_u16_e32 v2, s12, v2
	s_branch .LBB150_1
.LBB150_6:
	v_mov_b32_e32 v3, s11
	v_add_co_u32_e32 v0, vcc, s10, v1
	v_addc_co_u32_e32 v1, vcc, 0, v3, vcc
	global_store_byte v[0:1], v2, off
	s_endpgm
	.section	.rodata,"a",@progbits
	.p2align	6, 0x0
	.amdhsa_kernel _Z6kernelI14exclusive_scanILN6hipcub18BlockScanAlgorithmE1EEhLj256ELj1ELj100EEvPKT0_PS4_S4_
		.amdhsa_group_segment_fixed_size 264
		.amdhsa_private_segment_fixed_size 0
		.amdhsa_kernarg_size 280
		.amdhsa_user_sgpr_count 6
		.amdhsa_user_sgpr_private_segment_buffer 1
		.amdhsa_user_sgpr_dispatch_ptr 0
		.amdhsa_user_sgpr_queue_ptr 0
		.amdhsa_user_sgpr_kernarg_segment_ptr 1
		.amdhsa_user_sgpr_dispatch_id 0
		.amdhsa_user_sgpr_flat_scratch_init 0
		.amdhsa_user_sgpr_private_segment_size 0
		.amdhsa_uses_dynamic_stack 0
		.amdhsa_system_sgpr_private_segment_wavefront_offset 0
		.amdhsa_system_sgpr_workgroup_id_x 1
		.amdhsa_system_sgpr_workgroup_id_y 0
		.amdhsa_system_sgpr_workgroup_id_z 0
		.amdhsa_system_sgpr_workgroup_info 0
		.amdhsa_system_vgpr_workitem_id 0
		.amdhsa_next_free_vgpr 16
		.amdhsa_next_free_sgpr 13
		.amdhsa_reserve_vcc 1
		.amdhsa_reserve_flat_scratch 0
		.amdhsa_float_round_mode_32 0
		.amdhsa_float_round_mode_16_64 0
		.amdhsa_float_denorm_mode_32 3
		.amdhsa_float_denorm_mode_16_64 3
		.amdhsa_dx10_clamp 1
		.amdhsa_ieee_mode 1
		.amdhsa_fp16_overflow 0
		.amdhsa_exception_fp_ieee_invalid_op 0
		.amdhsa_exception_fp_denorm_src 0
		.amdhsa_exception_fp_ieee_div_zero 0
		.amdhsa_exception_fp_ieee_overflow 0
		.amdhsa_exception_fp_ieee_underflow 0
		.amdhsa_exception_fp_ieee_inexact 0
		.amdhsa_exception_int_div_zero 0
	.end_amdhsa_kernel
	.section	.text._Z6kernelI14exclusive_scanILN6hipcub18BlockScanAlgorithmE1EEhLj256ELj1ELj100EEvPKT0_PS4_S4_,"axG",@progbits,_Z6kernelI14exclusive_scanILN6hipcub18BlockScanAlgorithmE1EEhLj256ELj1ELj100EEvPKT0_PS4_S4_,comdat
.Lfunc_end150:
	.size	_Z6kernelI14exclusive_scanILN6hipcub18BlockScanAlgorithmE1EEhLj256ELj1ELj100EEvPKT0_PS4_S4_, .Lfunc_end150-_Z6kernelI14exclusive_scanILN6hipcub18BlockScanAlgorithmE1EEhLj256ELj1ELj100EEvPKT0_PS4_S4_
                                        ; -- End function
	.set _Z6kernelI14exclusive_scanILN6hipcub18BlockScanAlgorithmE1EEhLj256ELj1ELj100EEvPKT0_PS4_S4_.num_vgpr, 16
	.set _Z6kernelI14exclusive_scanILN6hipcub18BlockScanAlgorithmE1EEhLj256ELj1ELj100EEvPKT0_PS4_S4_.num_agpr, 0
	.set _Z6kernelI14exclusive_scanILN6hipcub18BlockScanAlgorithmE1EEhLj256ELj1ELj100EEvPKT0_PS4_S4_.numbered_sgpr, 13
	.set _Z6kernelI14exclusive_scanILN6hipcub18BlockScanAlgorithmE1EEhLj256ELj1ELj100EEvPKT0_PS4_S4_.num_named_barrier, 0
	.set _Z6kernelI14exclusive_scanILN6hipcub18BlockScanAlgorithmE1EEhLj256ELj1ELj100EEvPKT0_PS4_S4_.private_seg_size, 0
	.set _Z6kernelI14exclusive_scanILN6hipcub18BlockScanAlgorithmE1EEhLj256ELj1ELj100EEvPKT0_PS4_S4_.uses_vcc, 1
	.set _Z6kernelI14exclusive_scanILN6hipcub18BlockScanAlgorithmE1EEhLj256ELj1ELj100EEvPKT0_PS4_S4_.uses_flat_scratch, 0
	.set _Z6kernelI14exclusive_scanILN6hipcub18BlockScanAlgorithmE1EEhLj256ELj1ELj100EEvPKT0_PS4_S4_.has_dyn_sized_stack, 0
	.set _Z6kernelI14exclusive_scanILN6hipcub18BlockScanAlgorithmE1EEhLj256ELj1ELj100EEvPKT0_PS4_S4_.has_recursion, 0
	.set _Z6kernelI14exclusive_scanILN6hipcub18BlockScanAlgorithmE1EEhLj256ELj1ELj100EEvPKT0_PS4_S4_.has_indirect_call, 0
	.section	.AMDGPU.csdata,"",@progbits
; Kernel info:
; codeLenInByte = 640
; TotalNumSgprs: 17
; NumVgprs: 16
; ScratchSize: 0
; MemoryBound: 0
; FloatMode: 240
; IeeeMode: 1
; LDSByteSize: 264 bytes/workgroup (compile time only)
; SGPRBlocks: 2
; VGPRBlocks: 3
; NumSGPRsForWavesPerEU: 17
; NumVGPRsForWavesPerEU: 16
; Occupancy: 10
; WaveLimiterHint : 0
; COMPUTE_PGM_RSRC2:SCRATCH_EN: 0
; COMPUTE_PGM_RSRC2:USER_SGPR: 6
; COMPUTE_PGM_RSRC2:TRAP_HANDLER: 0
; COMPUTE_PGM_RSRC2:TGID_X_EN: 1
; COMPUTE_PGM_RSRC2:TGID_Y_EN: 0
; COMPUTE_PGM_RSRC2:TGID_Z_EN: 0
; COMPUTE_PGM_RSRC2:TIDIG_COMP_CNT: 0
	.section	.text._Z6kernelI14exclusive_scanILN6hipcub18BlockScanAlgorithmE1EEhLj256ELj3ELj100EEvPKT0_PS4_S4_,"axG",@progbits,_Z6kernelI14exclusive_scanILN6hipcub18BlockScanAlgorithmE1EEhLj256ELj3ELj100EEvPKT0_PS4_S4_,comdat
	.protected	_Z6kernelI14exclusive_scanILN6hipcub18BlockScanAlgorithmE1EEhLj256ELj3ELj100EEvPKT0_PS4_S4_ ; -- Begin function _Z6kernelI14exclusive_scanILN6hipcub18BlockScanAlgorithmE1EEhLj256ELj3ELj100EEvPKT0_PS4_S4_
	.globl	_Z6kernelI14exclusive_scanILN6hipcub18BlockScanAlgorithmE1EEhLj256ELj3ELj100EEvPKT0_PS4_S4_
	.p2align	8
	.type	_Z6kernelI14exclusive_scanILN6hipcub18BlockScanAlgorithmE1EEhLj256ELj3ELj100EEvPKT0_PS4_S4_,@function
_Z6kernelI14exclusive_scanILN6hipcub18BlockScanAlgorithmE1EEhLj256ELj3ELj100EEvPKT0_PS4_S4_: ; @_Z6kernelI14exclusive_scanILN6hipcub18BlockScanAlgorithmE1EEhLj256ELj3ELj100EEvPKT0_PS4_S4_
; %bb.0:
	s_load_dword s0, s[4:5], 0x24
	s_load_dwordx4 s[8:11], s[4:5], 0x0
	s_load_dword s12, s[4:5], 0x10
	v_lshrrev_b32_e32 v6, 5, v0
	v_lshlrev_b32_e32 v8, 2, v0
	s_waitcnt lgkmcnt(0)
	s_and_b32 s0, s0, 0xffff
	s_mul_i32 s6, s6, s0
	v_add_u32_e32 v1, s6, v0
	v_lshl_add_u32 v3, v1, 1, v1
	v_add_u32_e32 v2, 1, v3
	v_add_u32_e32 v1, 2, v3
	global_load_ubyte v4, v3, s[8:9]
	global_load_ubyte v10, v1, s[8:9]
	;; [unrolled: 1-line block ×3, first 2 shown]
	v_lshrrev_b32_e32 v9, 3, v0
	v_cmp_gt_u32_e32 vcc, 64, v0
	v_subrev_co_u32_e64 v7, s[0:1], 1, v0
	v_add_u32_e32 v0, v6, v0
	v_add_u32_e32 v6, v9, v8
	v_mbcnt_lo_u32_b32 v8, -1, 0
	v_lshrrev_b32_e32 v11, 5, v7
	v_mbcnt_hi_u32_b32 v8, -1, v8
	s_xor_b64 s[4:5], s[0:1], -1
	s_movk_i32 s8, 0x64
	v_add_u32_e32 v7, v11, v7
	v_and_b32_e32 v9, 15, v8
	s_branch .LBB151_2
.LBB151_1:                              ;   in Loop: Header=BB151_2 Depth=1
	s_or_b64 exec, exec, s[2:3]
	v_add_u16_e32 v12, v11, v4
	s_add_i32 s8, s8, -1
	v_add_u16_e32 v10, v12, v5
	s_cmp_lg_u32 s8, 0
	v_mov_b32_e32 v4, v11
	v_mov_b32_e32 v5, v12
	s_cbranch_scc0 .LBB151_6
.LBB151_2:                              ; =>This Inner Loop Header: Depth=1
	s_waitcnt vmcnt(0)
	v_add_u16_e32 v11, v5, v4
	v_add_u16_e32 v10, v11, v10
	ds_write_b8 v0, v10
	s_waitcnt lgkmcnt(0)
	s_barrier
	s_and_saveexec_b64 s[6:7], vcc
	s_cbranch_execz .LBB151_4
; %bb.3:                                ;   in Loop: Header=BB151_2 Depth=1
	ds_read_u8 v11, v6
	ds_read_u8 v12, v6 offset:1
	ds_read_u8 v13, v6 offset:2
	;; [unrolled: 1-line block ×3, first 2 shown]
	v_cmp_ne_u32_e64 s[2:3], 0, v9
	v_and_b32_e32 v17, 16, v8
	s_waitcnt lgkmcnt(2)
	v_add_u16_e32 v15, v12, v11
	s_waitcnt lgkmcnt(1)
	v_add_u16_e32 v15, v15, v13
	;; [unrolled: 2-line block ×3, first 2 shown]
	v_and_b32_e32 v16, 0xff, v15
	s_nop 1
	v_mov_b32_dpp v16, v16 row_shr:1 row_mask:0xf bank_mask:0xf
	v_cndmask_b32_e64 v16, 0, v16, s[2:3]
	v_add_u16_e32 v15, v16, v15
	v_and_b32_e32 v16, 0xff, v15
	v_cmp_lt_u32_e64 s[2:3], 1, v9
	s_nop 0
	v_mov_b32_dpp v16, v16 row_shr:2 row_mask:0xf bank_mask:0xf
	v_cndmask_b32_e64 v16, 0, v16, s[2:3]
	v_add_u16_e32 v15, v15, v16
	v_and_b32_e32 v16, 0xff, v15
	v_cmp_lt_u32_e64 s[2:3], 3, v9
	s_nop 0
	v_mov_b32_dpp v16, v16 row_shr:4 row_mask:0xf bank_mask:0xf
	v_cndmask_b32_e64 v16, 0, v16, s[2:3]
	v_add_u16_e32 v15, v15, v16
	v_and_b32_e32 v16, 0xff, v15
	v_cmp_lt_u32_e64 s[2:3], 7, v9
	s_nop 0
	v_mov_b32_dpp v16, v16 row_shr:8 row_mask:0xf bank_mask:0xf
	v_cndmask_b32_e64 v16, 0, v16, s[2:3]
	v_add_u16_e32 v15, v15, v16
	v_and_b32_e32 v16, 0xff, v15
	v_cmp_ne_u32_e64 s[2:3], 0, v17
	v_and_b32_e32 v17, 64, v8
	v_mov_b32_dpp v16, v16 row_bcast:15 row_mask:0xf bank_mask:0xf
	v_cndmask_b32_e64 v16, 0, v16, s[2:3]
	v_add_u16_e32 v15, v15, v16
	v_and_b32_e32 v16, 0xff, v15
	v_cmp_lt_u32_e64 s[2:3], 31, v8
	s_nop 0
	v_mov_b32_dpp v16, v16 row_bcast:31 row_mask:0xf bank_mask:0xf
	v_cndmask_b32_e64 v16, 0, v16, s[2:3]
	v_add_u16_e32 v15, v15, v16
	v_add_u32_e32 v16, -1, v8
	v_cmp_lt_i32_e64 s[2:3], v16, v17
	v_cndmask_b32_e64 v16, v16, v8, s[2:3]
	v_lshlrev_b32_e32 v16, 2, v16
	v_and_b32_e32 v15, 0xff, v15
	ds_bpermute_b32 v15, v16, v15
	s_waitcnt lgkmcnt(0)
	v_add_u16_e32 v11, v11, v15
	v_cndmask_b32_e64 v10, v11, v10, s[0:1]
	ds_write_b8 v6, v10
	v_add_u16_e32 v10, v10, v12
	ds_write_b8 v6, v10 offset:1
	v_add_u16_e32 v10, v10, v13
	ds_write_b8 v6, v10 offset:2
	;; [unrolled: 2-line block ×3, first 2 shown]
.LBB151_4:                              ;   in Loop: Header=BB151_2 Depth=1
	s_or_b64 exec, exec, s[6:7]
	v_mov_b32_e32 v11, s12
	s_waitcnt lgkmcnt(0)
	s_barrier
	s_and_saveexec_b64 s[2:3], s[4:5]
	s_cbranch_execz .LBB151_1
; %bb.5:                                ;   in Loop: Header=BB151_2 Depth=1
	ds_read_u8 v10, v7
	s_waitcnt lgkmcnt(0)
	v_add_u16_e32 v11, s12, v10
	s_branch .LBB151_1
.LBB151_6:
	v_mov_b32_e32 v0, s11
	v_add_co_u32_e32 v3, vcc, s10, v3
	v_addc_co_u32_e32 v4, vcc, 0, v0, vcc
	v_add_co_u32_e32 v2, vcc, s10, v2
	global_store_byte v[3:4], v11, off
	v_addc_co_u32_e32 v3, vcc, 0, v0, vcc
	global_store_byte v[2:3], v12, off
	v_mov_b32_e32 v2, s11
	v_add_co_u32_e32 v0, vcc, s10, v1
	v_addc_co_u32_e32 v1, vcc, 0, v2, vcc
	global_store_byte v[0:1], v10, off
	s_endpgm
	.section	.rodata,"a",@progbits
	.p2align	6, 0x0
	.amdhsa_kernel _Z6kernelI14exclusive_scanILN6hipcub18BlockScanAlgorithmE1EEhLj256ELj3ELj100EEvPKT0_PS4_S4_
		.amdhsa_group_segment_fixed_size 264
		.amdhsa_private_segment_fixed_size 0
		.amdhsa_kernarg_size 280
		.amdhsa_user_sgpr_count 6
		.amdhsa_user_sgpr_private_segment_buffer 1
		.amdhsa_user_sgpr_dispatch_ptr 0
		.amdhsa_user_sgpr_queue_ptr 0
		.amdhsa_user_sgpr_kernarg_segment_ptr 1
		.amdhsa_user_sgpr_dispatch_id 0
		.amdhsa_user_sgpr_flat_scratch_init 0
		.amdhsa_user_sgpr_private_segment_size 0
		.amdhsa_uses_dynamic_stack 0
		.amdhsa_system_sgpr_private_segment_wavefront_offset 0
		.amdhsa_system_sgpr_workgroup_id_x 1
		.amdhsa_system_sgpr_workgroup_id_y 0
		.amdhsa_system_sgpr_workgroup_id_z 0
		.amdhsa_system_sgpr_workgroup_info 0
		.amdhsa_system_vgpr_workitem_id 0
		.amdhsa_next_free_vgpr 18
		.amdhsa_next_free_sgpr 13
		.amdhsa_reserve_vcc 1
		.amdhsa_reserve_flat_scratch 0
		.amdhsa_float_round_mode_32 0
		.amdhsa_float_round_mode_16_64 0
		.amdhsa_float_denorm_mode_32 3
		.amdhsa_float_denorm_mode_16_64 3
		.amdhsa_dx10_clamp 1
		.amdhsa_ieee_mode 1
		.amdhsa_fp16_overflow 0
		.amdhsa_exception_fp_ieee_invalid_op 0
		.amdhsa_exception_fp_denorm_src 0
		.amdhsa_exception_fp_ieee_div_zero 0
		.amdhsa_exception_fp_ieee_overflow 0
		.amdhsa_exception_fp_ieee_underflow 0
		.amdhsa_exception_fp_ieee_inexact 0
		.amdhsa_exception_int_div_zero 0
	.end_amdhsa_kernel
	.section	.text._Z6kernelI14exclusive_scanILN6hipcub18BlockScanAlgorithmE1EEhLj256ELj3ELj100EEvPKT0_PS4_S4_,"axG",@progbits,_Z6kernelI14exclusive_scanILN6hipcub18BlockScanAlgorithmE1EEhLj256ELj3ELj100EEvPKT0_PS4_S4_,comdat
.Lfunc_end151:
	.size	_Z6kernelI14exclusive_scanILN6hipcub18BlockScanAlgorithmE1EEhLj256ELj3ELj100EEvPKT0_PS4_S4_, .Lfunc_end151-_Z6kernelI14exclusive_scanILN6hipcub18BlockScanAlgorithmE1EEhLj256ELj3ELj100EEvPKT0_PS4_S4_
                                        ; -- End function
	.set _Z6kernelI14exclusive_scanILN6hipcub18BlockScanAlgorithmE1EEhLj256ELj3ELj100EEvPKT0_PS4_S4_.num_vgpr, 18
	.set _Z6kernelI14exclusive_scanILN6hipcub18BlockScanAlgorithmE1EEhLj256ELj3ELj100EEvPKT0_PS4_S4_.num_agpr, 0
	.set _Z6kernelI14exclusive_scanILN6hipcub18BlockScanAlgorithmE1EEhLj256ELj3ELj100EEvPKT0_PS4_S4_.numbered_sgpr, 13
	.set _Z6kernelI14exclusive_scanILN6hipcub18BlockScanAlgorithmE1EEhLj256ELj3ELj100EEvPKT0_PS4_S4_.num_named_barrier, 0
	.set _Z6kernelI14exclusive_scanILN6hipcub18BlockScanAlgorithmE1EEhLj256ELj3ELj100EEvPKT0_PS4_S4_.private_seg_size, 0
	.set _Z6kernelI14exclusive_scanILN6hipcub18BlockScanAlgorithmE1EEhLj256ELj3ELj100EEvPKT0_PS4_S4_.uses_vcc, 1
	.set _Z6kernelI14exclusive_scanILN6hipcub18BlockScanAlgorithmE1EEhLj256ELj3ELj100EEvPKT0_PS4_S4_.uses_flat_scratch, 0
	.set _Z6kernelI14exclusive_scanILN6hipcub18BlockScanAlgorithmE1EEhLj256ELj3ELj100EEvPKT0_PS4_S4_.has_dyn_sized_stack, 0
	.set _Z6kernelI14exclusive_scanILN6hipcub18BlockScanAlgorithmE1EEhLj256ELj3ELj100EEvPKT0_PS4_S4_.has_recursion, 0
	.set _Z6kernelI14exclusive_scanILN6hipcub18BlockScanAlgorithmE1EEhLj256ELj3ELj100EEvPKT0_PS4_S4_.has_indirect_call, 0
	.section	.AMDGPU.csdata,"",@progbits
; Kernel info:
; codeLenInByte = 728
; TotalNumSgprs: 17
; NumVgprs: 18
; ScratchSize: 0
; MemoryBound: 0
; FloatMode: 240
; IeeeMode: 1
; LDSByteSize: 264 bytes/workgroup (compile time only)
; SGPRBlocks: 2
; VGPRBlocks: 4
; NumSGPRsForWavesPerEU: 17
; NumVGPRsForWavesPerEU: 18
; Occupancy: 10
; WaveLimiterHint : 0
; COMPUTE_PGM_RSRC2:SCRATCH_EN: 0
; COMPUTE_PGM_RSRC2:USER_SGPR: 6
; COMPUTE_PGM_RSRC2:TRAP_HANDLER: 0
; COMPUTE_PGM_RSRC2:TGID_X_EN: 1
; COMPUTE_PGM_RSRC2:TGID_Y_EN: 0
; COMPUTE_PGM_RSRC2:TGID_Z_EN: 0
; COMPUTE_PGM_RSRC2:TIDIG_COMP_CNT: 0
	.section	.text._Z6kernelI14exclusive_scanILN6hipcub18BlockScanAlgorithmE1EEhLj256ELj4ELj100EEvPKT0_PS4_S4_,"axG",@progbits,_Z6kernelI14exclusive_scanILN6hipcub18BlockScanAlgorithmE1EEhLj256ELj4ELj100EEvPKT0_PS4_S4_,comdat
	.protected	_Z6kernelI14exclusive_scanILN6hipcub18BlockScanAlgorithmE1EEhLj256ELj4ELj100EEvPKT0_PS4_S4_ ; -- Begin function _Z6kernelI14exclusive_scanILN6hipcub18BlockScanAlgorithmE1EEhLj256ELj4ELj100EEvPKT0_PS4_S4_
	.globl	_Z6kernelI14exclusive_scanILN6hipcub18BlockScanAlgorithmE1EEhLj256ELj4ELj100EEvPKT0_PS4_S4_
	.p2align	8
	.type	_Z6kernelI14exclusive_scanILN6hipcub18BlockScanAlgorithmE1EEhLj256ELj4ELj100EEvPKT0_PS4_S4_,@function
_Z6kernelI14exclusive_scanILN6hipcub18BlockScanAlgorithmE1EEhLj256ELj4ELj100EEvPKT0_PS4_S4_: ; @_Z6kernelI14exclusive_scanILN6hipcub18BlockScanAlgorithmE1EEhLj256ELj4ELj100EEvPKT0_PS4_S4_
; %bb.0:
	s_load_dword s0, s[4:5], 0x24
	s_load_dwordx4 s[8:11], s[4:5], 0x0
	s_load_dword s12, s[4:5], 0x10
	v_mbcnt_lo_u32_b32 v3, -1, 0
	v_lshrrev_b32_e32 v4, 5, v0
	s_waitcnt lgkmcnt(0)
	s_and_b32 s0, s0, 0xffff
	s_mul_i32 s6, s6, s0
	v_add_lshl_u32 v1, s6, v0, 2
	global_load_dword v2, v1, s[8:9]
	v_subrev_co_u32_e64 v8, s[0:1], 1, v0
	v_lshlrev_b32_e32 v5, 2, v0
	v_lshrrev_b32_e32 v6, 3, v0
	v_mbcnt_hi_u32_b32 v3, -1, v3
	v_lshrrev_b32_e32 v9, 5, v8
	s_movk_i32 s8, 0x64
	v_cmp_gt_u32_e32 vcc, 64, v0
	s_xor_b64 s[4:5], s[0:1], -1
	v_add_u32_e32 v0, v4, v0
	v_add_u32_e32 v4, v6, v5
	v_and_b32_e32 v5, 15, v3
	v_and_b32_e32 v6, 16, v3
	v_add_u32_e32 v7, -1, v3
	v_add_u32_e32 v8, v9, v8
	v_and_b32_e32 v9, 64, v3
	s_waitcnt vmcnt(0)
	v_lshrrev_b32_e32 v12, 24, v2
	v_lshrrev_b32_e32 v10, 16, v2
	;; [unrolled: 1-line block ×3, first 2 shown]
.LBB152_1:                              ; =>This Inner Loop Header: Depth=1
	v_add_u16_e32 v13, v11, v2
	v_add_u16_e32 v13, v13, v10
	;; [unrolled: 1-line block ×3, first 2 shown]
	ds_write_b8 v0, v12
	s_waitcnt lgkmcnt(0)
	s_barrier
	s_and_saveexec_b64 s[6:7], vcc
	s_cbranch_execz .LBB152_3
; %bb.2:                                ;   in Loop: Header=BB152_1 Depth=1
	ds_read_u8 v13, v4
	ds_read_u8 v14, v4 offset:1
	ds_read_u8 v15, v4 offset:2
	;; [unrolled: 1-line block ×3, first 2 shown]
	v_cmp_ne_u32_e64 s[2:3], 0, v5
	s_waitcnt lgkmcnt(2)
	v_add_u16_e32 v17, v14, v13
	s_waitcnt lgkmcnt(1)
	v_add_u16_e32 v17, v17, v15
	;; [unrolled: 2-line block ×3, first 2 shown]
	v_and_b32_e32 v18, 0xff, v17
	s_nop 1
	v_mov_b32_dpp v18, v18 row_shr:1 row_mask:0xf bank_mask:0xf
	v_cndmask_b32_e64 v18, 0, v18, s[2:3]
	v_add_u16_e32 v17, v18, v17
	v_and_b32_e32 v18, 0xff, v17
	v_cmp_lt_u32_e64 s[2:3], 1, v5
	s_nop 0
	v_mov_b32_dpp v18, v18 row_shr:2 row_mask:0xf bank_mask:0xf
	v_cndmask_b32_e64 v18, 0, v18, s[2:3]
	v_add_u16_e32 v17, v17, v18
	v_and_b32_e32 v18, 0xff, v17
	v_cmp_lt_u32_e64 s[2:3], 3, v5
	;; [unrolled: 6-line block ×3, first 2 shown]
	s_nop 0
	v_mov_b32_dpp v18, v18 row_shr:8 row_mask:0xf bank_mask:0xf
	v_cndmask_b32_e64 v18, 0, v18, s[2:3]
	v_add_u16_e32 v17, v17, v18
	v_and_b32_e32 v18, 0xff, v17
	v_cmp_ne_u32_e64 s[2:3], 0, v6
	s_nop 0
	v_mov_b32_dpp v18, v18 row_bcast:15 row_mask:0xf bank_mask:0xf
	v_cndmask_b32_e64 v18, 0, v18, s[2:3]
	v_add_u16_e32 v17, v17, v18
	v_and_b32_e32 v18, 0xff, v17
	v_cmp_lt_u32_e64 s[2:3], 31, v3
	s_nop 0
	v_mov_b32_dpp v18, v18 row_bcast:31 row_mask:0xf bank_mask:0xf
	v_cndmask_b32_e64 v18, 0, v18, s[2:3]
	v_cmp_lt_i32_e64 s[2:3], v7, v9
	v_add_u16_e32 v17, v17, v18
	v_cndmask_b32_e64 v18, v7, v3, s[2:3]
	v_lshlrev_b32_e32 v18, 2, v18
	v_and_b32_e32 v17, 0xff, v17
	ds_bpermute_b32 v17, v18, v17
	s_waitcnt lgkmcnt(0)
	v_add_u16_e32 v13, v13, v17
	v_cndmask_b32_e64 v12, v13, v12, s[0:1]
	ds_write_b8 v4, v12
	v_add_u16_e32 v12, v12, v14
	ds_write_b8 v4, v12 offset:1
	v_add_u16_e32 v12, v12, v15
	ds_write_b8 v4, v12 offset:2
	;; [unrolled: 2-line block ×3, first 2 shown]
.LBB152_3:                              ;   in Loop: Header=BB152_1 Depth=1
	s_or_b64 exec, exec, s[6:7]
	v_mov_b32_e32 v13, s12
	s_waitcnt lgkmcnt(0)
	s_barrier
	s_and_saveexec_b64 s[2:3], s[4:5]
	s_cbranch_execz .LBB152_5
; %bb.4:                                ;   in Loop: Header=BB152_1 Depth=1
	ds_read_u8 v12, v8
	s_waitcnt lgkmcnt(0)
	v_add_u16_e32 v13, s12, v12
.LBB152_5:                              ;   in Loop: Header=BB152_1 Depth=1
	s_or_b64 exec, exec, s[2:3]
	v_add_u16_e32 v15, v13, v2
	v_add_u16_e32 v14, v15, v11
	s_add_i32 s8, s8, -1
	s_cmp_lg_u32 s8, 0
	v_add_u16_e32 v12, v14, v10
	s_cbranch_scc0 .LBB152_7
; %bb.6:                                ;   in Loop: Header=BB152_1 Depth=1
	v_mov_b32_e32 v2, v13
	v_mov_b32_e32 v11, v15
	;; [unrolled: 1-line block ×3, first 2 shown]
	s_branch .LBB152_1
.LBB152_7:
	v_lshlrev_b16_e32 v0, 8, v15
	v_lshlrev_b16_e32 v2, 8, v12
	v_or_b32_sdwa v0, v13, v0 dst_sel:DWORD dst_unused:UNUSED_PAD src0_sel:BYTE_0 src1_sel:DWORD
	v_or_b32_sdwa v2, v14, v2 dst_sel:WORD_1 dst_unused:UNUSED_PAD src0_sel:BYTE_0 src1_sel:DWORD
	v_or_b32_sdwa v2, v0, v2 dst_sel:DWORD dst_unused:UNUSED_PAD src0_sel:WORD_0 src1_sel:DWORD
	v_mov_b32_e32 v3, s11
	v_add_co_u32_e32 v0, vcc, s10, v1
	v_addc_co_u32_e32 v1, vcc, 0, v3, vcc
	global_store_dword v[0:1], v2, off
	s_endpgm
	.section	.rodata,"a",@progbits
	.p2align	6, 0x0
	.amdhsa_kernel _Z6kernelI14exclusive_scanILN6hipcub18BlockScanAlgorithmE1EEhLj256ELj4ELj100EEvPKT0_PS4_S4_
		.amdhsa_group_segment_fixed_size 264
		.amdhsa_private_segment_fixed_size 0
		.amdhsa_kernarg_size 280
		.amdhsa_user_sgpr_count 6
		.amdhsa_user_sgpr_private_segment_buffer 1
		.amdhsa_user_sgpr_dispatch_ptr 0
		.amdhsa_user_sgpr_queue_ptr 0
		.amdhsa_user_sgpr_kernarg_segment_ptr 1
		.amdhsa_user_sgpr_dispatch_id 0
		.amdhsa_user_sgpr_flat_scratch_init 0
		.amdhsa_user_sgpr_private_segment_size 0
		.amdhsa_uses_dynamic_stack 0
		.amdhsa_system_sgpr_private_segment_wavefront_offset 0
		.amdhsa_system_sgpr_workgroup_id_x 1
		.amdhsa_system_sgpr_workgroup_id_y 0
		.amdhsa_system_sgpr_workgroup_id_z 0
		.amdhsa_system_sgpr_workgroup_info 0
		.amdhsa_system_vgpr_workitem_id 0
		.amdhsa_next_free_vgpr 19
		.amdhsa_next_free_sgpr 13
		.amdhsa_reserve_vcc 1
		.amdhsa_reserve_flat_scratch 0
		.amdhsa_float_round_mode_32 0
		.amdhsa_float_round_mode_16_64 0
		.amdhsa_float_denorm_mode_32 3
		.amdhsa_float_denorm_mode_16_64 3
		.amdhsa_dx10_clamp 1
		.amdhsa_ieee_mode 1
		.amdhsa_fp16_overflow 0
		.amdhsa_exception_fp_ieee_invalid_op 0
		.amdhsa_exception_fp_denorm_src 0
		.amdhsa_exception_fp_ieee_div_zero 0
		.amdhsa_exception_fp_ieee_overflow 0
		.amdhsa_exception_fp_ieee_underflow 0
		.amdhsa_exception_fp_ieee_inexact 0
		.amdhsa_exception_int_div_zero 0
	.end_amdhsa_kernel
	.section	.text._Z6kernelI14exclusive_scanILN6hipcub18BlockScanAlgorithmE1EEhLj256ELj4ELj100EEvPKT0_PS4_S4_,"axG",@progbits,_Z6kernelI14exclusive_scanILN6hipcub18BlockScanAlgorithmE1EEhLj256ELj4ELj100EEvPKT0_PS4_S4_,comdat
.Lfunc_end152:
	.size	_Z6kernelI14exclusive_scanILN6hipcub18BlockScanAlgorithmE1EEhLj256ELj4ELj100EEvPKT0_PS4_S4_, .Lfunc_end152-_Z6kernelI14exclusive_scanILN6hipcub18BlockScanAlgorithmE1EEhLj256ELj4ELj100EEvPKT0_PS4_S4_
                                        ; -- End function
	.set _Z6kernelI14exclusive_scanILN6hipcub18BlockScanAlgorithmE1EEhLj256ELj4ELj100EEvPKT0_PS4_S4_.num_vgpr, 19
	.set _Z6kernelI14exclusive_scanILN6hipcub18BlockScanAlgorithmE1EEhLj256ELj4ELj100EEvPKT0_PS4_S4_.num_agpr, 0
	.set _Z6kernelI14exclusive_scanILN6hipcub18BlockScanAlgorithmE1EEhLj256ELj4ELj100EEvPKT0_PS4_S4_.numbered_sgpr, 13
	.set _Z6kernelI14exclusive_scanILN6hipcub18BlockScanAlgorithmE1EEhLj256ELj4ELj100EEvPKT0_PS4_S4_.num_named_barrier, 0
	.set _Z6kernelI14exclusive_scanILN6hipcub18BlockScanAlgorithmE1EEhLj256ELj4ELj100EEvPKT0_PS4_S4_.private_seg_size, 0
	.set _Z6kernelI14exclusive_scanILN6hipcub18BlockScanAlgorithmE1EEhLj256ELj4ELj100EEvPKT0_PS4_S4_.uses_vcc, 1
	.set _Z6kernelI14exclusive_scanILN6hipcub18BlockScanAlgorithmE1EEhLj256ELj4ELj100EEvPKT0_PS4_S4_.uses_flat_scratch, 0
	.set _Z6kernelI14exclusive_scanILN6hipcub18BlockScanAlgorithmE1EEhLj256ELj4ELj100EEvPKT0_PS4_S4_.has_dyn_sized_stack, 0
	.set _Z6kernelI14exclusive_scanILN6hipcub18BlockScanAlgorithmE1EEhLj256ELj4ELj100EEvPKT0_PS4_S4_.has_recursion, 0
	.set _Z6kernelI14exclusive_scanILN6hipcub18BlockScanAlgorithmE1EEhLj256ELj4ELj100EEvPKT0_PS4_S4_.has_indirect_call, 0
	.section	.AMDGPU.csdata,"",@progbits
; Kernel info:
; codeLenInByte = 720
; TotalNumSgprs: 17
; NumVgprs: 19
; ScratchSize: 0
; MemoryBound: 0
; FloatMode: 240
; IeeeMode: 1
; LDSByteSize: 264 bytes/workgroup (compile time only)
; SGPRBlocks: 2
; VGPRBlocks: 4
; NumSGPRsForWavesPerEU: 17
; NumVGPRsForWavesPerEU: 19
; Occupancy: 10
; WaveLimiterHint : 0
; COMPUTE_PGM_RSRC2:SCRATCH_EN: 0
; COMPUTE_PGM_RSRC2:USER_SGPR: 6
; COMPUTE_PGM_RSRC2:TRAP_HANDLER: 0
; COMPUTE_PGM_RSRC2:TGID_X_EN: 1
; COMPUTE_PGM_RSRC2:TGID_Y_EN: 0
; COMPUTE_PGM_RSRC2:TGID_Z_EN: 0
; COMPUTE_PGM_RSRC2:TIDIG_COMP_CNT: 0
	.section	.text._Z6kernelI14exclusive_scanILN6hipcub18BlockScanAlgorithmE1EEhLj256ELj8ELj100EEvPKT0_PS4_S4_,"axG",@progbits,_Z6kernelI14exclusive_scanILN6hipcub18BlockScanAlgorithmE1EEhLj256ELj8ELj100EEvPKT0_PS4_S4_,comdat
	.protected	_Z6kernelI14exclusive_scanILN6hipcub18BlockScanAlgorithmE1EEhLj256ELj8ELj100EEvPKT0_PS4_S4_ ; -- Begin function _Z6kernelI14exclusive_scanILN6hipcub18BlockScanAlgorithmE1EEhLj256ELj8ELj100EEvPKT0_PS4_S4_
	.globl	_Z6kernelI14exclusive_scanILN6hipcub18BlockScanAlgorithmE1EEhLj256ELj8ELj100EEvPKT0_PS4_S4_
	.p2align	8
	.type	_Z6kernelI14exclusive_scanILN6hipcub18BlockScanAlgorithmE1EEhLj256ELj8ELj100EEvPKT0_PS4_S4_,@function
_Z6kernelI14exclusive_scanILN6hipcub18BlockScanAlgorithmE1EEhLj256ELj8ELj100EEvPKT0_PS4_S4_: ; @_Z6kernelI14exclusive_scanILN6hipcub18BlockScanAlgorithmE1EEhLj256ELj8ELj100EEvPKT0_PS4_S4_
; %bb.0:
	s_load_dword s0, s[4:5], 0x24
	s_load_dwordx4 s[8:11], s[4:5], 0x0
	s_load_dword s12, s[4:5], 0x10
	v_lshrrev_b32_e32 v4, 5, v0
	v_lshlrev_b32_e32 v6, 2, v0
	s_waitcnt lgkmcnt(0)
	s_and_b32 s0, s0, 0xffff
	s_mul_i32 s6, s6, s0
	v_add_lshl_u32 v3, s6, v0, 3
	global_load_dwordx2 v[1:2], v3, s[8:9]
	v_lshrrev_b32_e32 v7, 3, v0
	v_cmp_gt_u32_e32 vcc, 64, v0
	v_subrev_co_u32_e64 v5, s[0:1], 1, v0
	v_add_u32_e32 v0, v4, v0
	v_add_u32_e32 v4, v7, v6
	v_mbcnt_lo_u32_b32 v6, -1, 0
	v_lshrrev_b32_e32 v8, 5, v5
	v_mbcnt_hi_u32_b32 v6, -1, v6
	s_xor_b64 s[4:5], s[0:1], -1
	s_movk_i32 s8, 0x64
	v_add_u32_e32 v5, v8, v5
	v_and_b32_e32 v7, 15, v6
	s_branch .LBB153_2
.LBB153_1:                              ;   in Loop: Header=BB153_2 Depth=1
	s_or_b64 exec, exec, s[2:3]
	v_add_u16_e32 v11, v10, v1
	v_add_u16_e32 v8, v11, v8
	v_add_u16_sdwa v12, v8, v1 dst_sel:DWORD dst_unused:UNUSED_PAD src0_sel:DWORD src1_sel:WORD_1
	v_add_u16_sdwa v13, v12, v1 dst_sel:DWORD dst_unused:UNUSED_PAD src0_sel:DWORD src1_sel:BYTE_3
	v_add_u16_e32 v14, v13, v2
	v_add_u16_e32 v9, v14, v9
	v_add_u16_sdwa v15, v9, v2 dst_sel:DWORD dst_unused:UNUSED_PAD src0_sel:DWORD src1_sel:WORD_1
	v_lshlrev_b16_e32 v1, 8, v11
	v_lshlrev_b16_e32 v2, 8, v12
	v_or_b32_sdwa v1, v10, v1 dst_sel:DWORD dst_unused:UNUSED_PAD src0_sel:BYTE_0 src1_sel:DWORD
	v_or_b32_sdwa v2, v8, v2 dst_sel:WORD_1 dst_unused:UNUSED_PAD src0_sel:BYTE_0 src1_sel:DWORD
	v_or_b32_sdwa v1, v1, v2 dst_sel:DWORD dst_unused:UNUSED_PAD src0_sel:WORD_0 src1_sel:DWORD
	v_lshlrev_b16_e32 v2, 8, v14
	v_lshlrev_b16_e32 v16, 8, v15
	v_or_b32_sdwa v2, v13, v2 dst_sel:DWORD dst_unused:UNUSED_PAD src0_sel:BYTE_0 src1_sel:DWORD
	v_or_b32_sdwa v16, v9, v16 dst_sel:WORD_1 dst_unused:UNUSED_PAD src0_sel:BYTE_0 src1_sel:DWORD
	s_add_i32 s8, s8, -1
	s_cmp_lg_u32 s8, 0
	v_or_b32_sdwa v2, v2, v16 dst_sel:DWORD dst_unused:UNUSED_PAD src0_sel:WORD_0 src1_sel:DWORD
	s_cbranch_scc0 .LBB153_6
.LBB153_2:                              ; =>This Inner Loop Header: Depth=1
	s_waitcnt vmcnt(0)
	v_lshrrev_b32_e32 v8, 8, v1
	v_add_u16_e32 v9, v8, v1
	v_add_u16_sdwa v9, v9, v1 dst_sel:DWORD dst_unused:UNUSED_PAD src0_sel:DWORD src1_sel:WORD_1
	v_add_u16_sdwa v9, v9, v1 dst_sel:DWORD dst_unused:UNUSED_PAD src0_sel:DWORD src1_sel:BYTE_3
	v_add_u16_e32 v10, v9, v2
	v_lshrrev_b32_e32 v9, 8, v2
	v_add_u16_e32 v10, v10, v9
	v_add_u16_sdwa v10, v10, v2 dst_sel:DWORD dst_unused:UNUSED_PAD src0_sel:DWORD src1_sel:WORD_1
	v_add_u16_sdwa v10, v10, v2 dst_sel:DWORD dst_unused:UNUSED_PAD src0_sel:DWORD src1_sel:BYTE_3
	ds_write_b8 v0, v10
	s_waitcnt lgkmcnt(0)
	s_barrier
	s_and_saveexec_b64 s[6:7], vcc
	s_cbranch_execz .LBB153_4
; %bb.3:                                ;   in Loop: Header=BB153_2 Depth=1
	ds_read_u8 v11, v4
	ds_read_u8 v12, v4 offset:1
	ds_read_u8 v13, v4 offset:2
	;; [unrolled: 1-line block ×3, first 2 shown]
	v_cmp_ne_u32_e64 s[2:3], 0, v7
	v_and_b32_e32 v17, 16, v6
	s_waitcnt lgkmcnt(2)
	v_add_u16_e32 v15, v12, v11
	s_waitcnt lgkmcnt(1)
	v_add_u16_e32 v15, v15, v13
	;; [unrolled: 2-line block ×3, first 2 shown]
	v_and_b32_e32 v16, 0xff, v15
	s_nop 1
	v_mov_b32_dpp v16, v16 row_shr:1 row_mask:0xf bank_mask:0xf
	v_cndmask_b32_e64 v16, 0, v16, s[2:3]
	v_add_u16_e32 v15, v16, v15
	v_and_b32_e32 v16, 0xff, v15
	v_cmp_lt_u32_e64 s[2:3], 1, v7
	s_nop 0
	v_mov_b32_dpp v16, v16 row_shr:2 row_mask:0xf bank_mask:0xf
	v_cndmask_b32_e64 v16, 0, v16, s[2:3]
	v_add_u16_e32 v15, v15, v16
	v_and_b32_e32 v16, 0xff, v15
	v_cmp_lt_u32_e64 s[2:3], 3, v7
	;; [unrolled: 6-line block ×3, first 2 shown]
	s_nop 0
	v_mov_b32_dpp v16, v16 row_shr:8 row_mask:0xf bank_mask:0xf
	v_cndmask_b32_e64 v16, 0, v16, s[2:3]
	v_add_u16_e32 v15, v15, v16
	v_and_b32_e32 v16, 0xff, v15
	v_cmp_ne_u32_e64 s[2:3], 0, v17
	v_and_b32_e32 v17, 64, v6
	v_mov_b32_dpp v16, v16 row_bcast:15 row_mask:0xf bank_mask:0xf
	v_cndmask_b32_e64 v16, 0, v16, s[2:3]
	v_add_u16_e32 v15, v15, v16
	v_and_b32_e32 v16, 0xff, v15
	v_cmp_lt_u32_e64 s[2:3], 31, v6
	s_nop 0
	v_mov_b32_dpp v16, v16 row_bcast:31 row_mask:0xf bank_mask:0xf
	v_cndmask_b32_e64 v16, 0, v16, s[2:3]
	v_add_u16_e32 v15, v15, v16
	v_add_u32_e32 v16, -1, v6
	v_cmp_lt_i32_e64 s[2:3], v16, v17
	v_cndmask_b32_e64 v16, v16, v6, s[2:3]
	v_lshlrev_b32_e32 v16, 2, v16
	v_and_b32_e32 v15, 0xff, v15
	ds_bpermute_b32 v15, v16, v15
	s_waitcnt lgkmcnt(0)
	v_add_u16_e32 v11, v11, v15
	v_cndmask_b32_e64 v10, v11, v10, s[0:1]
	ds_write_b8 v4, v10
	v_add_u16_e32 v10, v10, v12
	ds_write_b8 v4, v10 offset:1
	v_add_u16_e32 v10, v10, v13
	ds_write_b8 v4, v10 offset:2
	;; [unrolled: 2-line block ×3, first 2 shown]
.LBB153_4:                              ;   in Loop: Header=BB153_2 Depth=1
	s_or_b64 exec, exec, s[6:7]
	v_mov_b32_e32 v10, s12
	s_waitcnt lgkmcnt(0)
	s_barrier
	s_and_saveexec_b64 s[2:3], s[4:5]
	s_cbranch_execz .LBB153_1
; %bb.5:                                ;   in Loop: Header=BB153_2 Depth=1
	ds_read_u8 v10, v5
	s_waitcnt lgkmcnt(0)
	v_add_u16_e32 v10, s12, v10
	s_branch .LBB153_1
.LBB153_6:
	s_mov_b32 s0, 0xc0c0004
	v_add_co_u32_e32 v0, vcc, s10, v3
	v_perm_b32 v2, v13, v14, s0
	v_perm_b32 v3, v9, v15, s0
	v_mov_b32_e32 v1, s11
	v_lshl_or_b32 v3, v3, 16, v2
	v_perm_b32 v2, v10, v11, s0
	v_perm_b32 v4, v8, v12, s0
	v_addc_co_u32_e32 v1, vcc, 0, v1, vcc
	v_lshl_or_b32 v2, v4, 16, v2
	global_store_dwordx2 v[0:1], v[2:3], off
	s_endpgm
	.section	.rodata,"a",@progbits
	.p2align	6, 0x0
	.amdhsa_kernel _Z6kernelI14exclusive_scanILN6hipcub18BlockScanAlgorithmE1EEhLj256ELj8ELj100EEvPKT0_PS4_S4_
		.amdhsa_group_segment_fixed_size 264
		.amdhsa_private_segment_fixed_size 0
		.amdhsa_kernarg_size 280
		.amdhsa_user_sgpr_count 6
		.amdhsa_user_sgpr_private_segment_buffer 1
		.amdhsa_user_sgpr_dispatch_ptr 0
		.amdhsa_user_sgpr_queue_ptr 0
		.amdhsa_user_sgpr_kernarg_segment_ptr 1
		.amdhsa_user_sgpr_dispatch_id 0
		.amdhsa_user_sgpr_flat_scratch_init 0
		.amdhsa_user_sgpr_private_segment_size 0
		.amdhsa_uses_dynamic_stack 0
		.amdhsa_system_sgpr_private_segment_wavefront_offset 0
		.amdhsa_system_sgpr_workgroup_id_x 1
		.amdhsa_system_sgpr_workgroup_id_y 0
		.amdhsa_system_sgpr_workgroup_id_z 0
		.amdhsa_system_sgpr_workgroup_info 0
		.amdhsa_system_vgpr_workitem_id 0
		.amdhsa_next_free_vgpr 18
		.amdhsa_next_free_sgpr 13
		.amdhsa_reserve_vcc 1
		.amdhsa_reserve_flat_scratch 0
		.amdhsa_float_round_mode_32 0
		.amdhsa_float_round_mode_16_64 0
		.amdhsa_float_denorm_mode_32 3
		.amdhsa_float_denorm_mode_16_64 3
		.amdhsa_dx10_clamp 1
		.amdhsa_ieee_mode 1
		.amdhsa_fp16_overflow 0
		.amdhsa_exception_fp_ieee_invalid_op 0
		.amdhsa_exception_fp_denorm_src 0
		.amdhsa_exception_fp_ieee_div_zero 0
		.amdhsa_exception_fp_ieee_overflow 0
		.amdhsa_exception_fp_ieee_underflow 0
		.amdhsa_exception_fp_ieee_inexact 0
		.amdhsa_exception_int_div_zero 0
	.end_amdhsa_kernel
	.section	.text._Z6kernelI14exclusive_scanILN6hipcub18BlockScanAlgorithmE1EEhLj256ELj8ELj100EEvPKT0_PS4_S4_,"axG",@progbits,_Z6kernelI14exclusive_scanILN6hipcub18BlockScanAlgorithmE1EEhLj256ELj8ELj100EEvPKT0_PS4_S4_,comdat
.Lfunc_end153:
	.size	_Z6kernelI14exclusive_scanILN6hipcub18BlockScanAlgorithmE1EEhLj256ELj8ELj100EEvPKT0_PS4_S4_, .Lfunc_end153-_Z6kernelI14exclusive_scanILN6hipcub18BlockScanAlgorithmE1EEhLj256ELj8ELj100EEvPKT0_PS4_S4_
                                        ; -- End function
	.set _Z6kernelI14exclusive_scanILN6hipcub18BlockScanAlgorithmE1EEhLj256ELj8ELj100EEvPKT0_PS4_S4_.num_vgpr, 18
	.set _Z6kernelI14exclusive_scanILN6hipcub18BlockScanAlgorithmE1EEhLj256ELj8ELj100EEvPKT0_PS4_S4_.num_agpr, 0
	.set _Z6kernelI14exclusive_scanILN6hipcub18BlockScanAlgorithmE1EEhLj256ELj8ELj100EEvPKT0_PS4_S4_.numbered_sgpr, 13
	.set _Z6kernelI14exclusive_scanILN6hipcub18BlockScanAlgorithmE1EEhLj256ELj8ELj100EEvPKT0_PS4_S4_.num_named_barrier, 0
	.set _Z6kernelI14exclusive_scanILN6hipcub18BlockScanAlgorithmE1EEhLj256ELj8ELj100EEvPKT0_PS4_S4_.private_seg_size, 0
	.set _Z6kernelI14exclusive_scanILN6hipcub18BlockScanAlgorithmE1EEhLj256ELj8ELj100EEvPKT0_PS4_S4_.uses_vcc, 1
	.set _Z6kernelI14exclusive_scanILN6hipcub18BlockScanAlgorithmE1EEhLj256ELj8ELj100EEvPKT0_PS4_S4_.uses_flat_scratch, 0
	.set _Z6kernelI14exclusive_scanILN6hipcub18BlockScanAlgorithmE1EEhLj256ELj8ELj100EEvPKT0_PS4_S4_.has_dyn_sized_stack, 0
	.set _Z6kernelI14exclusive_scanILN6hipcub18BlockScanAlgorithmE1EEhLj256ELj8ELj100EEvPKT0_PS4_S4_.has_recursion, 0
	.set _Z6kernelI14exclusive_scanILN6hipcub18BlockScanAlgorithmE1EEhLj256ELj8ELj100EEvPKT0_PS4_S4_.has_indirect_call, 0
	.section	.AMDGPU.csdata,"",@progbits
; Kernel info:
; codeLenInByte = 852
; TotalNumSgprs: 17
; NumVgprs: 18
; ScratchSize: 0
; MemoryBound: 0
; FloatMode: 240
; IeeeMode: 1
; LDSByteSize: 264 bytes/workgroup (compile time only)
; SGPRBlocks: 2
; VGPRBlocks: 4
; NumSGPRsForWavesPerEU: 17
; NumVGPRsForWavesPerEU: 18
; Occupancy: 10
; WaveLimiterHint : 0
; COMPUTE_PGM_RSRC2:SCRATCH_EN: 0
; COMPUTE_PGM_RSRC2:USER_SGPR: 6
; COMPUTE_PGM_RSRC2:TRAP_HANDLER: 0
; COMPUTE_PGM_RSRC2:TGID_X_EN: 1
; COMPUTE_PGM_RSRC2:TGID_Y_EN: 0
; COMPUTE_PGM_RSRC2:TGID_Z_EN: 0
; COMPUTE_PGM_RSRC2:TIDIG_COMP_CNT: 0
	.section	.text._Z6kernelI14exclusive_scanILN6hipcub18BlockScanAlgorithmE1EEhLj256ELj11ELj100EEvPKT0_PS4_S4_,"axG",@progbits,_Z6kernelI14exclusive_scanILN6hipcub18BlockScanAlgorithmE1EEhLj256ELj11ELj100EEvPKT0_PS4_S4_,comdat
	.protected	_Z6kernelI14exclusive_scanILN6hipcub18BlockScanAlgorithmE1EEhLj256ELj11ELj100EEvPKT0_PS4_S4_ ; -- Begin function _Z6kernelI14exclusive_scanILN6hipcub18BlockScanAlgorithmE1EEhLj256ELj11ELj100EEvPKT0_PS4_S4_
	.globl	_Z6kernelI14exclusive_scanILN6hipcub18BlockScanAlgorithmE1EEhLj256ELj11ELj100EEvPKT0_PS4_S4_
	.p2align	8
	.type	_Z6kernelI14exclusive_scanILN6hipcub18BlockScanAlgorithmE1EEhLj256ELj11ELj100EEvPKT0_PS4_S4_,@function
_Z6kernelI14exclusive_scanILN6hipcub18BlockScanAlgorithmE1EEhLj256ELj11ELj100EEvPKT0_PS4_S4_: ; @_Z6kernelI14exclusive_scanILN6hipcub18BlockScanAlgorithmE1EEhLj256ELj11ELj100EEvPKT0_PS4_S4_
; %bb.0:
	s_load_dword s0, s[4:5], 0x24
	s_load_dword s10, s[4:5], 0x10
	s_mov_b32 s2, 0xc0c0004
	v_lshrrev_b32_e32 v12, 5, v0
	v_lshlrev_b32_e32 v26, 2, v0
	s_waitcnt lgkmcnt(0)
	s_and_b32 s0, s0, 0xffff
	s_mul_i32 s6, s6, s0
	v_add_u32_e32 v1, s6, v0
	s_load_dwordx4 s[4:7], s[4:5], 0x0
	v_mul_lo_u32 v10, v1, 11
	v_subrev_co_u32_e64 v13, s[0:1], 1, v0
	v_lshrrev_b32_e32 v27, 3, v0
	v_add_u32_e32 v8, 1, v10
	v_add_u32_e32 v6, 2, v10
	;; [unrolled: 1-line block ×7, first 2 shown]
	s_waitcnt lgkmcnt(0)
	global_load_ubyte v17, v10, s[4:5]
	global_load_ubyte v18, v8, s[4:5]
	;; [unrolled: 1-line block ×8, first 2 shown]
	v_add_u32_e32 v11, 8, v10
	v_add_u32_e32 v9, 9, v10
	;; [unrolled: 1-line block ×3, first 2 shown]
	global_load_ubyte v14, v11, s[4:5]
	global_load_ubyte v15, v9, s[4:5]
	;; [unrolled: 1-line block ×3, first 2 shown]
	v_mbcnt_lo_u32_b32 v25, -1, 0
	v_cmp_gt_u32_e32 vcc, 64, v0
	v_add_u32_e32 v0, v12, v0
	v_add_u32_e32 v12, v27, v26
	v_lshrrev_b32_e32 v26, 5, v13
	s_movk_i32 s11, 0x64
	s_xor_b64 s[4:5], s[0:1], -1
	v_add_u32_e32 v13, v26, v13
	s_waitcnt vmcnt(9)
	v_perm_b32 v17, v17, v18, s2
	s_waitcnt vmcnt(7)
	v_perm_b32 v18, v19, v20, s2
	v_lshl_or_b32 v18, v18, 16, v17
	s_waitcnt vmcnt(5)
	v_perm_b32 v19, v22, v21, s2
	v_mbcnt_hi_u32_b32 v17, -1, v25
	s_waitcnt vmcnt(3)
	v_perm_b32 v20, v24, v23, s2
	v_lshl_or_b32 v19, v20, 16, v19
.LBB154_1:                              ; =>This Inner Loop Header: Depth=1
	v_lshrrev_b32_e32 v21, 8, v18
	v_add_u16_e32 v22, v21, v18
	v_add_u16_sdwa v22, v22, v18 dst_sel:DWORD dst_unused:UNUSED_PAD src0_sel:DWORD src1_sel:WORD_1
	v_add_u16_sdwa v22, v22, v18 dst_sel:DWORD dst_unused:UNUSED_PAD src0_sel:DWORD src1_sel:BYTE_3
	v_lshrrev_b32_e32 v20, 8, v19
	v_add_u16_e32 v22, v22, v19
	v_add_u16_e32 v22, v22, v20
	v_add_u16_sdwa v22, v22, v19 dst_sel:DWORD dst_unused:UNUSED_PAD src0_sel:DWORD src1_sel:WORD_1
	v_add_u16_sdwa v22, v22, v19 dst_sel:DWORD dst_unused:UNUSED_PAD src0_sel:DWORD src1_sel:BYTE_3
	s_waitcnt vmcnt(2)
	v_add_u16_e32 v22, v22, v14
	s_waitcnt vmcnt(1)
	v_add_u16_e32 v22, v22, v15
	s_waitcnt vmcnt(0)
	v_add_u16_e32 v16, v22, v16
	ds_write_b8 v0, v16
	s_waitcnt lgkmcnt(0)
	s_barrier
	s_and_saveexec_b64 s[8:9], vcc
	s_cbranch_execz .LBB154_3
; %bb.2:                                ;   in Loop: Header=BB154_1 Depth=1
	ds_read_u8 v22, v12
	ds_read_u8 v23, v12 offset:1
	ds_read_u8 v24, v12 offset:2
	;; [unrolled: 1-line block ×3, first 2 shown]
	v_and_b32_e32 v26, 15, v17
	v_cmp_ne_u32_e64 s[2:3], 0, v26
	s_waitcnt lgkmcnt(2)
	v_add_u16_e32 v27, v23, v22
	s_waitcnt lgkmcnt(1)
	v_add_u16_e32 v27, v27, v24
	;; [unrolled: 2-line block ×3, first 2 shown]
	v_and_b32_e32 v28, 0xff, v27
	s_nop 1
	v_mov_b32_dpp v28, v28 row_shr:1 row_mask:0xf bank_mask:0xf
	v_cndmask_b32_e64 v28, 0, v28, s[2:3]
	v_add_u16_e32 v27, v28, v27
	v_and_b32_e32 v28, 0xff, v27
	v_cmp_lt_u32_e64 s[2:3], 1, v26
	s_nop 0
	v_mov_b32_dpp v28, v28 row_shr:2 row_mask:0xf bank_mask:0xf
	v_cndmask_b32_e64 v28, 0, v28, s[2:3]
	v_add_u16_e32 v27, v27, v28
	v_and_b32_e32 v28, 0xff, v27
	v_cmp_lt_u32_e64 s[2:3], 3, v26
	;; [unrolled: 6-line block ×3, first 2 shown]
	s_nop 0
	v_mov_b32_dpp v28, v28 row_shr:8 row_mask:0xf bank_mask:0xf
	v_cndmask_b32_e64 v26, 0, v28, s[2:3]
	v_add_u16_e32 v26, v27, v26
	v_and_b32_e32 v27, 0xff, v26
	v_and_b32_e32 v28, 16, v17
	v_cmp_ne_u32_e64 s[2:3], 0, v28
	v_mov_b32_dpp v27, v27 row_bcast:15 row_mask:0xf bank_mask:0xf
	v_cndmask_b32_e64 v27, 0, v27, s[2:3]
	v_add_u16_e32 v26, v26, v27
	v_and_b32_e32 v27, 0xff, v26
	v_cmp_lt_u32_e64 s[2:3], 31, v17
	v_and_b32_e32 v28, 64, v17
	v_mov_b32_dpp v27, v27 row_bcast:31 row_mask:0xf bank_mask:0xf
	v_cndmask_b32_e64 v27, 0, v27, s[2:3]
	v_add_u16_e32 v26, v26, v27
	v_add_u32_e32 v27, -1, v17
	v_cmp_lt_i32_e64 s[2:3], v27, v28
	v_cndmask_b32_e64 v27, v27, v17, s[2:3]
	v_lshlrev_b32_e32 v27, 2, v27
	v_and_b32_e32 v26, 0xff, v26
	ds_bpermute_b32 v26, v27, v26
	s_waitcnt lgkmcnt(0)
	v_add_u16_e32 v22, v22, v26
	v_cndmask_b32_e64 v16, v22, v16, s[0:1]
	ds_write_b8 v12, v16
	v_add_u16_e32 v16, v16, v23
	ds_write_b8 v12, v16 offset:1
	v_add_u16_e32 v16, v16, v24
	ds_write_b8 v12, v16 offset:2
	;; [unrolled: 2-line block ×3, first 2 shown]
.LBB154_3:                              ;   in Loop: Header=BB154_1 Depth=1
	s_or_b64 exec, exec, s[8:9]
	v_mov_b32_e32 v28, s10
	s_waitcnt lgkmcnt(0)
	s_barrier
	s_and_saveexec_b64 s[2:3], s[4:5]
	s_cbranch_execz .LBB154_5
; %bb.4:                                ;   in Loop: Header=BB154_1 Depth=1
	ds_read_u8 v16, v13
	s_waitcnt lgkmcnt(0)
	v_add_u16_e32 v28, s10, v16
.LBB154_5:                              ;   in Loop: Header=BB154_1 Depth=1
	s_or_b64 exec, exec, s[2:3]
	v_add_u16_e32 v29, v28, v18
	v_add_u16_e32 v27, v29, v21
	v_add_u16_sdwa v26, v27, v18 dst_sel:DWORD dst_unused:UNUSED_PAD src0_sel:DWORD src1_sel:WORD_1
	v_add_u16_sdwa v25, v26, v18 dst_sel:DWORD dst_unused:UNUSED_PAD src0_sel:DWORD src1_sel:BYTE_3
	v_add_u16_e32 v24, v25, v19
	v_add_u16_e32 v23, v24, v20
	v_add_u16_sdwa v22, v23, v19 dst_sel:DWORD dst_unused:UNUSED_PAD src0_sel:DWORD src1_sel:WORD_1
	v_add_u16_sdwa v21, v22, v19 dst_sel:DWORD dst_unused:UNUSED_PAD src0_sel:DWORD src1_sel:BYTE_3
	v_add_u16_e32 v20, v21, v14
	v_add_u16_e32 v16, v20, v15
	v_lshlrev_b16_e32 v14, 8, v29
	v_lshlrev_b16_e32 v15, 8, v26
	v_or_b32_sdwa v14, v28, v14 dst_sel:DWORD dst_unused:UNUSED_PAD src0_sel:BYTE_0 src1_sel:DWORD
	v_or_b32_sdwa v15, v27, v15 dst_sel:WORD_1 dst_unused:UNUSED_PAD src0_sel:BYTE_0 src1_sel:DWORD
	v_or_b32_sdwa v18, v14, v15 dst_sel:DWORD dst_unused:UNUSED_PAD src0_sel:WORD_0 src1_sel:DWORD
	v_lshlrev_b16_e32 v14, 8, v24
	v_lshlrev_b16_e32 v15, 8, v22
	v_or_b32_sdwa v14, v25, v14 dst_sel:DWORD dst_unused:UNUSED_PAD src0_sel:BYTE_0 src1_sel:DWORD
	v_or_b32_sdwa v15, v23, v15 dst_sel:WORD_1 dst_unused:UNUSED_PAD src0_sel:BYTE_0 src1_sel:DWORD
	s_add_i32 s11, s11, -1
	s_cmp_lg_u32 s11, 0
	v_or_b32_sdwa v19, v14, v15 dst_sel:DWORD dst_unused:UNUSED_PAD src0_sel:WORD_0 src1_sel:DWORD
	s_cbranch_scc0 .LBB154_7
; %bb.6:                                ;   in Loop: Header=BB154_1 Depth=1
	v_mov_b32_e32 v14, v21
	v_mov_b32_e32 v15, v20
	s_branch .LBB154_1
.LBB154_7:
	v_mov_b32_e32 v0, s7
	v_add_co_u32_e32 v12, vcc, s6, v10
	v_addc_co_u32_e32 v13, vcc, 0, v0, vcc
	global_store_byte v[12:13], v28, off
	v_add_co_u32_e32 v12, vcc, s6, v8
	v_addc_co_u32_e32 v13, vcc, 0, v0, vcc
	global_store_byte v[12:13], v29, off
	v_add_co_u32_e32 v12, vcc, s6, v6
	v_addc_co_u32_e32 v13, vcc, 0, v0, vcc
	v_add_co_u32_e32 v5, vcc, s6, v5
	v_addc_co_u32_e32 v6, vcc, 0, v0, vcc
	v_add_co_u32_e32 v4, vcc, s6, v4
	global_store_byte v[5:6], v26, off
	v_addc_co_u32_e32 v5, vcc, 0, v0, vcc
	v_add_co_u32_e32 v3, vcc, s6, v3
	global_store_byte v[4:5], v25, off
	;; [unrolled: 3-line block ×3, first 2 shown]
	v_addc_co_u32_e32 v3, vcc, 0, v0, vcc
	global_store_byte v[2:3], v23, off
	v_mov_b32_e32 v2, s7
	v_add_co_u32_e32 v0, vcc, s6, v1
	v_addc_co_u32_e32 v1, vcc, 0, v2, vcc
	global_store_byte v[0:1], v22, off
	v_mov_b32_e32 v1, s7
	v_add_co_u32_e32 v0, vcc, s6, v11
	;; [unrolled: 4-line block ×4, first 2 shown]
	v_addc_co_u32_e32 v1, vcc, 0, v1, vcc
	global_store_byte v[12:13], v27, off
	global_store_byte v[0:1], v16, off
	s_endpgm
	.section	.rodata,"a",@progbits
	.p2align	6, 0x0
	.amdhsa_kernel _Z6kernelI14exclusive_scanILN6hipcub18BlockScanAlgorithmE1EEhLj256ELj11ELj100EEvPKT0_PS4_S4_
		.amdhsa_group_segment_fixed_size 264
		.amdhsa_private_segment_fixed_size 0
		.amdhsa_kernarg_size 280
		.amdhsa_user_sgpr_count 6
		.amdhsa_user_sgpr_private_segment_buffer 1
		.amdhsa_user_sgpr_dispatch_ptr 0
		.amdhsa_user_sgpr_queue_ptr 0
		.amdhsa_user_sgpr_kernarg_segment_ptr 1
		.amdhsa_user_sgpr_dispatch_id 0
		.amdhsa_user_sgpr_flat_scratch_init 0
		.amdhsa_user_sgpr_private_segment_size 0
		.amdhsa_uses_dynamic_stack 0
		.amdhsa_system_sgpr_private_segment_wavefront_offset 0
		.amdhsa_system_sgpr_workgroup_id_x 1
		.amdhsa_system_sgpr_workgroup_id_y 0
		.amdhsa_system_sgpr_workgroup_id_z 0
		.amdhsa_system_sgpr_workgroup_info 0
		.amdhsa_system_vgpr_workitem_id 0
		.amdhsa_next_free_vgpr 30
		.amdhsa_next_free_sgpr 12
		.amdhsa_reserve_vcc 1
		.amdhsa_reserve_flat_scratch 0
		.amdhsa_float_round_mode_32 0
		.amdhsa_float_round_mode_16_64 0
		.amdhsa_float_denorm_mode_32 3
		.amdhsa_float_denorm_mode_16_64 3
		.amdhsa_dx10_clamp 1
		.amdhsa_ieee_mode 1
		.amdhsa_fp16_overflow 0
		.amdhsa_exception_fp_ieee_invalid_op 0
		.amdhsa_exception_fp_denorm_src 0
		.amdhsa_exception_fp_ieee_div_zero 0
		.amdhsa_exception_fp_ieee_overflow 0
		.amdhsa_exception_fp_ieee_underflow 0
		.amdhsa_exception_fp_ieee_inexact 0
		.amdhsa_exception_int_div_zero 0
	.end_amdhsa_kernel
	.section	.text._Z6kernelI14exclusive_scanILN6hipcub18BlockScanAlgorithmE1EEhLj256ELj11ELj100EEvPKT0_PS4_S4_,"axG",@progbits,_Z6kernelI14exclusive_scanILN6hipcub18BlockScanAlgorithmE1EEhLj256ELj11ELj100EEvPKT0_PS4_S4_,comdat
.Lfunc_end154:
	.size	_Z6kernelI14exclusive_scanILN6hipcub18BlockScanAlgorithmE1EEhLj256ELj11ELj100EEvPKT0_PS4_S4_, .Lfunc_end154-_Z6kernelI14exclusive_scanILN6hipcub18BlockScanAlgorithmE1EEhLj256ELj11ELj100EEvPKT0_PS4_S4_
                                        ; -- End function
	.set _Z6kernelI14exclusive_scanILN6hipcub18BlockScanAlgorithmE1EEhLj256ELj11ELj100EEvPKT0_PS4_S4_.num_vgpr, 30
	.set _Z6kernelI14exclusive_scanILN6hipcub18BlockScanAlgorithmE1EEhLj256ELj11ELj100EEvPKT0_PS4_S4_.num_agpr, 0
	.set _Z6kernelI14exclusive_scanILN6hipcub18BlockScanAlgorithmE1EEhLj256ELj11ELj100EEvPKT0_PS4_S4_.numbered_sgpr, 12
	.set _Z6kernelI14exclusive_scanILN6hipcub18BlockScanAlgorithmE1EEhLj256ELj11ELj100EEvPKT0_PS4_S4_.num_named_barrier, 0
	.set _Z6kernelI14exclusive_scanILN6hipcub18BlockScanAlgorithmE1EEhLj256ELj11ELj100EEvPKT0_PS4_S4_.private_seg_size, 0
	.set _Z6kernelI14exclusive_scanILN6hipcub18BlockScanAlgorithmE1EEhLj256ELj11ELj100EEvPKT0_PS4_S4_.uses_vcc, 1
	.set _Z6kernelI14exclusive_scanILN6hipcub18BlockScanAlgorithmE1EEhLj256ELj11ELj100EEvPKT0_PS4_S4_.uses_flat_scratch, 0
	.set _Z6kernelI14exclusive_scanILN6hipcub18BlockScanAlgorithmE1EEhLj256ELj11ELj100EEvPKT0_PS4_S4_.has_dyn_sized_stack, 0
	.set _Z6kernelI14exclusive_scanILN6hipcub18BlockScanAlgorithmE1EEhLj256ELj11ELj100EEvPKT0_PS4_S4_.has_recursion, 0
	.set _Z6kernelI14exclusive_scanILN6hipcub18BlockScanAlgorithmE1EEhLj256ELj11ELj100EEvPKT0_PS4_S4_.has_indirect_call, 0
	.section	.AMDGPU.csdata,"",@progbits
; Kernel info:
; codeLenInByte = 1208
; TotalNumSgprs: 16
; NumVgprs: 30
; ScratchSize: 0
; MemoryBound: 0
; FloatMode: 240
; IeeeMode: 1
; LDSByteSize: 264 bytes/workgroup (compile time only)
; SGPRBlocks: 1
; VGPRBlocks: 7
; NumSGPRsForWavesPerEU: 16
; NumVGPRsForWavesPerEU: 30
; Occupancy: 8
; WaveLimiterHint : 0
; COMPUTE_PGM_RSRC2:SCRATCH_EN: 0
; COMPUTE_PGM_RSRC2:USER_SGPR: 6
; COMPUTE_PGM_RSRC2:TRAP_HANDLER: 0
; COMPUTE_PGM_RSRC2:TGID_X_EN: 1
; COMPUTE_PGM_RSRC2:TGID_Y_EN: 0
; COMPUTE_PGM_RSRC2:TGID_Z_EN: 0
; COMPUTE_PGM_RSRC2:TIDIG_COMP_CNT: 0
	.section	.text._Z6kernelI14exclusive_scanILN6hipcub18BlockScanAlgorithmE1EEhLj256ELj16ELj100EEvPKT0_PS4_S4_,"axG",@progbits,_Z6kernelI14exclusive_scanILN6hipcub18BlockScanAlgorithmE1EEhLj256ELj16ELj100EEvPKT0_PS4_S4_,comdat
	.protected	_Z6kernelI14exclusive_scanILN6hipcub18BlockScanAlgorithmE1EEhLj256ELj16ELj100EEvPKT0_PS4_S4_ ; -- Begin function _Z6kernelI14exclusive_scanILN6hipcub18BlockScanAlgorithmE1EEhLj256ELj16ELj100EEvPKT0_PS4_S4_
	.globl	_Z6kernelI14exclusive_scanILN6hipcub18BlockScanAlgorithmE1EEhLj256ELj16ELj100EEvPKT0_PS4_S4_
	.p2align	8
	.type	_Z6kernelI14exclusive_scanILN6hipcub18BlockScanAlgorithmE1EEhLj256ELj16ELj100EEvPKT0_PS4_S4_,@function
_Z6kernelI14exclusive_scanILN6hipcub18BlockScanAlgorithmE1EEhLj256ELj16ELj100EEvPKT0_PS4_S4_: ; @_Z6kernelI14exclusive_scanILN6hipcub18BlockScanAlgorithmE1EEhLj256ELj16ELj100EEvPKT0_PS4_S4_
; %bb.0:
	s_load_dword s0, s[4:5], 0x24
	s_load_dwordx4 s[8:11], s[4:5], 0x0
	s_load_dword s12, s[4:5], 0x10
	v_lshrrev_b32_e32 v6, 5, v0
	v_lshlrev_b32_e32 v8, 2, v0
	s_waitcnt lgkmcnt(0)
	s_and_b32 s0, s0, 0xffff
	s_mul_i32 s6, s6, s0
	v_add_lshl_u32 v5, s6, v0, 4
	global_load_dwordx4 v[1:4], v5, s[8:9]
	v_subrev_co_u32_e64 v7, s[0:1], 1, v0
	v_lshrrev_b32_e32 v9, 3, v0
	v_cmp_gt_u32_e32 vcc, 64, v0
	v_lshrrev_b32_e32 v10, 5, v7
	v_add_u32_e32 v0, v6, v0
	v_add_u32_e32 v6, v9, v8
	v_mbcnt_lo_u32_b32 v8, -1, 0
	s_xor_b64 s[4:5], s[0:1], -1
	s_movk_i32 s8, 0x64
	v_add_u32_e32 v7, v10, v7
	v_mbcnt_hi_u32_b32 v8, -1, v8
	s_branch .LBB155_2
.LBB155_1:                              ;   in Loop: Header=BB155_2 Depth=1
	s_or_b64 exec, exec, s[2:3]
	v_add_u16_e32 v14, v13, v1
	v_add_u16_e32 v12, v14, v12
	v_add_u16_sdwa v15, v12, v1 dst_sel:DWORD dst_unused:UNUSED_PAD src0_sel:DWORD src1_sel:WORD_1
	v_lshlrev_b16_e32 v16, 8, v14
	v_or_b32_sdwa v17, v13, v16 dst_sel:DWORD dst_unused:UNUSED_PAD src0_sel:BYTE_0 src1_sel:DWORD
	v_lshlrev_b16_e32 v16, 8, v15
	v_or_b32_sdwa v18, v12, v16 dst_sel:WORD_1 dst_unused:UNUSED_PAD src0_sel:BYTE_0 src1_sel:DWORD
	v_add_u16_sdwa v16, v15, v1 dst_sel:DWORD dst_unused:UNUSED_PAD src0_sel:DWORD src1_sel:BYTE_3
	v_or_b32_sdwa v1, v17, v18 dst_sel:DWORD dst_unused:UNUSED_PAD src0_sel:WORD_0 src1_sel:DWORD
	v_add_u16_e32 v17, v16, v2
	v_add_u16_e32 v11, v17, v11
	v_lshlrev_b16_e32 v18, 8, v17
	v_or_b32_sdwa v20, v16, v18 dst_sel:DWORD dst_unused:UNUSED_PAD src0_sel:BYTE_0 src1_sel:DWORD
	v_add_u16_sdwa v18, v11, v2 dst_sel:DWORD dst_unused:UNUSED_PAD src0_sel:DWORD src1_sel:WORD_1
	v_lshlrev_b16_e32 v19, 8, v18
	v_or_b32_sdwa v21, v11, v19 dst_sel:WORD_1 dst_unused:UNUSED_PAD src0_sel:BYTE_0 src1_sel:DWORD
	v_add_u16_sdwa v19, v18, v2 dst_sel:DWORD dst_unused:UNUSED_PAD src0_sel:DWORD src1_sel:BYTE_3
	v_or_b32_sdwa v2, v20, v21 dst_sel:DWORD dst_unused:UNUSED_PAD src0_sel:WORD_0 src1_sel:DWORD
	v_add_u16_e32 v20, v19, v3
	v_add_u16_e32 v10, v20, v10
	v_lshlrev_b16_e32 v21, 8, v20
	v_or_b32_sdwa v23, v19, v21 dst_sel:DWORD dst_unused:UNUSED_PAD src0_sel:BYTE_0 src1_sel:DWORD
	v_add_u16_sdwa v21, v10, v3 dst_sel:DWORD dst_unused:UNUSED_PAD src0_sel:DWORD src1_sel:WORD_1
	;; [unrolled: 9-line block ×3, first 2 shown]
	v_lshlrev_b16_e32 v4, 8, v24
	v_or_b32_sdwa v4, v9, v4 dst_sel:WORD_1 dst_unused:UNUSED_PAD src0_sel:BYTE_0 src1_sel:DWORD
	s_add_i32 s8, s8, -1
	s_cmp_lg_u32 s8, 0
	v_or_b32_sdwa v4, v25, v4 dst_sel:DWORD dst_unused:UNUSED_PAD src0_sel:WORD_0 src1_sel:DWORD
	s_cbranch_scc0 .LBB155_6
.LBB155_2:                              ; =>This Inner Loop Header: Depth=1
	s_waitcnt vmcnt(0)
	v_lshrrev_b32_e32 v12, 8, v1
	v_add_u16_e32 v13, v12, v1
	v_add_u16_sdwa v13, v13, v1 dst_sel:DWORD dst_unused:UNUSED_PAD src0_sel:DWORD src1_sel:WORD_1
	v_add_u16_sdwa v13, v13, v1 dst_sel:DWORD dst_unused:UNUSED_PAD src0_sel:DWORD src1_sel:BYTE_3
	v_lshrrev_b32_e32 v11, 8, v2
	v_add_u16_e32 v13, v13, v2
	v_add_u16_e32 v13, v13, v11
	v_add_u16_sdwa v13, v13, v2 dst_sel:DWORD dst_unused:UNUSED_PAD src0_sel:DWORD src1_sel:WORD_1
	v_add_u16_sdwa v13, v13, v2 dst_sel:DWORD dst_unused:UNUSED_PAD src0_sel:DWORD src1_sel:BYTE_3
	v_lshrrev_b32_e32 v10, 8, v3
	v_add_u16_e32 v13, v13, v3
	v_add_u16_e32 v13, v13, v10
	v_add_u16_sdwa v13, v13, v3 dst_sel:DWORD dst_unused:UNUSED_PAD src0_sel:DWORD src1_sel:WORD_1
	v_add_u16_sdwa v13, v13, v3 dst_sel:DWORD dst_unused:UNUSED_PAD src0_sel:DWORD src1_sel:BYTE_3
	v_lshrrev_b32_e32 v9, 8, v4
	v_add_u16_e32 v13, v13, v4
	v_add_u16_e32 v13, v13, v9
	v_add_u16_sdwa v13, v13, v4 dst_sel:DWORD dst_unused:UNUSED_PAD src0_sel:DWORD src1_sel:WORD_1
	v_add_u16_sdwa v13, v13, v4 dst_sel:DWORD dst_unused:UNUSED_PAD src0_sel:DWORD src1_sel:BYTE_3
	ds_write_b8 v0, v13
	s_waitcnt lgkmcnt(0)
	s_barrier
	s_and_saveexec_b64 s[6:7], vcc
	s_cbranch_execz .LBB155_4
; %bb.3:                                ;   in Loop: Header=BB155_2 Depth=1
	ds_read_u8 v14, v6
	ds_read_u8 v15, v6 offset:1
	ds_read_u8 v16, v6 offset:2
	;; [unrolled: 1-line block ×3, first 2 shown]
	v_and_b32_e32 v18, 15, v8
	v_cmp_ne_u32_e64 s[2:3], 0, v18
	s_waitcnt lgkmcnt(2)
	v_add_u16_e32 v19, v15, v14
	s_waitcnt lgkmcnt(1)
	v_add_u16_e32 v19, v19, v16
	;; [unrolled: 2-line block ×3, first 2 shown]
	v_and_b32_e32 v20, 0xff, v19
	s_nop 1
	v_mov_b32_dpp v20, v20 row_shr:1 row_mask:0xf bank_mask:0xf
	v_cndmask_b32_e64 v20, 0, v20, s[2:3]
	v_add_u16_e32 v19, v20, v19
	v_and_b32_e32 v20, 0xff, v19
	v_cmp_lt_u32_e64 s[2:3], 1, v18
	s_nop 0
	v_mov_b32_dpp v20, v20 row_shr:2 row_mask:0xf bank_mask:0xf
	v_cndmask_b32_e64 v20, 0, v20, s[2:3]
	v_add_u16_e32 v19, v19, v20
	v_and_b32_e32 v20, 0xff, v19
	v_cmp_lt_u32_e64 s[2:3], 3, v18
	s_nop 0
	v_mov_b32_dpp v20, v20 row_shr:4 row_mask:0xf bank_mask:0xf
	v_cndmask_b32_e64 v20, 0, v20, s[2:3]
	v_add_u16_e32 v19, v19, v20
	v_and_b32_e32 v20, 0xff, v19
	v_cmp_lt_u32_e64 s[2:3], 7, v18
	s_nop 0
	v_mov_b32_dpp v20, v20 row_shr:8 row_mask:0xf bank_mask:0xf
	v_cndmask_b32_e64 v18, 0, v20, s[2:3]
	v_add_u16_e32 v18, v19, v18
	v_and_b32_e32 v19, 0xff, v18
	v_and_b32_e32 v20, 16, v8
	v_cmp_ne_u32_e64 s[2:3], 0, v20
	v_mov_b32_dpp v19, v19 row_bcast:15 row_mask:0xf bank_mask:0xf
	v_cndmask_b32_e64 v19, 0, v19, s[2:3]
	v_add_u16_e32 v18, v18, v19
	v_and_b32_e32 v19, 0xff, v18
	v_cmp_lt_u32_e64 s[2:3], 31, v8
	v_and_b32_e32 v20, 64, v8
	v_mov_b32_dpp v19, v19 row_bcast:31 row_mask:0xf bank_mask:0xf
	v_cndmask_b32_e64 v19, 0, v19, s[2:3]
	v_add_u16_e32 v18, v18, v19
	v_add_u32_e32 v19, -1, v8
	v_cmp_lt_i32_e64 s[2:3], v19, v20
	v_cndmask_b32_e64 v19, v19, v8, s[2:3]
	v_lshlrev_b32_e32 v19, 2, v19
	v_and_b32_e32 v18, 0xff, v18
	ds_bpermute_b32 v18, v19, v18
	s_waitcnt lgkmcnt(0)
	v_add_u16_e32 v14, v14, v18
	v_cndmask_b32_e64 v13, v14, v13, s[0:1]
	ds_write_b8 v6, v13
	v_add_u16_e32 v13, v13, v15
	ds_write_b8 v6, v13 offset:1
	v_add_u16_e32 v13, v13, v16
	ds_write_b8 v6, v13 offset:2
	;; [unrolled: 2-line block ×3, first 2 shown]
.LBB155_4:                              ;   in Loop: Header=BB155_2 Depth=1
	s_or_b64 exec, exec, s[6:7]
	v_mov_b32_e32 v13, s12
	s_waitcnt lgkmcnt(0)
	s_barrier
	s_and_saveexec_b64 s[2:3], s[4:5]
	s_cbranch_execz .LBB155_1
; %bb.5:                                ;   in Loop: Header=BB155_2 Depth=1
	ds_read_u8 v13, v7
	s_waitcnt lgkmcnt(0)
	v_add_u16_e32 v13, s12, v13
	s_branch .LBB155_1
.LBB155_6:
	v_mov_b32_e32 v0, s11
	v_add_co_u32_e32 v4, vcc, s10, v5
	s_mov_b32 s0, 0xc0c0004
	v_addc_co_u32_e32 v5, vcc, 0, v0, vcc
	v_perm_b32 v0, v22, v23, s0
	v_perm_b32 v1, v9, v24, s0
	v_lshl_or_b32 v3, v1, 16, v0
	v_perm_b32 v0, v19, v20, s0
	v_perm_b32 v1, v10, v21, s0
	v_lshl_or_b32 v2, v1, 16, v0
	;; [unrolled: 3-line block ×4, first 2 shown]
	global_store_dwordx4 v[4:5], v[0:3], off
	s_endpgm
	.section	.rodata,"a",@progbits
	.p2align	6, 0x0
	.amdhsa_kernel _Z6kernelI14exclusive_scanILN6hipcub18BlockScanAlgorithmE1EEhLj256ELj16ELj100EEvPKT0_PS4_S4_
		.amdhsa_group_segment_fixed_size 264
		.amdhsa_private_segment_fixed_size 0
		.amdhsa_kernarg_size 280
		.amdhsa_user_sgpr_count 6
		.amdhsa_user_sgpr_private_segment_buffer 1
		.amdhsa_user_sgpr_dispatch_ptr 0
		.amdhsa_user_sgpr_queue_ptr 0
		.amdhsa_user_sgpr_kernarg_segment_ptr 1
		.amdhsa_user_sgpr_dispatch_id 0
		.amdhsa_user_sgpr_flat_scratch_init 0
		.amdhsa_user_sgpr_private_segment_size 0
		.amdhsa_uses_dynamic_stack 0
		.amdhsa_system_sgpr_private_segment_wavefront_offset 0
		.amdhsa_system_sgpr_workgroup_id_x 1
		.amdhsa_system_sgpr_workgroup_id_y 0
		.amdhsa_system_sgpr_workgroup_id_z 0
		.amdhsa_system_sgpr_workgroup_info 0
		.amdhsa_system_vgpr_workitem_id 0
		.amdhsa_next_free_vgpr 26
		.amdhsa_next_free_sgpr 13
		.amdhsa_reserve_vcc 1
		.amdhsa_reserve_flat_scratch 0
		.amdhsa_float_round_mode_32 0
		.amdhsa_float_round_mode_16_64 0
		.amdhsa_float_denorm_mode_32 3
		.amdhsa_float_denorm_mode_16_64 3
		.amdhsa_dx10_clamp 1
		.amdhsa_ieee_mode 1
		.amdhsa_fp16_overflow 0
		.amdhsa_exception_fp_ieee_invalid_op 0
		.amdhsa_exception_fp_denorm_src 0
		.amdhsa_exception_fp_ieee_div_zero 0
		.amdhsa_exception_fp_ieee_overflow 0
		.amdhsa_exception_fp_ieee_underflow 0
		.amdhsa_exception_fp_ieee_inexact 0
		.amdhsa_exception_int_div_zero 0
	.end_amdhsa_kernel
	.section	.text._Z6kernelI14exclusive_scanILN6hipcub18BlockScanAlgorithmE1EEhLj256ELj16ELj100EEvPKT0_PS4_S4_,"axG",@progbits,_Z6kernelI14exclusive_scanILN6hipcub18BlockScanAlgorithmE1EEhLj256ELj16ELj100EEvPKT0_PS4_S4_,comdat
.Lfunc_end155:
	.size	_Z6kernelI14exclusive_scanILN6hipcub18BlockScanAlgorithmE1EEhLj256ELj16ELj100EEvPKT0_PS4_S4_, .Lfunc_end155-_Z6kernelI14exclusive_scanILN6hipcub18BlockScanAlgorithmE1EEhLj256ELj16ELj100EEvPKT0_PS4_S4_
                                        ; -- End function
	.set _Z6kernelI14exclusive_scanILN6hipcub18BlockScanAlgorithmE1EEhLj256ELj16ELj100EEvPKT0_PS4_S4_.num_vgpr, 26
	.set _Z6kernelI14exclusive_scanILN6hipcub18BlockScanAlgorithmE1EEhLj256ELj16ELj100EEvPKT0_PS4_S4_.num_agpr, 0
	.set _Z6kernelI14exclusive_scanILN6hipcub18BlockScanAlgorithmE1EEhLj256ELj16ELj100EEvPKT0_PS4_S4_.numbered_sgpr, 13
	.set _Z6kernelI14exclusive_scanILN6hipcub18BlockScanAlgorithmE1EEhLj256ELj16ELj100EEvPKT0_PS4_S4_.num_named_barrier, 0
	.set _Z6kernelI14exclusive_scanILN6hipcub18BlockScanAlgorithmE1EEhLj256ELj16ELj100EEvPKT0_PS4_S4_.private_seg_size, 0
	.set _Z6kernelI14exclusive_scanILN6hipcub18BlockScanAlgorithmE1EEhLj256ELj16ELj100EEvPKT0_PS4_S4_.uses_vcc, 1
	.set _Z6kernelI14exclusive_scanILN6hipcub18BlockScanAlgorithmE1EEhLj256ELj16ELj100EEvPKT0_PS4_S4_.uses_flat_scratch, 0
	.set _Z6kernelI14exclusive_scanILN6hipcub18BlockScanAlgorithmE1EEhLj256ELj16ELj100EEvPKT0_PS4_S4_.has_dyn_sized_stack, 0
	.set _Z6kernelI14exclusive_scanILN6hipcub18BlockScanAlgorithmE1EEhLj256ELj16ELj100EEvPKT0_PS4_S4_.has_recursion, 0
	.set _Z6kernelI14exclusive_scanILN6hipcub18BlockScanAlgorithmE1EEhLj256ELj16ELj100EEvPKT0_PS4_S4_.has_indirect_call, 0
	.section	.AMDGPU.csdata,"",@progbits
; Kernel info:
; codeLenInByte = 1064
; TotalNumSgprs: 17
; NumVgprs: 26
; ScratchSize: 0
; MemoryBound: 0
; FloatMode: 240
; IeeeMode: 1
; LDSByteSize: 264 bytes/workgroup (compile time only)
; SGPRBlocks: 2
; VGPRBlocks: 6
; NumSGPRsForWavesPerEU: 17
; NumVGPRsForWavesPerEU: 26
; Occupancy: 9
; WaveLimiterHint : 0
; COMPUTE_PGM_RSRC2:SCRATCH_EN: 0
; COMPUTE_PGM_RSRC2:USER_SGPR: 6
; COMPUTE_PGM_RSRC2:TRAP_HANDLER: 0
; COMPUTE_PGM_RSRC2:TGID_X_EN: 1
; COMPUTE_PGM_RSRC2:TGID_Y_EN: 0
; COMPUTE_PGM_RSRC2:TGID_Z_EN: 0
; COMPUTE_PGM_RSRC2:TIDIG_COMP_CNT: 0
	.section	.text._Z6kernelI14exclusive_scanILN6hipcub18BlockScanAlgorithmE1EEN15benchmark_utils11custom_typeIffEELj256ELj1ELj100EEvPKT0_PS7_S7_,"axG",@progbits,_Z6kernelI14exclusive_scanILN6hipcub18BlockScanAlgorithmE1EEN15benchmark_utils11custom_typeIffEELj256ELj1ELj100EEvPKT0_PS7_S7_,comdat
	.protected	_Z6kernelI14exclusive_scanILN6hipcub18BlockScanAlgorithmE1EEN15benchmark_utils11custom_typeIffEELj256ELj1ELj100EEvPKT0_PS7_S7_ ; -- Begin function _Z6kernelI14exclusive_scanILN6hipcub18BlockScanAlgorithmE1EEN15benchmark_utils11custom_typeIffEELj256ELj1ELj100EEvPKT0_PS7_S7_
	.globl	_Z6kernelI14exclusive_scanILN6hipcub18BlockScanAlgorithmE1EEN15benchmark_utils11custom_typeIffEELj256ELj1ELj100EEvPKT0_PS7_S7_
	.p2align	8
	.type	_Z6kernelI14exclusive_scanILN6hipcub18BlockScanAlgorithmE1EEN15benchmark_utils11custom_typeIffEELj256ELj1ELj100EEvPKT0_PS7_S7_,@function
_Z6kernelI14exclusive_scanILN6hipcub18BlockScanAlgorithmE1EEN15benchmark_utils11custom_typeIffEELj256ELj1ELj100EEvPKT0_PS7_S7_: ; @_Z6kernelI14exclusive_scanILN6hipcub18BlockScanAlgorithmE1EEN15benchmark_utils11custom_typeIffEELj256ELj1ELj100EEvPKT0_PS7_S7_
; %bb.0:
	s_load_dword s0, s[4:5], 0x24
	s_load_dwordx4 s[8:11], s[4:5], 0x0
	s_load_dwordx2 s[12:13], s[4:5], 0x10
	v_mov_b32_e32 v2, 0
	s_movk_i32 s14, 0x64
	s_waitcnt lgkmcnt(0)
	s_and_b32 s0, s0, 0xffff
	s_mul_i32 s6, s6, s0
	v_add_u32_e32 v1, s6, v0
	v_lshlrev_b64 v[8:9], 3, v[1:2]
	v_mov_b32_e32 v2, s9
	v_add_co_u32_e32 v1, vcc, s8, v8
	v_addc_co_u32_e32 v2, vcc, v2, v9, vcc
	global_load_dwordx2 v[10:11], v[1:2], off
	v_lshrrev_b32_e32 v1, 2, v0
	v_and_b32_e32 v1, 56, v1
	v_lshl_add_u32 v12, v0, 3, v1
	v_cmp_gt_u32_e32 vcc, 64, v0
	v_subrev_co_u32_e64 v1, s[0:1], 1, v0
	v_and_b32_e32 v2, 0xf8, v0
	v_lshlrev_b32_e32 v0, 5, v0
	v_lshrrev_b32_e32 v3, 2, v1
	v_add_u32_e32 v14, v2, v0
	v_mbcnt_lo_u32_b32 v0, -1, 0
	v_and_b32_e32 v3, 0x3ffffff8, v3
	v_mbcnt_hi_u32_b32 v15, -1, v0
	s_xor_b64 s[4:5], s[0:1], -1
	v_lshl_add_u32 v13, v1, 3, v3
	v_and_b32_e32 v16, 15, v15
	s_branch .LBB156_2
.LBB156_1:                              ;   in Loop: Header=BB156_2 Depth=1
	s_or_b64 exec, exec, s[2:3]
	s_add_i32 s14, s14, -1
	s_cmp_lg_u32 s14, 0
	s_cbranch_scc0 .LBB156_16
.LBB156_2:                              ; =>This Inner Loop Header: Depth=1
	s_waitcnt vmcnt(0)
	ds_write_b64 v12, v[10:11]
	s_waitcnt lgkmcnt(0)
	s_barrier
	s_and_saveexec_b64 s[6:7], vcc
	s_cbranch_execz .LBB156_14
; %bb.3:                                ;   in Loop: Header=BB156_2 Depth=1
	ds_read2_b64 v[4:7], v14 offset1:1
	ds_read2_b64 v[0:3], v14 offset0:2 offset1:3
	v_cmp_ne_u32_e64 s[2:3], 0, v16
	s_waitcnt lgkmcnt(1)
	v_add_f32_e32 v17, v4, v6
	v_add_f32_e32 v18, v5, v7
	s_waitcnt lgkmcnt(0)
	v_add_f32_e32 v17, v17, v0
	v_add_f32_e32 v18, v18, v1
	v_add_f32_e32 v17, v17, v2
	v_add_f32_e32 v18, v18, v3
	s_nop 0
	v_mov_b32_dpp v19, v17 row_shr:1 row_mask:0xf bank_mask:0xf
	v_mov_b32_dpp v20, v18 row_shr:1 row_mask:0xf bank_mask:0xf
	s_and_saveexec_b64 s[8:9], s[2:3]
; %bb.4:                                ;   in Loop: Header=BB156_2 Depth=1
	v_add_f32_e32 v18, v18, v20
	v_add_f32_e32 v17, v17, v19
; %bb.5:                                ;   in Loop: Header=BB156_2 Depth=1
	s_or_b64 exec, exec, s[8:9]
	s_nop 0
	v_mov_b32_dpp v19, v17 row_shr:2 row_mask:0xf bank_mask:0xf
	v_mov_b32_dpp v20, v18 row_shr:2 row_mask:0xf bank_mask:0xf
	v_cmp_lt_u32_e64 s[2:3], 1, v16
	s_and_saveexec_b64 s[8:9], s[2:3]
; %bb.6:                                ;   in Loop: Header=BB156_2 Depth=1
	v_add_f32_e32 v18, v18, v20
	v_add_f32_e32 v17, v17, v19
; %bb.7:                                ;   in Loop: Header=BB156_2 Depth=1
	s_or_b64 exec, exec, s[8:9]
	s_nop 0
	v_mov_b32_dpp v19, v17 row_shr:4 row_mask:0xf bank_mask:0xf
	v_mov_b32_dpp v20, v18 row_shr:4 row_mask:0xf bank_mask:0xf
	v_cmp_lt_u32_e64 s[2:3], 3, v16
	;; [unrolled: 10-line block ×3, first 2 shown]
	s_and_saveexec_b64 s[8:9], s[2:3]
; %bb.10:                               ;   in Loop: Header=BB156_2 Depth=1
	v_add_f32_e32 v18, v18, v20
	v_add_f32_e32 v17, v17, v19
; %bb.11:                               ;   in Loop: Header=BB156_2 Depth=1
	s_or_b64 exec, exec, s[8:9]
	v_and_b32_e32 v21, 16, v15
	v_mov_b32_dpp v19, v17 row_bcast:15 row_mask:0xf bank_mask:0xf
	v_mov_b32_dpp v20, v18 row_bcast:15 row_mask:0xf bank_mask:0xf
	v_cmp_ne_u32_e64 s[2:3], 0, v21
	s_and_saveexec_b64 s[8:9], s[2:3]
; %bb.12:                               ;   in Loop: Header=BB156_2 Depth=1
	v_add_f32_e32 v18, v18, v20
	v_add_f32_e32 v17, v17, v19
; %bb.13:                               ;   in Loop: Header=BB156_2 Depth=1
	s_or_b64 exec, exec, s[8:9]
	s_nop 0
	v_mov_b32_dpp v19, v17 row_bcast:31 row_mask:0xf bank_mask:0xf
	v_mov_b32_dpp v20, v18 row_bcast:31 row_mask:0xf bank_mask:0xf
	v_add_f32_e32 v20, v18, v20
	v_add_f32_e32 v19, v17, v19
	v_cmp_lt_u32_e64 s[2:3], 31, v15
	v_cndmask_b32_e64 v17, v17, v19, s[2:3]
	v_cndmask_b32_e64 v18, v18, v20, s[2:3]
	v_add_u32_e32 v19, -1, v15
	v_and_b32_e32 v20, 64, v15
	v_cmp_lt_i32_e64 s[2:3], v19, v20
	v_cndmask_b32_e64 v19, v19, v15, s[2:3]
	v_lshlrev_b32_e32 v19, 2, v19
	ds_bpermute_b32 v17, v19, v17
	ds_bpermute_b32 v18, v19, v18
	s_waitcnt lgkmcnt(1)
	v_add_f32_e32 v4, v4, v17
	s_waitcnt lgkmcnt(0)
	v_add_f32_e32 v5, v5, v18
	v_cndmask_b32_e64 v4, v4, v10, s[0:1]
	v_cndmask_b32_e64 v5, v5, v11, s[0:1]
	v_add_f32_e32 v6, v6, v4
	v_add_f32_e32 v7, v7, v5
	;; [unrolled: 1-line block ×6, first 2 shown]
	ds_write2_b64 v14, v[4:5], v[6:7] offset1:1
	ds_write2_b64 v14, v[0:1], v[2:3] offset0:2 offset1:3
.LBB156_14:                             ;   in Loop: Header=BB156_2 Depth=1
	s_or_b64 exec, exec, s[6:7]
	v_mov_b32_e32 v11, s13
	v_mov_b32_e32 v10, s12
	s_waitcnt lgkmcnt(0)
	s_barrier
	s_and_saveexec_b64 s[2:3], s[4:5]
	s_cbranch_execz .LBB156_1
; %bb.15:                               ;   in Loop: Header=BB156_2 Depth=1
	ds_read_b64 v[0:1], v13
	s_waitcnt lgkmcnt(0)
	v_add_f32_e32 v10, s12, v0
	v_add_f32_e32 v11, s13, v1
	s_branch .LBB156_1
.LBB156_16:
	v_mov_b32_e32 v1, s11
	v_add_co_u32_e32 v0, vcc, s10, v8
	v_addc_co_u32_e32 v1, vcc, v1, v9, vcc
	global_store_dwordx2 v[0:1], v[10:11], off
	s_endpgm
	.section	.rodata,"a",@progbits
	.p2align	6, 0x0
	.amdhsa_kernel _Z6kernelI14exclusive_scanILN6hipcub18BlockScanAlgorithmE1EEN15benchmark_utils11custom_typeIffEELj256ELj1ELj100EEvPKT0_PS7_S7_
		.amdhsa_group_segment_fixed_size 2112
		.amdhsa_private_segment_fixed_size 0
		.amdhsa_kernarg_size 280
		.amdhsa_user_sgpr_count 6
		.amdhsa_user_sgpr_private_segment_buffer 1
		.amdhsa_user_sgpr_dispatch_ptr 0
		.amdhsa_user_sgpr_queue_ptr 0
		.amdhsa_user_sgpr_kernarg_segment_ptr 1
		.amdhsa_user_sgpr_dispatch_id 0
		.amdhsa_user_sgpr_flat_scratch_init 0
		.amdhsa_user_sgpr_private_segment_size 0
		.amdhsa_uses_dynamic_stack 0
		.amdhsa_system_sgpr_private_segment_wavefront_offset 0
		.amdhsa_system_sgpr_workgroup_id_x 1
		.amdhsa_system_sgpr_workgroup_id_y 0
		.amdhsa_system_sgpr_workgroup_id_z 0
		.amdhsa_system_sgpr_workgroup_info 0
		.amdhsa_system_vgpr_workitem_id 0
		.amdhsa_next_free_vgpr 22
		.amdhsa_next_free_sgpr 15
		.amdhsa_reserve_vcc 1
		.amdhsa_reserve_flat_scratch 0
		.amdhsa_float_round_mode_32 0
		.amdhsa_float_round_mode_16_64 0
		.amdhsa_float_denorm_mode_32 3
		.amdhsa_float_denorm_mode_16_64 3
		.amdhsa_dx10_clamp 1
		.amdhsa_ieee_mode 1
		.amdhsa_fp16_overflow 0
		.amdhsa_exception_fp_ieee_invalid_op 0
		.amdhsa_exception_fp_denorm_src 0
		.amdhsa_exception_fp_ieee_div_zero 0
		.amdhsa_exception_fp_ieee_overflow 0
		.amdhsa_exception_fp_ieee_underflow 0
		.amdhsa_exception_fp_ieee_inexact 0
		.amdhsa_exception_int_div_zero 0
	.end_amdhsa_kernel
	.section	.text._Z6kernelI14exclusive_scanILN6hipcub18BlockScanAlgorithmE1EEN15benchmark_utils11custom_typeIffEELj256ELj1ELj100EEvPKT0_PS7_S7_,"axG",@progbits,_Z6kernelI14exclusive_scanILN6hipcub18BlockScanAlgorithmE1EEN15benchmark_utils11custom_typeIffEELj256ELj1ELj100EEvPKT0_PS7_S7_,comdat
.Lfunc_end156:
	.size	_Z6kernelI14exclusive_scanILN6hipcub18BlockScanAlgorithmE1EEN15benchmark_utils11custom_typeIffEELj256ELj1ELj100EEvPKT0_PS7_S7_, .Lfunc_end156-_Z6kernelI14exclusive_scanILN6hipcub18BlockScanAlgorithmE1EEN15benchmark_utils11custom_typeIffEELj256ELj1ELj100EEvPKT0_PS7_S7_
                                        ; -- End function
	.set _Z6kernelI14exclusive_scanILN6hipcub18BlockScanAlgorithmE1EEN15benchmark_utils11custom_typeIffEELj256ELj1ELj100EEvPKT0_PS7_S7_.num_vgpr, 22
	.set _Z6kernelI14exclusive_scanILN6hipcub18BlockScanAlgorithmE1EEN15benchmark_utils11custom_typeIffEELj256ELj1ELj100EEvPKT0_PS7_S7_.num_agpr, 0
	.set _Z6kernelI14exclusive_scanILN6hipcub18BlockScanAlgorithmE1EEN15benchmark_utils11custom_typeIffEELj256ELj1ELj100EEvPKT0_PS7_S7_.numbered_sgpr, 15
	.set _Z6kernelI14exclusive_scanILN6hipcub18BlockScanAlgorithmE1EEN15benchmark_utils11custom_typeIffEELj256ELj1ELj100EEvPKT0_PS7_S7_.num_named_barrier, 0
	.set _Z6kernelI14exclusive_scanILN6hipcub18BlockScanAlgorithmE1EEN15benchmark_utils11custom_typeIffEELj256ELj1ELj100EEvPKT0_PS7_S7_.private_seg_size, 0
	.set _Z6kernelI14exclusive_scanILN6hipcub18BlockScanAlgorithmE1EEN15benchmark_utils11custom_typeIffEELj256ELj1ELj100EEvPKT0_PS7_S7_.uses_vcc, 1
	.set _Z6kernelI14exclusive_scanILN6hipcub18BlockScanAlgorithmE1EEN15benchmark_utils11custom_typeIffEELj256ELj1ELj100EEvPKT0_PS7_S7_.uses_flat_scratch, 0
	.set _Z6kernelI14exclusive_scanILN6hipcub18BlockScanAlgorithmE1EEN15benchmark_utils11custom_typeIffEELj256ELj1ELj100EEvPKT0_PS7_S7_.has_dyn_sized_stack, 0
	.set _Z6kernelI14exclusive_scanILN6hipcub18BlockScanAlgorithmE1EEN15benchmark_utils11custom_typeIffEELj256ELj1ELj100EEvPKT0_PS7_S7_.has_recursion, 0
	.set _Z6kernelI14exclusive_scanILN6hipcub18BlockScanAlgorithmE1EEN15benchmark_utils11custom_typeIffEELj256ELj1ELj100EEvPKT0_PS7_S7_.has_indirect_call, 0
	.section	.AMDGPU.csdata,"",@progbits
; Kernel info:
; codeLenInByte = 728
; TotalNumSgprs: 19
; NumVgprs: 22
; ScratchSize: 0
; MemoryBound: 0
; FloatMode: 240
; IeeeMode: 1
; LDSByteSize: 2112 bytes/workgroup (compile time only)
; SGPRBlocks: 2
; VGPRBlocks: 5
; NumSGPRsForWavesPerEU: 19
; NumVGPRsForWavesPerEU: 22
; Occupancy: 10
; WaveLimiterHint : 0
; COMPUTE_PGM_RSRC2:SCRATCH_EN: 0
; COMPUTE_PGM_RSRC2:USER_SGPR: 6
; COMPUTE_PGM_RSRC2:TRAP_HANDLER: 0
; COMPUTE_PGM_RSRC2:TGID_X_EN: 1
; COMPUTE_PGM_RSRC2:TGID_Y_EN: 0
; COMPUTE_PGM_RSRC2:TGID_Z_EN: 0
; COMPUTE_PGM_RSRC2:TIDIG_COMP_CNT: 0
	.section	.text._Z6kernelI14exclusive_scanILN6hipcub18BlockScanAlgorithmE1EEN15benchmark_utils11custom_typeIffEELj256ELj4ELj100EEvPKT0_PS7_S7_,"axG",@progbits,_Z6kernelI14exclusive_scanILN6hipcub18BlockScanAlgorithmE1EEN15benchmark_utils11custom_typeIffEELj256ELj4ELj100EEvPKT0_PS7_S7_,comdat
	.protected	_Z6kernelI14exclusive_scanILN6hipcub18BlockScanAlgorithmE1EEN15benchmark_utils11custom_typeIffEELj256ELj4ELj100EEvPKT0_PS7_S7_ ; -- Begin function _Z6kernelI14exclusive_scanILN6hipcub18BlockScanAlgorithmE1EEN15benchmark_utils11custom_typeIffEELj256ELj4ELj100EEvPKT0_PS7_S7_
	.globl	_Z6kernelI14exclusive_scanILN6hipcub18BlockScanAlgorithmE1EEN15benchmark_utils11custom_typeIffEELj256ELj4ELj100EEvPKT0_PS7_S7_
	.p2align	8
	.type	_Z6kernelI14exclusive_scanILN6hipcub18BlockScanAlgorithmE1EEN15benchmark_utils11custom_typeIffEELj256ELj4ELj100EEvPKT0_PS7_S7_,@function
_Z6kernelI14exclusive_scanILN6hipcub18BlockScanAlgorithmE1EEN15benchmark_utils11custom_typeIffEELj256ELj4ELj100EEvPKT0_PS7_S7_: ; @_Z6kernelI14exclusive_scanILN6hipcub18BlockScanAlgorithmE1EEN15benchmark_utils11custom_typeIffEELj256ELj4ELj100EEvPKT0_PS7_S7_
; %bb.0:
	s_load_dword s0, s[4:5], 0x24
	s_load_dwordx4 s[8:11], s[4:5], 0x0
	s_load_dwordx2 s[12:13], s[4:5], 0x10
	v_mov_b32_e32 v2, 0
	v_lshlrev_b32_e32 v11, 5, v0
	s_waitcnt lgkmcnt(0)
	s_and_b32 s0, s0, 0xffff
	s_mul_i32 s6, s6, s0
	v_add_lshl_u32 v1, s6, v0, 2
	v_lshlrev_b64 v[17:18], 3, v[1:2]
	v_mov_b32_e32 v1, s9
	v_add_co_u32_e32 v9, vcc, s8, v17
	v_addc_co_u32_e32 v10, vcc, v1, v18, vcc
	global_load_dwordx4 v[5:8], v[9:10], off
	global_load_dwordx4 v[1:4], v[9:10], off offset:16
	v_lshrrev_b32_e32 v9, 2, v0
	v_and_b32_e32 v9, 56, v9
	v_lshl_add_u32 v19, v0, 3, v9
	v_subrev_co_u32_e64 v9, s[0:1], 1, v0
	v_cmp_gt_u32_e32 vcc, 64, v0
	v_and_b32_e32 v10, 0xf8, v0
	v_lshrrev_b32_e32 v0, 2, v9
	v_and_b32_e32 v0, 0x3ffffff8, v0
	v_lshl_add_u32 v0, v9, 3, v0
	v_mbcnt_lo_u32_b32 v9, -1, 0
	s_xor_b64 s[4:5], s[0:1], -1
	s_movk_i32 s14, 0x64
	v_add_u32_e32 v20, v10, v11
	v_mbcnt_hi_u32_b32 v21, -1, v9
.LBB157_1:                              ; =>This Inner Loop Header: Depth=1
	s_waitcnt vmcnt(1)
	v_add_f32_e32 v9, v7, v5
	v_add_f32_e32 v10, v8, v6
	s_waitcnt vmcnt(0)
	v_add_f32_e32 v9, v1, v9
	v_add_f32_e32 v10, v2, v10
	;; [unrolled: 1-line block ×4, first 2 shown]
	ds_write_b64 v19, v[3:4]
	s_waitcnt lgkmcnt(0)
	s_barrier
	s_and_saveexec_b64 s[6:7], vcc
	s_cbranch_execz .LBB157_13
; %bb.2:                                ;   in Loop: Header=BB157_1 Depth=1
	ds_read2_b64 v[13:16], v20 offset1:1
	ds_read2_b64 v[9:12], v20 offset0:2 offset1:3
	v_and_b32_e32 v24, 15, v21
	v_cmp_ne_u32_e64 s[2:3], 0, v24
	s_waitcnt lgkmcnt(1)
	v_add_f32_e32 v22, v13, v15
	v_add_f32_e32 v23, v14, v16
	s_waitcnt lgkmcnt(0)
	v_add_f32_e32 v22, v22, v9
	v_add_f32_e32 v23, v23, v10
	;; [unrolled: 1-line block ×4, first 2 shown]
	s_nop 0
	v_mov_b32_dpp v25, v22 row_shr:1 row_mask:0xf bank_mask:0xf
	v_mov_b32_dpp v26, v23 row_shr:1 row_mask:0xf bank_mask:0xf
	s_and_saveexec_b64 s[8:9], s[2:3]
; %bb.3:                                ;   in Loop: Header=BB157_1 Depth=1
	v_add_f32_e32 v23, v23, v26
	v_add_f32_e32 v22, v22, v25
; %bb.4:                                ;   in Loop: Header=BB157_1 Depth=1
	s_or_b64 exec, exec, s[8:9]
	s_nop 0
	v_mov_b32_dpp v25, v22 row_shr:2 row_mask:0xf bank_mask:0xf
	v_mov_b32_dpp v26, v23 row_shr:2 row_mask:0xf bank_mask:0xf
	v_cmp_lt_u32_e64 s[2:3], 1, v24
	s_and_saveexec_b64 s[8:9], s[2:3]
; %bb.5:                                ;   in Loop: Header=BB157_1 Depth=1
	v_add_f32_e32 v23, v23, v26
	v_add_f32_e32 v22, v22, v25
; %bb.6:                                ;   in Loop: Header=BB157_1 Depth=1
	s_or_b64 exec, exec, s[8:9]
	s_nop 0
	v_mov_b32_dpp v25, v22 row_shr:4 row_mask:0xf bank_mask:0xf
	v_mov_b32_dpp v26, v23 row_shr:4 row_mask:0xf bank_mask:0xf
	v_cmp_lt_u32_e64 s[2:3], 3, v24
	;; [unrolled: 10-line block ×3, first 2 shown]
	s_and_saveexec_b64 s[8:9], s[2:3]
; %bb.9:                                ;   in Loop: Header=BB157_1 Depth=1
	v_add_f32_e32 v23, v23, v26
	v_add_f32_e32 v22, v22, v25
; %bb.10:                               ;   in Loop: Header=BB157_1 Depth=1
	s_or_b64 exec, exec, s[8:9]
	v_and_b32_e32 v26, 16, v21
	v_mov_b32_dpp v24, v22 row_bcast:15 row_mask:0xf bank_mask:0xf
	v_mov_b32_dpp v25, v23 row_bcast:15 row_mask:0xf bank_mask:0xf
	v_cmp_ne_u32_e64 s[2:3], 0, v26
	s_and_saveexec_b64 s[8:9], s[2:3]
; %bb.11:                               ;   in Loop: Header=BB157_1 Depth=1
	v_add_f32_e32 v23, v23, v25
	v_add_f32_e32 v22, v22, v24
; %bb.12:                               ;   in Loop: Header=BB157_1 Depth=1
	s_or_b64 exec, exec, s[8:9]
	s_nop 0
	v_mov_b32_dpp v24, v22 row_bcast:31 row_mask:0xf bank_mask:0xf
	v_mov_b32_dpp v25, v23 row_bcast:31 row_mask:0xf bank_mask:0xf
	v_add_f32_e32 v25, v23, v25
	v_add_f32_e32 v24, v22, v24
	v_cmp_lt_u32_e64 s[2:3], 31, v21
	v_cndmask_b32_e64 v22, v22, v24, s[2:3]
	v_cndmask_b32_e64 v23, v23, v25, s[2:3]
	v_add_u32_e32 v24, -1, v21
	v_and_b32_e32 v25, 64, v21
	v_cmp_lt_i32_e64 s[2:3], v24, v25
	v_cndmask_b32_e64 v24, v24, v21, s[2:3]
	v_lshlrev_b32_e32 v24, 2, v24
	ds_bpermute_b32 v22, v24, v22
	ds_bpermute_b32 v23, v24, v23
	s_waitcnt lgkmcnt(1)
	v_add_f32_e32 v13, v13, v22
	s_waitcnt lgkmcnt(0)
	v_add_f32_e32 v14, v14, v23
	v_cndmask_b32_e64 v3, v13, v3, s[0:1]
	v_cndmask_b32_e64 v4, v14, v4, s[0:1]
	v_add_f32_e32 v13, v15, v3
	v_add_f32_e32 v14, v16, v4
	ds_write2_b64 v20, v[3:4], v[13:14] offset1:1
	v_add_f32_e32 v3, v9, v13
	v_add_f32_e32 v4, v10, v14
	;; [unrolled: 1-line block ×4, first 2 shown]
	ds_write2_b64 v20, v[3:4], v[9:10] offset0:2 offset1:3
.LBB157_13:                             ;   in Loop: Header=BB157_1 Depth=1
	s_or_b64 exec, exec, s[6:7]
	v_mov_b32_e32 v9, s12
	v_mov_b32_e32 v10, s13
	s_waitcnt lgkmcnt(0)
	s_barrier
	s_and_saveexec_b64 s[2:3], s[4:5]
	s_cbranch_execz .LBB157_15
; %bb.14:                               ;   in Loop: Header=BB157_1 Depth=1
	ds_read_b64 v[3:4], v0
	s_waitcnt lgkmcnt(0)
	v_add_f32_e32 v9, s12, v3
	v_add_f32_e32 v10, s13, v4
.LBB157_15:                             ;   in Loop: Header=BB157_1 Depth=1
	s_or_b64 exec, exec, s[2:3]
	v_add_f32_e32 v11, v5, v9
	v_add_f32_e32 v12, v6, v10
	;; [unrolled: 1-line block ×4, first 2 shown]
	s_add_i32 s14, s14, -1
	v_add_f32_e32 v3, v1, v5
	s_cmp_lg_u32 s14, 0
	v_add_f32_e32 v4, v2, v6
	s_cbranch_scc0 .LBB157_17
; %bb.16:                               ;   in Loop: Header=BB157_1 Depth=1
	v_mov_b32_e32 v2, v6
	v_mov_b32_e32 v1, v5
	;; [unrolled: 1-line block ×6, first 2 shown]
	s_branch .LBB157_1
.LBB157_17:
	v_mov_b32_e32 v1, s11
	v_add_co_u32_e32 v0, vcc, s10, v17
	v_addc_co_u32_e32 v1, vcc, v1, v18, vcc
	v_mov_b32_e32 v7, v3
	v_mov_b32_e32 v8, v4
	global_store_dwordx4 v[0:1], v[9:12], off
	global_store_dwordx4 v[0:1], v[5:8], off offset:16
	s_endpgm
	.section	.rodata,"a",@progbits
	.p2align	6, 0x0
	.amdhsa_kernel _Z6kernelI14exclusive_scanILN6hipcub18BlockScanAlgorithmE1EEN15benchmark_utils11custom_typeIffEELj256ELj4ELj100EEvPKT0_PS7_S7_
		.amdhsa_group_segment_fixed_size 2112
		.amdhsa_private_segment_fixed_size 0
		.amdhsa_kernarg_size 280
		.amdhsa_user_sgpr_count 6
		.amdhsa_user_sgpr_private_segment_buffer 1
		.amdhsa_user_sgpr_dispatch_ptr 0
		.amdhsa_user_sgpr_queue_ptr 0
		.amdhsa_user_sgpr_kernarg_segment_ptr 1
		.amdhsa_user_sgpr_dispatch_id 0
		.amdhsa_user_sgpr_flat_scratch_init 0
		.amdhsa_user_sgpr_private_segment_size 0
		.amdhsa_uses_dynamic_stack 0
		.amdhsa_system_sgpr_private_segment_wavefront_offset 0
		.amdhsa_system_sgpr_workgroup_id_x 1
		.amdhsa_system_sgpr_workgroup_id_y 0
		.amdhsa_system_sgpr_workgroup_id_z 0
		.amdhsa_system_sgpr_workgroup_info 0
		.amdhsa_system_vgpr_workitem_id 0
		.amdhsa_next_free_vgpr 27
		.amdhsa_next_free_sgpr 15
		.amdhsa_reserve_vcc 1
		.amdhsa_reserve_flat_scratch 0
		.amdhsa_float_round_mode_32 0
		.amdhsa_float_round_mode_16_64 0
		.amdhsa_float_denorm_mode_32 3
		.amdhsa_float_denorm_mode_16_64 3
		.amdhsa_dx10_clamp 1
		.amdhsa_ieee_mode 1
		.amdhsa_fp16_overflow 0
		.amdhsa_exception_fp_ieee_invalid_op 0
		.amdhsa_exception_fp_denorm_src 0
		.amdhsa_exception_fp_ieee_div_zero 0
		.amdhsa_exception_fp_ieee_overflow 0
		.amdhsa_exception_fp_ieee_underflow 0
		.amdhsa_exception_fp_ieee_inexact 0
		.amdhsa_exception_int_div_zero 0
	.end_amdhsa_kernel
	.section	.text._Z6kernelI14exclusive_scanILN6hipcub18BlockScanAlgorithmE1EEN15benchmark_utils11custom_typeIffEELj256ELj4ELj100EEvPKT0_PS7_S7_,"axG",@progbits,_Z6kernelI14exclusive_scanILN6hipcub18BlockScanAlgorithmE1EEN15benchmark_utils11custom_typeIffEELj256ELj4ELj100EEvPKT0_PS7_S7_,comdat
.Lfunc_end157:
	.size	_Z6kernelI14exclusive_scanILN6hipcub18BlockScanAlgorithmE1EEN15benchmark_utils11custom_typeIffEELj256ELj4ELj100EEvPKT0_PS7_S7_, .Lfunc_end157-_Z6kernelI14exclusive_scanILN6hipcub18BlockScanAlgorithmE1EEN15benchmark_utils11custom_typeIffEELj256ELj4ELj100EEvPKT0_PS7_S7_
                                        ; -- End function
	.set _Z6kernelI14exclusive_scanILN6hipcub18BlockScanAlgorithmE1EEN15benchmark_utils11custom_typeIffEELj256ELj4ELj100EEvPKT0_PS7_S7_.num_vgpr, 27
	.set _Z6kernelI14exclusive_scanILN6hipcub18BlockScanAlgorithmE1EEN15benchmark_utils11custom_typeIffEELj256ELj4ELj100EEvPKT0_PS7_S7_.num_agpr, 0
	.set _Z6kernelI14exclusive_scanILN6hipcub18BlockScanAlgorithmE1EEN15benchmark_utils11custom_typeIffEELj256ELj4ELj100EEvPKT0_PS7_S7_.numbered_sgpr, 15
	.set _Z6kernelI14exclusive_scanILN6hipcub18BlockScanAlgorithmE1EEN15benchmark_utils11custom_typeIffEELj256ELj4ELj100EEvPKT0_PS7_S7_.num_named_barrier, 0
	.set _Z6kernelI14exclusive_scanILN6hipcub18BlockScanAlgorithmE1EEN15benchmark_utils11custom_typeIffEELj256ELj4ELj100EEvPKT0_PS7_S7_.private_seg_size, 0
	.set _Z6kernelI14exclusive_scanILN6hipcub18BlockScanAlgorithmE1EEN15benchmark_utils11custom_typeIffEELj256ELj4ELj100EEvPKT0_PS7_S7_.uses_vcc, 1
	.set _Z6kernelI14exclusive_scanILN6hipcub18BlockScanAlgorithmE1EEN15benchmark_utils11custom_typeIffEELj256ELj4ELj100EEvPKT0_PS7_S7_.uses_flat_scratch, 0
	.set _Z6kernelI14exclusive_scanILN6hipcub18BlockScanAlgorithmE1EEN15benchmark_utils11custom_typeIffEELj256ELj4ELj100EEvPKT0_PS7_S7_.has_dyn_sized_stack, 0
	.set _Z6kernelI14exclusive_scanILN6hipcub18BlockScanAlgorithmE1EEN15benchmark_utils11custom_typeIffEELj256ELj4ELj100EEvPKT0_PS7_S7_.has_recursion, 0
	.set _Z6kernelI14exclusive_scanILN6hipcub18BlockScanAlgorithmE1EEN15benchmark_utils11custom_typeIffEELj256ELj4ELj100EEvPKT0_PS7_S7_.has_indirect_call, 0
	.section	.AMDGPU.csdata,"",@progbits
; Kernel info:
; codeLenInByte = 828
; TotalNumSgprs: 19
; NumVgprs: 27
; ScratchSize: 0
; MemoryBound: 0
; FloatMode: 240
; IeeeMode: 1
; LDSByteSize: 2112 bytes/workgroup (compile time only)
; SGPRBlocks: 2
; VGPRBlocks: 6
; NumSGPRsForWavesPerEU: 19
; NumVGPRsForWavesPerEU: 27
; Occupancy: 9
; WaveLimiterHint : 0
; COMPUTE_PGM_RSRC2:SCRATCH_EN: 0
; COMPUTE_PGM_RSRC2:USER_SGPR: 6
; COMPUTE_PGM_RSRC2:TRAP_HANDLER: 0
; COMPUTE_PGM_RSRC2:TGID_X_EN: 1
; COMPUTE_PGM_RSRC2:TGID_Y_EN: 0
; COMPUTE_PGM_RSRC2:TGID_Z_EN: 0
; COMPUTE_PGM_RSRC2:TIDIG_COMP_CNT: 0
	.section	.text._Z6kernelI14exclusive_scanILN6hipcub18BlockScanAlgorithmE1EEN15benchmark_utils11custom_typeIffEELj256ELj8ELj100EEvPKT0_PS7_S7_,"axG",@progbits,_Z6kernelI14exclusive_scanILN6hipcub18BlockScanAlgorithmE1EEN15benchmark_utils11custom_typeIffEELj256ELj8ELj100EEvPKT0_PS7_S7_,comdat
	.protected	_Z6kernelI14exclusive_scanILN6hipcub18BlockScanAlgorithmE1EEN15benchmark_utils11custom_typeIffEELj256ELj8ELj100EEvPKT0_PS7_S7_ ; -- Begin function _Z6kernelI14exclusive_scanILN6hipcub18BlockScanAlgorithmE1EEN15benchmark_utils11custom_typeIffEELj256ELj8ELj100EEvPKT0_PS7_S7_
	.globl	_Z6kernelI14exclusive_scanILN6hipcub18BlockScanAlgorithmE1EEN15benchmark_utils11custom_typeIffEELj256ELj8ELj100EEvPKT0_PS7_S7_
	.p2align	8
	.type	_Z6kernelI14exclusive_scanILN6hipcub18BlockScanAlgorithmE1EEN15benchmark_utils11custom_typeIffEELj256ELj8ELj100EEvPKT0_PS7_S7_,@function
_Z6kernelI14exclusive_scanILN6hipcub18BlockScanAlgorithmE1EEN15benchmark_utils11custom_typeIffEELj256ELj8ELj100EEvPKT0_PS7_S7_: ; @_Z6kernelI14exclusive_scanILN6hipcub18BlockScanAlgorithmE1EEN15benchmark_utils11custom_typeIffEELj256ELj8ELj100EEvPKT0_PS7_S7_
; %bb.0:
	s_load_dword s0, s[4:5], 0x24
	s_load_dwordx4 s[8:11], s[4:5], 0x0
	s_load_dwordx2 s[12:13], s[4:5], 0x10
	v_mov_b32_e32 v2, 0
	v_lshlrev_b32_e32 v19, 5, v0
	s_waitcnt lgkmcnt(0)
	s_and_b32 s0, s0, 0xffff
	s_mul_i32 s6, s6, s0
	v_add_lshl_u32 v1, s6, v0, 3
	v_lshlrev_b64 v[25:26], 3, v[1:2]
	v_mov_b32_e32 v1, s9
	v_add_co_u32_e32 v17, vcc, s8, v25
	v_addc_co_u32_e32 v18, vcc, v1, v26, vcc
	global_load_dwordx4 v[9:12], v[17:18], off
	global_load_dwordx4 v[5:8], v[17:18], off offset:16
	global_load_dwordx4 v[13:16], v[17:18], off offset:32
	;; [unrolled: 1-line block ×3, first 2 shown]
	v_lshrrev_b32_e32 v17, 2, v0
	v_and_b32_e32 v17, 56, v17
	v_lshl_add_u32 v27, v0, 3, v17
	v_subrev_co_u32_e64 v17, s[0:1], 1, v0
	v_cmp_gt_u32_e32 vcc, 64, v0
	v_and_b32_e32 v18, 0xf8, v0
	v_lshrrev_b32_e32 v0, 2, v17
	v_and_b32_e32 v0, 0x3ffffff8, v0
	v_lshl_add_u32 v0, v17, 3, v0
	v_mbcnt_lo_u32_b32 v17, -1, 0
	s_xor_b64 s[4:5], s[0:1], -1
	s_movk_i32 s14, 0x64
	v_add_u32_e32 v28, v18, v19
	v_mbcnt_hi_u32_b32 v29, -1, v17
.LBB158_1:                              ; =>This Inner Loop Header: Depth=1
	s_waitcnt vmcnt(3)
	v_add_f32_e32 v17, v11, v9
	v_add_f32_e32 v18, v12, v10
	s_waitcnt vmcnt(2)
	v_add_f32_e32 v17, v5, v17
	v_add_f32_e32 v18, v6, v18
	v_add_f32_e32 v17, v7, v17
	v_add_f32_e32 v18, v8, v18
	s_waitcnt vmcnt(1)
	v_add_f32_e32 v17, v13, v17
	v_add_f32_e32 v18, v14, v18
	;; [unrolled: 5-line block ×3, first 2 shown]
	v_add_f32_e32 v3, v3, v17
	v_add_f32_e32 v4, v4, v18
	ds_write_b64 v27, v[3:4]
	s_waitcnt lgkmcnt(0)
	s_barrier
	s_and_saveexec_b64 s[6:7], vcc
	s_cbranch_execz .LBB158_13
; %bb.2:                                ;   in Loop: Header=BB158_1 Depth=1
	ds_read2_b64 v[21:24], v28 offset1:1
	ds_read2_b64 v[17:20], v28 offset0:2 offset1:3
	v_and_b32_e32 v32, 15, v29
	v_cmp_ne_u32_e64 s[2:3], 0, v32
	s_waitcnt lgkmcnt(1)
	v_add_f32_e32 v30, v21, v23
	v_add_f32_e32 v31, v22, v24
	s_waitcnt lgkmcnt(0)
	v_add_f32_e32 v30, v30, v17
	v_add_f32_e32 v31, v31, v18
	;; [unrolled: 1-line block ×4, first 2 shown]
	s_nop 0
	v_mov_b32_dpp v33, v30 row_shr:1 row_mask:0xf bank_mask:0xf
	v_mov_b32_dpp v34, v31 row_shr:1 row_mask:0xf bank_mask:0xf
	s_and_saveexec_b64 s[8:9], s[2:3]
; %bb.3:                                ;   in Loop: Header=BB158_1 Depth=1
	v_add_f32_e32 v31, v31, v34
	v_add_f32_e32 v30, v30, v33
; %bb.4:                                ;   in Loop: Header=BB158_1 Depth=1
	s_or_b64 exec, exec, s[8:9]
	s_nop 0
	v_mov_b32_dpp v33, v30 row_shr:2 row_mask:0xf bank_mask:0xf
	v_mov_b32_dpp v34, v31 row_shr:2 row_mask:0xf bank_mask:0xf
	v_cmp_lt_u32_e64 s[2:3], 1, v32
	s_and_saveexec_b64 s[8:9], s[2:3]
; %bb.5:                                ;   in Loop: Header=BB158_1 Depth=1
	v_add_f32_e32 v31, v31, v34
	v_add_f32_e32 v30, v30, v33
; %bb.6:                                ;   in Loop: Header=BB158_1 Depth=1
	s_or_b64 exec, exec, s[8:9]
	s_nop 0
	v_mov_b32_dpp v33, v30 row_shr:4 row_mask:0xf bank_mask:0xf
	v_mov_b32_dpp v34, v31 row_shr:4 row_mask:0xf bank_mask:0xf
	v_cmp_lt_u32_e64 s[2:3], 3, v32
	;; [unrolled: 10-line block ×3, first 2 shown]
	s_and_saveexec_b64 s[8:9], s[2:3]
; %bb.9:                                ;   in Loop: Header=BB158_1 Depth=1
	v_add_f32_e32 v31, v31, v34
	v_add_f32_e32 v30, v30, v33
; %bb.10:                               ;   in Loop: Header=BB158_1 Depth=1
	s_or_b64 exec, exec, s[8:9]
	v_and_b32_e32 v34, 16, v29
	v_mov_b32_dpp v32, v30 row_bcast:15 row_mask:0xf bank_mask:0xf
	v_mov_b32_dpp v33, v31 row_bcast:15 row_mask:0xf bank_mask:0xf
	v_cmp_ne_u32_e64 s[2:3], 0, v34
	s_and_saveexec_b64 s[8:9], s[2:3]
; %bb.11:                               ;   in Loop: Header=BB158_1 Depth=1
	v_add_f32_e32 v31, v31, v33
	v_add_f32_e32 v30, v30, v32
; %bb.12:                               ;   in Loop: Header=BB158_1 Depth=1
	s_or_b64 exec, exec, s[8:9]
	s_nop 0
	v_mov_b32_dpp v32, v30 row_bcast:31 row_mask:0xf bank_mask:0xf
	v_mov_b32_dpp v33, v31 row_bcast:31 row_mask:0xf bank_mask:0xf
	v_add_f32_e32 v33, v31, v33
	v_add_f32_e32 v32, v30, v32
	v_cmp_lt_u32_e64 s[2:3], 31, v29
	v_cndmask_b32_e64 v30, v30, v32, s[2:3]
	v_cndmask_b32_e64 v31, v31, v33, s[2:3]
	v_add_u32_e32 v32, -1, v29
	v_and_b32_e32 v33, 64, v29
	v_cmp_lt_i32_e64 s[2:3], v32, v33
	v_cndmask_b32_e64 v32, v32, v29, s[2:3]
	v_lshlrev_b32_e32 v32, 2, v32
	ds_bpermute_b32 v30, v32, v30
	ds_bpermute_b32 v31, v32, v31
	s_waitcnt lgkmcnt(1)
	v_add_f32_e32 v21, v21, v30
	s_waitcnt lgkmcnt(0)
	v_add_f32_e32 v22, v22, v31
	v_cndmask_b32_e64 v3, v21, v3, s[0:1]
	v_cndmask_b32_e64 v4, v22, v4, s[0:1]
	v_add_f32_e32 v21, v23, v3
	v_add_f32_e32 v22, v24, v4
	ds_write2_b64 v28, v[3:4], v[21:22] offset1:1
	v_add_f32_e32 v3, v17, v21
	v_add_f32_e32 v4, v18, v22
	;; [unrolled: 1-line block ×4, first 2 shown]
	ds_write2_b64 v28, v[3:4], v[17:18] offset0:2 offset1:3
.LBB158_13:                             ;   in Loop: Header=BB158_1 Depth=1
	s_or_b64 exec, exec, s[6:7]
	v_mov_b32_e32 v17, s12
	v_mov_b32_e32 v18, s13
	s_waitcnt lgkmcnt(0)
	s_barrier
	s_and_saveexec_b64 s[2:3], s[4:5]
	s_cbranch_execz .LBB158_15
; %bb.14:                               ;   in Loop: Header=BB158_1 Depth=1
	ds_read_b64 v[3:4], v0
	s_waitcnt lgkmcnt(0)
	v_add_f32_e32 v17, s12, v3
	v_add_f32_e32 v18, s13, v4
.LBB158_15:                             ;   in Loop: Header=BB158_1 Depth=1
	s_or_b64 exec, exec, s[2:3]
	v_add_f32_e32 v19, v9, v17
	v_add_f32_e32 v20, v10, v18
	;; [unrolled: 1-line block ×12, first 2 shown]
	s_add_i32 s14, s14, -1
	v_add_f32_e32 v3, v1, v13
	s_cmp_lg_u32 s14, 0
	v_add_f32_e32 v4, v2, v14
	s_cbranch_scc0 .LBB158_17
; %bb.16:                               ;   in Loop: Header=BB158_1 Depth=1
	v_mov_b32_e32 v2, v14
	v_mov_b32_e32 v1, v13
	;; [unrolled: 1-line block ×14, first 2 shown]
	s_branch .LBB158_1
.LBB158_17:
	v_mov_b32_e32 v1, s11
	v_add_co_u32_e32 v0, vcc, s10, v25
	v_addc_co_u32_e32 v1, vcc, v1, v26, vcc
	v_mov_b32_e32 v15, v3
	v_mov_b32_e32 v16, v4
	global_store_dwordx4 v[0:1], v[17:20], off
	global_store_dwordx4 v[0:1], v[9:12], off offset:16
	global_store_dwordx4 v[0:1], v[5:8], off offset:32
	;; [unrolled: 1-line block ×3, first 2 shown]
	s_endpgm
	.section	.rodata,"a",@progbits
	.p2align	6, 0x0
	.amdhsa_kernel _Z6kernelI14exclusive_scanILN6hipcub18BlockScanAlgorithmE1EEN15benchmark_utils11custom_typeIffEELj256ELj8ELj100EEvPKT0_PS7_S7_
		.amdhsa_group_segment_fixed_size 2112
		.amdhsa_private_segment_fixed_size 0
		.amdhsa_kernarg_size 280
		.amdhsa_user_sgpr_count 6
		.amdhsa_user_sgpr_private_segment_buffer 1
		.amdhsa_user_sgpr_dispatch_ptr 0
		.amdhsa_user_sgpr_queue_ptr 0
		.amdhsa_user_sgpr_kernarg_segment_ptr 1
		.amdhsa_user_sgpr_dispatch_id 0
		.amdhsa_user_sgpr_flat_scratch_init 0
		.amdhsa_user_sgpr_private_segment_size 0
		.amdhsa_uses_dynamic_stack 0
		.amdhsa_system_sgpr_private_segment_wavefront_offset 0
		.amdhsa_system_sgpr_workgroup_id_x 1
		.amdhsa_system_sgpr_workgroup_id_y 0
		.amdhsa_system_sgpr_workgroup_id_z 0
		.amdhsa_system_sgpr_workgroup_info 0
		.amdhsa_system_vgpr_workitem_id 0
		.amdhsa_next_free_vgpr 35
		.amdhsa_next_free_sgpr 15
		.amdhsa_reserve_vcc 1
		.amdhsa_reserve_flat_scratch 0
		.amdhsa_float_round_mode_32 0
		.amdhsa_float_round_mode_16_64 0
		.amdhsa_float_denorm_mode_32 3
		.amdhsa_float_denorm_mode_16_64 3
		.amdhsa_dx10_clamp 1
		.amdhsa_ieee_mode 1
		.amdhsa_fp16_overflow 0
		.amdhsa_exception_fp_ieee_invalid_op 0
		.amdhsa_exception_fp_denorm_src 0
		.amdhsa_exception_fp_ieee_div_zero 0
		.amdhsa_exception_fp_ieee_overflow 0
		.amdhsa_exception_fp_ieee_underflow 0
		.amdhsa_exception_fp_ieee_inexact 0
		.amdhsa_exception_int_div_zero 0
	.end_amdhsa_kernel
	.section	.text._Z6kernelI14exclusive_scanILN6hipcub18BlockScanAlgorithmE1EEN15benchmark_utils11custom_typeIffEELj256ELj8ELj100EEvPKT0_PS7_S7_,"axG",@progbits,_Z6kernelI14exclusive_scanILN6hipcub18BlockScanAlgorithmE1EEN15benchmark_utils11custom_typeIffEELj256ELj8ELj100EEvPKT0_PS7_S7_,comdat
.Lfunc_end158:
	.size	_Z6kernelI14exclusive_scanILN6hipcub18BlockScanAlgorithmE1EEN15benchmark_utils11custom_typeIffEELj256ELj8ELj100EEvPKT0_PS7_S7_, .Lfunc_end158-_Z6kernelI14exclusive_scanILN6hipcub18BlockScanAlgorithmE1EEN15benchmark_utils11custom_typeIffEELj256ELj8ELj100EEvPKT0_PS7_S7_
                                        ; -- End function
	.set _Z6kernelI14exclusive_scanILN6hipcub18BlockScanAlgorithmE1EEN15benchmark_utils11custom_typeIffEELj256ELj8ELj100EEvPKT0_PS7_S7_.num_vgpr, 35
	.set _Z6kernelI14exclusive_scanILN6hipcub18BlockScanAlgorithmE1EEN15benchmark_utils11custom_typeIffEELj256ELj8ELj100EEvPKT0_PS7_S7_.num_agpr, 0
	.set _Z6kernelI14exclusive_scanILN6hipcub18BlockScanAlgorithmE1EEN15benchmark_utils11custom_typeIffEELj256ELj8ELj100EEvPKT0_PS7_S7_.numbered_sgpr, 15
	.set _Z6kernelI14exclusive_scanILN6hipcub18BlockScanAlgorithmE1EEN15benchmark_utils11custom_typeIffEELj256ELj8ELj100EEvPKT0_PS7_S7_.num_named_barrier, 0
	.set _Z6kernelI14exclusive_scanILN6hipcub18BlockScanAlgorithmE1EEN15benchmark_utils11custom_typeIffEELj256ELj8ELj100EEvPKT0_PS7_S7_.private_seg_size, 0
	.set _Z6kernelI14exclusive_scanILN6hipcub18BlockScanAlgorithmE1EEN15benchmark_utils11custom_typeIffEELj256ELj8ELj100EEvPKT0_PS7_S7_.uses_vcc, 1
	.set _Z6kernelI14exclusive_scanILN6hipcub18BlockScanAlgorithmE1EEN15benchmark_utils11custom_typeIffEELj256ELj8ELj100EEvPKT0_PS7_S7_.uses_flat_scratch, 0
	.set _Z6kernelI14exclusive_scanILN6hipcub18BlockScanAlgorithmE1EEN15benchmark_utils11custom_typeIffEELj256ELj8ELj100EEvPKT0_PS7_S7_.has_dyn_sized_stack, 0
	.set _Z6kernelI14exclusive_scanILN6hipcub18BlockScanAlgorithmE1EEN15benchmark_utils11custom_typeIffEELj256ELj8ELj100EEvPKT0_PS7_S7_.has_recursion, 0
	.set _Z6kernelI14exclusive_scanILN6hipcub18BlockScanAlgorithmE1EEN15benchmark_utils11custom_typeIffEELj256ELj8ELj100EEvPKT0_PS7_S7_.has_indirect_call, 0
	.section	.AMDGPU.csdata,"",@progbits
; Kernel info:
; codeLenInByte = 964
; TotalNumSgprs: 19
; NumVgprs: 35
; ScratchSize: 0
; MemoryBound: 0
; FloatMode: 240
; IeeeMode: 1
; LDSByteSize: 2112 bytes/workgroup (compile time only)
; SGPRBlocks: 2
; VGPRBlocks: 8
; NumSGPRsForWavesPerEU: 19
; NumVGPRsForWavesPerEU: 35
; Occupancy: 7
; WaveLimiterHint : 0
; COMPUTE_PGM_RSRC2:SCRATCH_EN: 0
; COMPUTE_PGM_RSRC2:USER_SGPR: 6
; COMPUTE_PGM_RSRC2:TRAP_HANDLER: 0
; COMPUTE_PGM_RSRC2:TGID_X_EN: 1
; COMPUTE_PGM_RSRC2:TGID_Y_EN: 0
; COMPUTE_PGM_RSRC2:TGID_Z_EN: 0
; COMPUTE_PGM_RSRC2:TIDIG_COMP_CNT: 0
	.section	.text._Z6kernelI14exclusive_scanILN6hipcub18BlockScanAlgorithmE1EEN15benchmark_utils11custom_typeIddEELj256ELj1ELj100EEvPKT0_PS7_S7_,"axG",@progbits,_Z6kernelI14exclusive_scanILN6hipcub18BlockScanAlgorithmE1EEN15benchmark_utils11custom_typeIddEELj256ELj1ELj100EEvPKT0_PS7_S7_,comdat
	.protected	_Z6kernelI14exclusive_scanILN6hipcub18BlockScanAlgorithmE1EEN15benchmark_utils11custom_typeIddEELj256ELj1ELj100EEvPKT0_PS7_S7_ ; -- Begin function _Z6kernelI14exclusive_scanILN6hipcub18BlockScanAlgorithmE1EEN15benchmark_utils11custom_typeIddEELj256ELj1ELj100EEvPKT0_PS7_S7_
	.globl	_Z6kernelI14exclusive_scanILN6hipcub18BlockScanAlgorithmE1EEN15benchmark_utils11custom_typeIddEELj256ELj1ELj100EEvPKT0_PS7_S7_
	.p2align	8
	.type	_Z6kernelI14exclusive_scanILN6hipcub18BlockScanAlgorithmE1EEN15benchmark_utils11custom_typeIddEELj256ELj1ELj100EEvPKT0_PS7_S7_,@function
_Z6kernelI14exclusive_scanILN6hipcub18BlockScanAlgorithmE1EEN15benchmark_utils11custom_typeIddEELj256ELj1ELj100EEvPKT0_PS7_S7_: ; @_Z6kernelI14exclusive_scanILN6hipcub18BlockScanAlgorithmE1EEN15benchmark_utils11custom_typeIddEELj256ELj1ELj100EEvPKT0_PS7_S7_
; %bb.0:
	s_load_dword s0, s[4:5], 0x2c
	s_load_dwordx8 s[8:15], s[4:5], 0x0
	v_mov_b32_e32 v2, 0
	v_lshrrev_b32_e32 v5, 1, v0
	v_and_b32_e32 v5, 0x70, v5
	s_waitcnt lgkmcnt(0)
	s_and_b32 s0, s0, 0xffff
	s_mul_i32 s6, s6, s0
	v_add_u32_e32 v1, s6, v0
	v_lshlrev_b64 v[21:22], 4, v[1:2]
	v_mov_b32_e32 v2, s9
	v_add_co_u32_e32 v1, vcc, s8, v21
	v_addc_co_u32_e32 v2, vcc, v2, v22, vcc
	global_load_dwordx4 v[1:4], v[1:2], off
	v_lshl_add_u32 v31, v0, 4, v5
	v_subrev_co_u32_e64 v5, s[0:1], 1, v0
	v_cmp_gt_u32_e32 vcc, 64, v0
	v_lshlrev_b32_e32 v6, 1, v0
	v_lshlrev_b32_e32 v7, 6, v0
	v_lshrrev_b32_e32 v0, 1, v5
	v_and_b32_e32 v0, 0x7ffffff0, v0
	v_lshl_add_u32 v0, v5, 4, v0
	v_mbcnt_lo_u32_b32 v5, -1, 0
	v_and_b32_e32 v6, 0x1f0, v6
	v_mbcnt_hi_u32_b32 v33, -1, v5
	s_xor_b64 s[4:5], s[0:1], -1
	s_movk_i32 s16, 0x64
	v_add_u32_e32 v32, v6, v7
	v_and_b32_e32 v34, 15, v33
	s_branch .LBB159_2
.LBB159_1:                              ;   in Loop: Header=BB159_2 Depth=1
	s_or_b64 exec, exec, s[2:3]
	s_add_i32 s16, s16, -1
	s_cmp_lg_u32 s16, 0
	s_cbranch_scc0 .LBB159_18
.LBB159_2:                              ; =>This Inner Loop Header: Depth=1
	s_waitcnt vmcnt(0)
	ds_write2_b64 v31, v[1:2], v[3:4] offset1:1
	s_waitcnt lgkmcnt(0)
	s_barrier
	s_and_saveexec_b64 s[6:7], vcc
	s_cbranch_execz .LBB159_16
; %bb.3:                                ;   in Loop: Header=BB159_2 Depth=1
	ds_read2_b64 v[13:16], v32 offset1:1
	ds_read2_b64 v[5:8], v32 offset0:2 offset1:3
	ds_read2_b64 v[17:20], v32 offset0:4 offset1:5
	;; [unrolled: 1-line block ×3, first 2 shown]
	v_cmp_ne_u32_e64 s[2:3], 0, v34
	s_waitcnt lgkmcnt(2)
	v_add_f64 v[23:24], v[13:14], v[5:6]
	v_add_f64 v[25:26], v[15:16], v[7:8]
	s_waitcnt lgkmcnt(1)
	v_add_f64 v[23:24], v[23:24], v[17:18]
	v_add_f64 v[25:26], v[25:26], v[19:20]
	;; [unrolled: 3-line block ×3, first 2 shown]
	s_nop 0
	v_mov_b32_dpp v27, v23 row_shr:1 row_mask:0xf bank_mask:0xf
	v_mov_b32_dpp v28, v24 row_shr:1 row_mask:0xf bank_mask:0xf
	v_mov_b32_dpp v29, v25 row_shr:1 row_mask:0xf bank_mask:0xf
	v_mov_b32_dpp v30, v26 row_shr:1 row_mask:0xf bank_mask:0xf
	s_and_saveexec_b64 s[8:9], s[2:3]
	s_cbranch_execz .LBB159_5
; %bb.4:                                ;   in Loop: Header=BB159_2 Depth=1
	v_add_f64 v[25:26], v[25:26], v[29:30]
	v_add_f64 v[23:24], v[23:24], v[27:28]
.LBB159_5:                              ;   in Loop: Header=BB159_2 Depth=1
	s_or_b64 exec, exec, s[8:9]
	s_nop 0
	v_mov_b32_dpp v27, v23 row_shr:2 row_mask:0xf bank_mask:0xf
	v_mov_b32_dpp v28, v24 row_shr:2 row_mask:0xf bank_mask:0xf
	v_mov_b32_dpp v29, v25 row_shr:2 row_mask:0xf bank_mask:0xf
	v_mov_b32_dpp v30, v26 row_shr:2 row_mask:0xf bank_mask:0xf
	v_cmp_lt_u32_e64 s[2:3], 1, v34
	s_and_saveexec_b64 s[8:9], s[2:3]
	s_cbranch_execz .LBB159_7
; %bb.6:                                ;   in Loop: Header=BB159_2 Depth=1
	v_add_f64 v[25:26], v[25:26], v[29:30]
	v_add_f64 v[23:24], v[23:24], v[27:28]
.LBB159_7:                              ;   in Loop: Header=BB159_2 Depth=1
	s_or_b64 exec, exec, s[8:9]
	s_nop 0
	v_mov_b32_dpp v27, v23 row_shr:4 row_mask:0xf bank_mask:0xf
	v_mov_b32_dpp v28, v24 row_shr:4 row_mask:0xf bank_mask:0xf
	v_mov_b32_dpp v29, v25 row_shr:4 row_mask:0xf bank_mask:0xf
	v_mov_b32_dpp v30, v26 row_shr:4 row_mask:0xf bank_mask:0xf
	v_cmp_lt_u32_e64 s[2:3], 3, v34
	;; [unrolled: 13-line block ×3, first 2 shown]
	s_and_saveexec_b64 s[8:9], s[2:3]
	s_cbranch_execz .LBB159_11
; %bb.10:                               ;   in Loop: Header=BB159_2 Depth=1
	v_add_f64 v[25:26], v[25:26], v[29:30]
	v_add_f64 v[23:24], v[23:24], v[27:28]
.LBB159_11:                             ;   in Loop: Header=BB159_2 Depth=1
	s_or_b64 exec, exec, s[8:9]
	v_and_b32_e32 v35, 16, v33
	v_mov_b32_dpp v27, v23 row_bcast:15 row_mask:0xf bank_mask:0xf
	v_mov_b32_dpp v28, v24 row_bcast:15 row_mask:0xf bank_mask:0xf
	;; [unrolled: 1-line block ×4, first 2 shown]
	v_cmp_ne_u32_e64 s[2:3], 0, v35
	s_and_saveexec_b64 s[8:9], s[2:3]
	s_cbranch_execz .LBB159_13
; %bb.12:                               ;   in Loop: Header=BB159_2 Depth=1
	v_add_f64 v[25:26], v[25:26], v[29:30]
	v_add_f64 v[23:24], v[23:24], v[27:28]
.LBB159_13:                             ;   in Loop: Header=BB159_2 Depth=1
	s_or_b64 exec, exec, s[8:9]
	s_nop 0
	v_mov_b32_dpp v27, v23 row_bcast:31 row_mask:0xf bank_mask:0xf
	v_mov_b32_dpp v28, v24 row_bcast:31 row_mask:0xf bank_mask:0xf
	;; [unrolled: 1-line block ×4, first 2 shown]
	v_cmp_lt_u32_e64 s[2:3], 31, v33
	s_and_saveexec_b64 s[8:9], s[2:3]
	s_cbranch_execz .LBB159_15
; %bb.14:                               ;   in Loop: Header=BB159_2 Depth=1
	v_add_f64 v[25:26], v[25:26], v[29:30]
	v_add_f64 v[23:24], v[23:24], v[27:28]
.LBB159_15:                             ;   in Loop: Header=BB159_2 Depth=1
	s_or_b64 exec, exec, s[8:9]
	v_add_u32_e32 v27, -1, v33
	v_and_b32_e32 v28, 64, v33
	v_cmp_lt_i32_e64 s[2:3], v27, v28
	v_cndmask_b32_e64 v27, v27, v33, s[2:3]
	v_lshlrev_b32_e32 v27, 2, v27
	ds_bpermute_b32 v25, v27, v25
	ds_bpermute_b32 v26, v27, v26
	;; [unrolled: 1-line block ×4, first 2 shown]
	s_waitcnt lgkmcnt(2)
	v_add_f64 v[15:16], v[15:16], v[25:26]
	s_waitcnt lgkmcnt(0)
	v_add_f64 v[13:14], v[13:14], v[23:24]
	v_cndmask_b32_e64 v4, v16, v4, s[0:1]
	v_cndmask_b32_e64 v3, v15, v3, s[0:1]
	;; [unrolled: 1-line block ×4, first 2 shown]
	v_add_f64 v[5:6], v[5:6], v[1:2]
	v_add_f64 v[7:8], v[7:8], v[3:4]
	;; [unrolled: 1-line block ×6, first 2 shown]
	ds_write2_b64 v32, v[1:2], v[3:4] offset1:1
	ds_write2_b64 v32, v[5:6], v[7:8] offset0:2 offset1:3
	ds_write2_b64 v32, v[13:14], v[15:16] offset0:4 offset1:5
	;; [unrolled: 1-line block ×3, first 2 shown]
.LBB159_16:                             ;   in Loop: Header=BB159_2 Depth=1
	s_or_b64 exec, exec, s[6:7]
	v_mov_b32_e32 v3, s14
	v_mov_b32_e32 v1, s12
	v_mov_b32_e32 v4, s15
	v_mov_b32_e32 v2, s13
	s_waitcnt lgkmcnt(0)
	s_barrier
	s_and_saveexec_b64 s[2:3], s[4:5]
	s_cbranch_execz .LBB159_1
; %bb.17:                               ;   in Loop: Header=BB159_2 Depth=1
	ds_read2_b64 v[1:4], v0 offset1:1
	s_waitcnt lgkmcnt(0)
	v_add_f64 v[1:2], s[12:13], v[1:2]
	v_add_f64 v[3:4], s[14:15], v[3:4]
	s_branch .LBB159_1
.LBB159_18:
	v_mov_b32_e32 v0, s11
	v_add_co_u32_e32 v5, vcc, s10, v21
	v_addc_co_u32_e32 v6, vcc, v0, v22, vcc
	global_store_dwordx4 v[5:6], v[1:4], off
	s_endpgm
	.section	.rodata,"a",@progbits
	.p2align	6, 0x0
	.amdhsa_kernel _Z6kernelI14exclusive_scanILN6hipcub18BlockScanAlgorithmE1EEN15benchmark_utils11custom_typeIddEELj256ELj1ELj100EEvPKT0_PS7_S7_
		.amdhsa_group_segment_fixed_size 4224
		.amdhsa_private_segment_fixed_size 0
		.amdhsa_kernarg_size 288
		.amdhsa_user_sgpr_count 6
		.amdhsa_user_sgpr_private_segment_buffer 1
		.amdhsa_user_sgpr_dispatch_ptr 0
		.amdhsa_user_sgpr_queue_ptr 0
		.amdhsa_user_sgpr_kernarg_segment_ptr 1
		.amdhsa_user_sgpr_dispatch_id 0
		.amdhsa_user_sgpr_flat_scratch_init 0
		.amdhsa_user_sgpr_private_segment_size 0
		.amdhsa_uses_dynamic_stack 0
		.amdhsa_system_sgpr_private_segment_wavefront_offset 0
		.amdhsa_system_sgpr_workgroup_id_x 1
		.amdhsa_system_sgpr_workgroup_id_y 0
		.amdhsa_system_sgpr_workgroup_id_z 0
		.amdhsa_system_sgpr_workgroup_info 0
		.amdhsa_system_vgpr_workitem_id 0
		.amdhsa_next_free_vgpr 36
		.amdhsa_next_free_sgpr 17
		.amdhsa_reserve_vcc 1
		.amdhsa_reserve_flat_scratch 0
		.amdhsa_float_round_mode_32 0
		.amdhsa_float_round_mode_16_64 0
		.amdhsa_float_denorm_mode_32 3
		.amdhsa_float_denorm_mode_16_64 3
		.amdhsa_dx10_clamp 1
		.amdhsa_ieee_mode 1
		.amdhsa_fp16_overflow 0
		.amdhsa_exception_fp_ieee_invalid_op 0
		.amdhsa_exception_fp_denorm_src 0
		.amdhsa_exception_fp_ieee_div_zero 0
		.amdhsa_exception_fp_ieee_overflow 0
		.amdhsa_exception_fp_ieee_underflow 0
		.amdhsa_exception_fp_ieee_inexact 0
		.amdhsa_exception_int_div_zero 0
	.end_amdhsa_kernel
	.section	.text._Z6kernelI14exclusive_scanILN6hipcub18BlockScanAlgorithmE1EEN15benchmark_utils11custom_typeIddEELj256ELj1ELj100EEvPKT0_PS7_S7_,"axG",@progbits,_Z6kernelI14exclusive_scanILN6hipcub18BlockScanAlgorithmE1EEN15benchmark_utils11custom_typeIddEELj256ELj1ELj100EEvPKT0_PS7_S7_,comdat
.Lfunc_end159:
	.size	_Z6kernelI14exclusive_scanILN6hipcub18BlockScanAlgorithmE1EEN15benchmark_utils11custom_typeIddEELj256ELj1ELj100EEvPKT0_PS7_S7_, .Lfunc_end159-_Z6kernelI14exclusive_scanILN6hipcub18BlockScanAlgorithmE1EEN15benchmark_utils11custom_typeIddEELj256ELj1ELj100EEvPKT0_PS7_S7_
                                        ; -- End function
	.set _Z6kernelI14exclusive_scanILN6hipcub18BlockScanAlgorithmE1EEN15benchmark_utils11custom_typeIddEELj256ELj1ELj100EEvPKT0_PS7_S7_.num_vgpr, 36
	.set _Z6kernelI14exclusive_scanILN6hipcub18BlockScanAlgorithmE1EEN15benchmark_utils11custom_typeIddEELj256ELj1ELj100EEvPKT0_PS7_S7_.num_agpr, 0
	.set _Z6kernelI14exclusive_scanILN6hipcub18BlockScanAlgorithmE1EEN15benchmark_utils11custom_typeIddEELj256ELj1ELj100EEvPKT0_PS7_S7_.numbered_sgpr, 17
	.set _Z6kernelI14exclusive_scanILN6hipcub18BlockScanAlgorithmE1EEN15benchmark_utils11custom_typeIddEELj256ELj1ELj100EEvPKT0_PS7_S7_.num_named_barrier, 0
	.set _Z6kernelI14exclusive_scanILN6hipcub18BlockScanAlgorithmE1EEN15benchmark_utils11custom_typeIddEELj256ELj1ELj100EEvPKT0_PS7_S7_.private_seg_size, 0
	.set _Z6kernelI14exclusive_scanILN6hipcub18BlockScanAlgorithmE1EEN15benchmark_utils11custom_typeIddEELj256ELj1ELj100EEvPKT0_PS7_S7_.uses_vcc, 1
	.set _Z6kernelI14exclusive_scanILN6hipcub18BlockScanAlgorithmE1EEN15benchmark_utils11custom_typeIddEELj256ELj1ELj100EEvPKT0_PS7_S7_.uses_flat_scratch, 0
	.set _Z6kernelI14exclusive_scanILN6hipcub18BlockScanAlgorithmE1EEN15benchmark_utils11custom_typeIddEELj256ELj1ELj100EEvPKT0_PS7_S7_.has_dyn_sized_stack, 0
	.set _Z6kernelI14exclusive_scanILN6hipcub18BlockScanAlgorithmE1EEN15benchmark_utils11custom_typeIddEELj256ELj1ELj100EEvPKT0_PS7_S7_.has_recursion, 0
	.set _Z6kernelI14exclusive_scanILN6hipcub18BlockScanAlgorithmE1EEN15benchmark_utils11custom_typeIddEELj256ELj1ELj100EEvPKT0_PS7_S7_.has_indirect_call, 0
	.section	.AMDGPU.csdata,"",@progbits
; Kernel info:
; codeLenInByte = 1028
; TotalNumSgprs: 21
; NumVgprs: 36
; ScratchSize: 0
; MemoryBound: 0
; FloatMode: 240
; IeeeMode: 1
; LDSByteSize: 4224 bytes/workgroup (compile time only)
; SGPRBlocks: 2
; VGPRBlocks: 8
; NumSGPRsForWavesPerEU: 21
; NumVGPRsForWavesPerEU: 36
; Occupancy: 7
; WaveLimiterHint : 0
; COMPUTE_PGM_RSRC2:SCRATCH_EN: 0
; COMPUTE_PGM_RSRC2:USER_SGPR: 6
; COMPUTE_PGM_RSRC2:TRAP_HANDLER: 0
; COMPUTE_PGM_RSRC2:TGID_X_EN: 1
; COMPUTE_PGM_RSRC2:TGID_Y_EN: 0
; COMPUTE_PGM_RSRC2:TGID_Z_EN: 0
; COMPUTE_PGM_RSRC2:TIDIG_COMP_CNT: 0
	.section	.text._Z6kernelI14exclusive_scanILN6hipcub18BlockScanAlgorithmE1EEN15benchmark_utils11custom_typeIddEELj256ELj4ELj100EEvPKT0_PS7_S7_,"axG",@progbits,_Z6kernelI14exclusive_scanILN6hipcub18BlockScanAlgorithmE1EEN15benchmark_utils11custom_typeIddEELj256ELj4ELj100EEvPKT0_PS7_S7_,comdat
	.protected	_Z6kernelI14exclusive_scanILN6hipcub18BlockScanAlgorithmE1EEN15benchmark_utils11custom_typeIddEELj256ELj4ELj100EEvPKT0_PS7_S7_ ; -- Begin function _Z6kernelI14exclusive_scanILN6hipcub18BlockScanAlgorithmE1EEN15benchmark_utils11custom_typeIddEELj256ELj4ELj100EEvPKT0_PS7_S7_
	.globl	_Z6kernelI14exclusive_scanILN6hipcub18BlockScanAlgorithmE1EEN15benchmark_utils11custom_typeIddEELj256ELj4ELj100EEvPKT0_PS7_S7_
	.p2align	8
	.type	_Z6kernelI14exclusive_scanILN6hipcub18BlockScanAlgorithmE1EEN15benchmark_utils11custom_typeIddEELj256ELj4ELj100EEvPKT0_PS7_S7_,@function
_Z6kernelI14exclusive_scanILN6hipcub18BlockScanAlgorithmE1EEN15benchmark_utils11custom_typeIddEELj256ELj4ELj100EEvPKT0_PS7_S7_: ; @_Z6kernelI14exclusive_scanILN6hipcub18BlockScanAlgorithmE1EEN15benchmark_utils11custom_typeIddEELj256ELj4ELj100EEvPKT0_PS7_S7_
; %bb.0:
	s_load_dword s0, s[4:5], 0x2c
	s_load_dwordx8 s[8:15], s[4:5], 0x0
	v_mov_b32_e32 v2, 0
	v_lshlrev_b32_e32 v19, 6, v0
	s_movk_i32 s16, 0x64
	s_waitcnt lgkmcnt(0)
	s_and_b32 s0, s0, 0xffff
	s_mul_i32 s6, s6, s0
	v_add_lshl_u32 v1, s6, v0, 2
	v_lshlrev_b64 v[29:30], 4, v[1:2]
	v_mov_b32_e32 v1, s9
	v_add_co_u32_e32 v17, vcc, s8, v29
	v_addc_co_u32_e32 v18, vcc, v1, v30, vcc
	global_load_dwordx4 v[13:16], v[17:18], off offset:48
	global_load_dwordx4 v[1:4], v[17:18], off offset:32
	;; [unrolled: 1-line block ×3, first 2 shown]
	global_load_dwordx4 v[9:12], v[17:18], off
	v_lshrrev_b32_e32 v17, 1, v0
	v_and_b32_e32 v17, 0x70, v17
	v_lshl_add_u32 v43, v0, 4, v17
	v_subrev_co_u32_e64 v17, s[0:1], 1, v0
	v_cmp_gt_u32_e32 vcc, 64, v0
	v_lshlrev_b32_e32 v18, 1, v0
	v_lshrrev_b32_e32 v0, 1, v17
	v_and_b32_e32 v0, 0x7ffffff0, v0
	v_lshl_add_u32 v0, v17, 4, v0
	v_mbcnt_lo_u32_b32 v17, -1, 0
	v_and_b32_e32 v18, 0x1f0, v18
	v_mbcnt_hi_u32_b32 v45, -1, v17
	s_xor_b64 s[4:5], s[0:1], -1
	v_add_u32_e32 v44, v18, v19
	v_and_b32_e32 v46, 15, v45
.LBB160_1:                              ; =>This Inner Loop Header: Depth=1
	s_waitcnt vmcnt(0)
	v_add_f64 v[17:18], v[5:6], v[9:10]
	v_add_f64 v[19:20], v[7:8], v[11:12]
	;; [unrolled: 1-line block ×6, first 2 shown]
	ds_write2_b64 v43, v[31:32], v[33:34] offset1:1
	s_waitcnt lgkmcnt(0)
	s_barrier
	s_and_saveexec_b64 s[6:7], vcc
	s_cbranch_execz .LBB160_15
; %bb.2:                                ;   in Loop: Header=BB160_1 Depth=1
	ds_read2_b64 v[25:28], v44 offset1:1
	ds_read2_b64 v[13:16], v44 offset0:2 offset1:3
	ds_read2_b64 v[17:20], v44 offset0:4 offset1:5
	v_cmp_ne_u32_e64 s[2:3], 0, v46
	s_waitcnt lgkmcnt(1)
	v_add_f64 v[21:22], v[25:26], v[13:14]
	v_add_f64 v[23:24], v[27:28], v[15:16]
	s_waitcnt lgkmcnt(0)
	v_add_f64 v[35:36], v[21:22], v[17:18]
	v_add_f64 v[37:38], v[23:24], v[19:20]
	ds_read2_b64 v[21:24], v44 offset0:6 offset1:7
	s_waitcnt lgkmcnt(0)
	v_add_f64 v[35:36], v[35:36], v[21:22]
	v_add_f64 v[37:38], v[37:38], v[23:24]
	s_nop 0
	v_mov_b32_dpp v39, v35 row_shr:1 row_mask:0xf bank_mask:0xf
	v_mov_b32_dpp v40, v36 row_shr:1 row_mask:0xf bank_mask:0xf
	v_mov_b32_dpp v41, v37 row_shr:1 row_mask:0xf bank_mask:0xf
	v_mov_b32_dpp v42, v38 row_shr:1 row_mask:0xf bank_mask:0xf
	s_and_saveexec_b64 s[8:9], s[2:3]
	s_cbranch_execz .LBB160_4
; %bb.3:                                ;   in Loop: Header=BB160_1 Depth=1
	v_add_f64 v[37:38], v[37:38], v[41:42]
	v_add_f64 v[35:36], v[35:36], v[39:40]
.LBB160_4:                              ;   in Loop: Header=BB160_1 Depth=1
	s_or_b64 exec, exec, s[8:9]
	s_nop 0
	v_mov_b32_dpp v39, v35 row_shr:2 row_mask:0xf bank_mask:0xf
	v_mov_b32_dpp v40, v36 row_shr:2 row_mask:0xf bank_mask:0xf
	v_mov_b32_dpp v41, v37 row_shr:2 row_mask:0xf bank_mask:0xf
	v_mov_b32_dpp v42, v38 row_shr:2 row_mask:0xf bank_mask:0xf
	v_cmp_lt_u32_e64 s[2:3], 1, v46
	s_and_saveexec_b64 s[8:9], s[2:3]
	s_cbranch_execz .LBB160_6
; %bb.5:                                ;   in Loop: Header=BB160_1 Depth=1
	v_add_f64 v[37:38], v[37:38], v[41:42]
	v_add_f64 v[35:36], v[35:36], v[39:40]
.LBB160_6:                              ;   in Loop: Header=BB160_1 Depth=1
	s_or_b64 exec, exec, s[8:9]
	s_nop 0
	v_mov_b32_dpp v39, v35 row_shr:4 row_mask:0xf bank_mask:0xf
	v_mov_b32_dpp v40, v36 row_shr:4 row_mask:0xf bank_mask:0xf
	v_mov_b32_dpp v41, v37 row_shr:4 row_mask:0xf bank_mask:0xf
	v_mov_b32_dpp v42, v38 row_shr:4 row_mask:0xf bank_mask:0xf
	v_cmp_lt_u32_e64 s[2:3], 3, v46
	;; [unrolled: 13-line block ×3, first 2 shown]
	s_and_saveexec_b64 s[8:9], s[2:3]
	s_cbranch_execz .LBB160_10
; %bb.9:                                ;   in Loop: Header=BB160_1 Depth=1
	v_add_f64 v[37:38], v[37:38], v[41:42]
	v_add_f64 v[35:36], v[35:36], v[39:40]
.LBB160_10:                             ;   in Loop: Header=BB160_1 Depth=1
	s_or_b64 exec, exec, s[8:9]
	v_and_b32_e32 v47, 16, v45
	v_mov_b32_dpp v39, v35 row_bcast:15 row_mask:0xf bank_mask:0xf
	v_mov_b32_dpp v40, v36 row_bcast:15 row_mask:0xf bank_mask:0xf
	;; [unrolled: 1-line block ×4, first 2 shown]
	v_cmp_ne_u32_e64 s[2:3], 0, v47
	s_and_saveexec_b64 s[8:9], s[2:3]
	s_cbranch_execz .LBB160_12
; %bb.11:                               ;   in Loop: Header=BB160_1 Depth=1
	v_add_f64 v[37:38], v[37:38], v[41:42]
	v_add_f64 v[35:36], v[35:36], v[39:40]
.LBB160_12:                             ;   in Loop: Header=BB160_1 Depth=1
	s_or_b64 exec, exec, s[8:9]
	s_nop 0
	v_mov_b32_dpp v39, v35 row_bcast:31 row_mask:0xf bank_mask:0xf
	v_mov_b32_dpp v40, v36 row_bcast:31 row_mask:0xf bank_mask:0xf
	;; [unrolled: 1-line block ×4, first 2 shown]
	v_cmp_lt_u32_e64 s[2:3], 31, v45
	s_and_saveexec_b64 s[8:9], s[2:3]
	s_cbranch_execz .LBB160_14
; %bb.13:                               ;   in Loop: Header=BB160_1 Depth=1
	v_add_f64 v[37:38], v[37:38], v[41:42]
	v_add_f64 v[35:36], v[35:36], v[39:40]
.LBB160_14:                             ;   in Loop: Header=BB160_1 Depth=1
	s_or_b64 exec, exec, s[8:9]
	v_add_u32_e32 v39, -1, v45
	v_and_b32_e32 v40, 64, v45
	v_cmp_lt_i32_e64 s[2:3], v39, v40
	v_cndmask_b32_e64 v39, v39, v45, s[2:3]
	v_lshlrev_b32_e32 v39, 2, v39
	ds_bpermute_b32 v37, v39, v37
	ds_bpermute_b32 v38, v39, v38
	;; [unrolled: 1-line block ×4, first 2 shown]
	s_waitcnt lgkmcnt(2)
	v_add_f64 v[27:28], v[27:28], v[37:38]
	s_waitcnt lgkmcnt(0)
	v_add_f64 v[25:26], v[25:26], v[35:36]
	v_cndmask_b32_e64 v28, v28, v34, s[0:1]
	v_cndmask_b32_e64 v27, v27, v33, s[0:1]
	;; [unrolled: 1-line block ×4, first 2 shown]
	v_add_f64 v[13:14], v[13:14], v[25:26]
	v_add_f64 v[15:16], v[15:16], v[27:28]
	;; [unrolled: 1-line block ×6, first 2 shown]
	ds_write2_b64 v44, v[25:26], v[27:28] offset1:1
	ds_write2_b64 v44, v[13:14], v[15:16] offset0:2 offset1:3
	ds_write2_b64 v44, v[17:18], v[19:20] offset0:4 offset1:5
	ds_write2_b64 v44, v[21:22], v[23:24] offset0:6 offset1:7
.LBB160_15:                             ;   in Loop: Header=BB160_1 Depth=1
	s_or_b64 exec, exec, s[6:7]
	v_mov_b32_e32 v18, s13
	v_mov_b32_e32 v20, s15
	v_mov_b32_e32 v17, s12
	v_mov_b32_e32 v19, s14
	s_waitcnt lgkmcnt(0)
	s_barrier
	s_and_saveexec_b64 s[2:3], s[4:5]
	s_cbranch_execz .LBB160_17
; %bb.16:                               ;   in Loop: Header=BB160_1 Depth=1
	ds_read2_b64 v[13:16], v0 offset1:1
	s_waitcnt lgkmcnt(0)
	v_add_f64 v[17:18], s[12:13], v[13:14]
	v_add_f64 v[19:20], s[14:15], v[15:16]
.LBB160_17:                             ;   in Loop: Header=BB160_1 Depth=1
	s_or_b64 exec, exec, s[2:3]
	v_add_f64 v[9:10], v[9:10], v[17:18]
	v_add_f64 v[11:12], v[11:12], v[19:20]
	s_add_i32 s16, s16, -1
	s_cmp_lg_u32 s16, 0
	v_add_f64 v[5:6], v[5:6], v[9:10]
	v_add_f64 v[7:8], v[7:8], v[11:12]
	;; [unrolled: 1-line block ×4, first 2 shown]
	s_cbranch_scc0 .LBB160_19
; %bb.18:                               ;   in Loop: Header=BB160_1 Depth=1
	v_mov_b32_e32 v3, v7
	v_mov_b32_e32 v1, v5
	;; [unrolled: 1-line block ×12, first 2 shown]
	s_branch .LBB160_1
.LBB160_19:
	v_mov_b32_e32 v1, s11
	v_add_co_u32_e32 v0, vcc, s10, v29
	v_addc_co_u32_e32 v1, vcc, v1, v30, vcc
	global_store_dwordx4 v[0:1], v[17:20], off
	global_store_dwordx4 v[0:1], v[9:12], off offset:16
	global_store_dwordx4 v[0:1], v[5:8], off offset:32
	;; [unrolled: 1-line block ×3, first 2 shown]
	s_endpgm
	.section	.rodata,"a",@progbits
	.p2align	6, 0x0
	.amdhsa_kernel _Z6kernelI14exclusive_scanILN6hipcub18BlockScanAlgorithmE1EEN15benchmark_utils11custom_typeIddEELj256ELj4ELj100EEvPKT0_PS7_S7_
		.amdhsa_group_segment_fixed_size 4224
		.amdhsa_private_segment_fixed_size 0
		.amdhsa_kernarg_size 288
		.amdhsa_user_sgpr_count 6
		.amdhsa_user_sgpr_private_segment_buffer 1
		.amdhsa_user_sgpr_dispatch_ptr 0
		.amdhsa_user_sgpr_queue_ptr 0
		.amdhsa_user_sgpr_kernarg_segment_ptr 1
		.amdhsa_user_sgpr_dispatch_id 0
		.amdhsa_user_sgpr_flat_scratch_init 0
		.amdhsa_user_sgpr_private_segment_size 0
		.amdhsa_uses_dynamic_stack 0
		.amdhsa_system_sgpr_private_segment_wavefront_offset 0
		.amdhsa_system_sgpr_workgroup_id_x 1
		.amdhsa_system_sgpr_workgroup_id_y 0
		.amdhsa_system_sgpr_workgroup_id_z 0
		.amdhsa_system_sgpr_workgroup_info 0
		.amdhsa_system_vgpr_workitem_id 0
		.amdhsa_next_free_vgpr 48
		.amdhsa_next_free_sgpr 17
		.amdhsa_reserve_vcc 1
		.amdhsa_reserve_flat_scratch 0
		.amdhsa_float_round_mode_32 0
		.amdhsa_float_round_mode_16_64 0
		.amdhsa_float_denorm_mode_32 3
		.amdhsa_float_denorm_mode_16_64 3
		.amdhsa_dx10_clamp 1
		.amdhsa_ieee_mode 1
		.amdhsa_fp16_overflow 0
		.amdhsa_exception_fp_ieee_invalid_op 0
		.amdhsa_exception_fp_denorm_src 0
		.amdhsa_exception_fp_ieee_div_zero 0
		.amdhsa_exception_fp_ieee_overflow 0
		.amdhsa_exception_fp_ieee_underflow 0
		.amdhsa_exception_fp_ieee_inexact 0
		.amdhsa_exception_int_div_zero 0
	.end_amdhsa_kernel
	.section	.text._Z6kernelI14exclusive_scanILN6hipcub18BlockScanAlgorithmE1EEN15benchmark_utils11custom_typeIddEELj256ELj4ELj100EEvPKT0_PS7_S7_,"axG",@progbits,_Z6kernelI14exclusive_scanILN6hipcub18BlockScanAlgorithmE1EEN15benchmark_utils11custom_typeIddEELj256ELj4ELj100EEvPKT0_PS7_S7_,comdat
.Lfunc_end160:
	.size	_Z6kernelI14exclusive_scanILN6hipcub18BlockScanAlgorithmE1EEN15benchmark_utils11custom_typeIddEELj256ELj4ELj100EEvPKT0_PS7_S7_, .Lfunc_end160-_Z6kernelI14exclusive_scanILN6hipcub18BlockScanAlgorithmE1EEN15benchmark_utils11custom_typeIddEELj256ELj4ELj100EEvPKT0_PS7_S7_
                                        ; -- End function
	.set _Z6kernelI14exclusive_scanILN6hipcub18BlockScanAlgorithmE1EEN15benchmark_utils11custom_typeIddEELj256ELj4ELj100EEvPKT0_PS7_S7_.num_vgpr, 48
	.set _Z6kernelI14exclusive_scanILN6hipcub18BlockScanAlgorithmE1EEN15benchmark_utils11custom_typeIddEELj256ELj4ELj100EEvPKT0_PS7_S7_.num_agpr, 0
	.set _Z6kernelI14exclusive_scanILN6hipcub18BlockScanAlgorithmE1EEN15benchmark_utils11custom_typeIddEELj256ELj4ELj100EEvPKT0_PS7_S7_.numbered_sgpr, 17
	.set _Z6kernelI14exclusive_scanILN6hipcub18BlockScanAlgorithmE1EEN15benchmark_utils11custom_typeIddEELj256ELj4ELj100EEvPKT0_PS7_S7_.num_named_barrier, 0
	.set _Z6kernelI14exclusive_scanILN6hipcub18BlockScanAlgorithmE1EEN15benchmark_utils11custom_typeIddEELj256ELj4ELj100EEvPKT0_PS7_S7_.private_seg_size, 0
	.set _Z6kernelI14exclusive_scanILN6hipcub18BlockScanAlgorithmE1EEN15benchmark_utils11custom_typeIddEELj256ELj4ELj100EEvPKT0_PS7_S7_.uses_vcc, 1
	.set _Z6kernelI14exclusive_scanILN6hipcub18BlockScanAlgorithmE1EEN15benchmark_utils11custom_typeIddEELj256ELj4ELj100EEvPKT0_PS7_S7_.uses_flat_scratch, 0
	.set _Z6kernelI14exclusive_scanILN6hipcub18BlockScanAlgorithmE1EEN15benchmark_utils11custom_typeIddEELj256ELj4ELj100EEvPKT0_PS7_S7_.has_dyn_sized_stack, 0
	.set _Z6kernelI14exclusive_scanILN6hipcub18BlockScanAlgorithmE1EEN15benchmark_utils11custom_typeIddEELj256ELj4ELj100EEvPKT0_PS7_S7_.has_recursion, 0
	.set _Z6kernelI14exclusive_scanILN6hipcub18BlockScanAlgorithmE1EEN15benchmark_utils11custom_typeIddEELj256ELj4ELj100EEvPKT0_PS7_S7_.has_indirect_call, 0
	.section	.AMDGPU.csdata,"",@progbits
; Kernel info:
; codeLenInByte = 1220
; TotalNumSgprs: 21
; NumVgprs: 48
; ScratchSize: 0
; MemoryBound: 0
; FloatMode: 240
; IeeeMode: 1
; LDSByteSize: 4224 bytes/workgroup (compile time only)
; SGPRBlocks: 2
; VGPRBlocks: 11
; NumSGPRsForWavesPerEU: 21
; NumVGPRsForWavesPerEU: 48
; Occupancy: 5
; WaveLimiterHint : 0
; COMPUTE_PGM_RSRC2:SCRATCH_EN: 0
; COMPUTE_PGM_RSRC2:USER_SGPR: 6
; COMPUTE_PGM_RSRC2:TRAP_HANDLER: 0
; COMPUTE_PGM_RSRC2:TGID_X_EN: 1
; COMPUTE_PGM_RSRC2:TGID_Y_EN: 0
; COMPUTE_PGM_RSRC2:TGID_Z_EN: 0
; COMPUTE_PGM_RSRC2:TIDIG_COMP_CNT: 0
	.section	.text._Z6kernelI14exclusive_scanILN6hipcub18BlockScanAlgorithmE1EEN15benchmark_utils11custom_typeIddEELj256ELj8ELj100EEvPKT0_PS7_S7_,"axG",@progbits,_Z6kernelI14exclusive_scanILN6hipcub18BlockScanAlgorithmE1EEN15benchmark_utils11custom_typeIddEELj256ELj8ELj100EEvPKT0_PS7_S7_,comdat
	.protected	_Z6kernelI14exclusive_scanILN6hipcub18BlockScanAlgorithmE1EEN15benchmark_utils11custom_typeIddEELj256ELj8ELj100EEvPKT0_PS7_S7_ ; -- Begin function _Z6kernelI14exclusive_scanILN6hipcub18BlockScanAlgorithmE1EEN15benchmark_utils11custom_typeIddEELj256ELj8ELj100EEvPKT0_PS7_S7_
	.globl	_Z6kernelI14exclusive_scanILN6hipcub18BlockScanAlgorithmE1EEN15benchmark_utils11custom_typeIddEELj256ELj8ELj100EEvPKT0_PS7_S7_
	.p2align	8
	.type	_Z6kernelI14exclusive_scanILN6hipcub18BlockScanAlgorithmE1EEN15benchmark_utils11custom_typeIddEELj256ELj8ELj100EEvPKT0_PS7_S7_,@function
_Z6kernelI14exclusive_scanILN6hipcub18BlockScanAlgorithmE1EEN15benchmark_utils11custom_typeIddEELj256ELj8ELj100EEvPKT0_PS7_S7_: ; @_Z6kernelI14exclusive_scanILN6hipcub18BlockScanAlgorithmE1EEN15benchmark_utils11custom_typeIddEELj256ELj8ELj100EEvPKT0_PS7_S7_
; %bb.0:
	s_load_dword s0, s[4:5], 0x2c
	s_load_dwordx8 s[8:15], s[4:5], 0x0
	v_mov_b32_e32 v2, 0
	s_movk_i32 s16, 0x64
	s_waitcnt lgkmcnt(0)
	s_and_b32 s0, s0, 0xffff
	s_mul_i32 s6, s6, s0
	v_add_lshl_u32 v1, s6, v0, 3
	v_lshlrev_b64 v[45:46], 4, v[1:2]
	v_mov_b32_e32 v1, s9
	v_add_co_u32_e32 v33, vcc, s8, v45
	v_addc_co_u32_e32 v34, vcc, v1, v46, vcc
	global_load_dwordx4 v[1:4], v[33:34], off offset:48
	global_load_dwordx4 v[5:8], v[33:34], off offset:32
	global_load_dwordx4 v[21:24], v[33:34], off offset:16
	global_load_dwordx4 v[25:28], v[33:34], off
	global_load_dwordx4 v[29:32], v[33:34], off offset:112
	global_load_dwordx4 v[9:12], v[33:34], off offset:96
	;; [unrolled: 1-line block ×4, first 2 shown]
	v_lshrrev_b32_e32 v33, 1, v0
	v_and_b32_e32 v33, 0x70, v33
	v_lshl_add_u32 v59, v0, 4, v33
	v_subrev_co_u32_e64 v33, s[0:1], 1, v0
	v_lshlrev_b32_e32 v34, 1, v0
	v_cmp_gt_u32_e32 vcc, 64, v0
	v_and_b32_e32 v34, 0x1f0, v34
	v_lshlrev_b32_e32 v0, 6, v0
	v_lshrrev_b32_e32 v35, 1, v33
	v_and_b32_e32 v35, 0x7ffffff0, v35
	v_add_u32_e32 v61, v34, v0
	v_mbcnt_lo_u32_b32 v0, -1, 0
	s_xor_b64 s[4:5], s[0:1], -1
	v_lshl_add_u32 v60, v33, 4, v35
	v_mbcnt_hi_u32_b32 v62, -1, v0
.LBB161_1:                              ; =>This Inner Loop Header: Depth=1
	s_waitcnt vmcnt(4)
	v_add_f64 v[33:34], v[21:22], v[25:26]
	v_add_f64 v[35:36], v[23:24], v[27:28]
	;; [unrolled: 1-line block ×6, first 2 shown]
	s_waitcnt vmcnt(0)
	v_add_f64 v[33:34], v[17:18], v[33:34]
	v_add_f64 v[35:36], v[19:20], v[35:36]
	;; [unrolled: 1-line block ×8, first 2 shown]
	ds_write2_b64 v59, v[47:48], v[49:50] offset1:1
	s_waitcnt lgkmcnt(0)
	s_barrier
	s_and_saveexec_b64 s[6:7], vcc
	s_cbranch_execz .LBB161_15
; %bb.2:                                ;   in Loop: Header=BB161_1 Depth=1
	ds_read2_b64 v[41:44], v61 offset1:1
	ds_read2_b64 v[29:32], v61 offset0:2 offset1:3
	ds_read2_b64 v[33:36], v61 offset0:4 offset1:5
	v_and_b32_e32 v0, 15, v62
	v_cmp_ne_u32_e64 s[2:3], 0, v0
	s_waitcnt lgkmcnt(1)
	v_add_f64 v[37:38], v[41:42], v[29:30]
	v_add_f64 v[39:40], v[43:44], v[31:32]
	s_waitcnt lgkmcnt(0)
	v_add_f64 v[51:52], v[37:38], v[33:34]
	v_add_f64 v[53:54], v[39:40], v[35:36]
	ds_read2_b64 v[37:40], v61 offset0:6 offset1:7
	s_waitcnt lgkmcnt(0)
	v_add_f64 v[51:52], v[51:52], v[37:38]
	v_add_f64 v[53:54], v[53:54], v[39:40]
	s_nop 0
	v_mov_b32_dpp v55, v51 row_shr:1 row_mask:0xf bank_mask:0xf
	v_mov_b32_dpp v56, v52 row_shr:1 row_mask:0xf bank_mask:0xf
	v_mov_b32_dpp v57, v53 row_shr:1 row_mask:0xf bank_mask:0xf
	v_mov_b32_dpp v58, v54 row_shr:1 row_mask:0xf bank_mask:0xf
	s_and_saveexec_b64 s[8:9], s[2:3]
	s_cbranch_execz .LBB161_4
; %bb.3:                                ;   in Loop: Header=BB161_1 Depth=1
	v_add_f64 v[53:54], v[53:54], v[57:58]
	v_add_f64 v[51:52], v[51:52], v[55:56]
.LBB161_4:                              ;   in Loop: Header=BB161_1 Depth=1
	s_or_b64 exec, exec, s[8:9]
	s_nop 0
	v_mov_b32_dpp v55, v51 row_shr:2 row_mask:0xf bank_mask:0xf
	v_mov_b32_dpp v56, v52 row_shr:2 row_mask:0xf bank_mask:0xf
	v_mov_b32_dpp v57, v53 row_shr:2 row_mask:0xf bank_mask:0xf
	v_mov_b32_dpp v58, v54 row_shr:2 row_mask:0xf bank_mask:0xf
	v_cmp_lt_u32_e64 s[2:3], 1, v0
	s_and_saveexec_b64 s[8:9], s[2:3]
	s_cbranch_execz .LBB161_6
; %bb.5:                                ;   in Loop: Header=BB161_1 Depth=1
	v_add_f64 v[53:54], v[53:54], v[57:58]
	v_add_f64 v[51:52], v[51:52], v[55:56]
.LBB161_6:                              ;   in Loop: Header=BB161_1 Depth=1
	s_or_b64 exec, exec, s[8:9]
	s_nop 0
	v_mov_b32_dpp v55, v51 row_shr:4 row_mask:0xf bank_mask:0xf
	v_mov_b32_dpp v56, v52 row_shr:4 row_mask:0xf bank_mask:0xf
	v_mov_b32_dpp v57, v53 row_shr:4 row_mask:0xf bank_mask:0xf
	v_mov_b32_dpp v58, v54 row_shr:4 row_mask:0xf bank_mask:0xf
	v_cmp_lt_u32_e64 s[2:3], 3, v0
	;; [unrolled: 13-line block ×3, first 2 shown]
	s_and_saveexec_b64 s[8:9], s[2:3]
	s_cbranch_execz .LBB161_10
; %bb.9:                                ;   in Loop: Header=BB161_1 Depth=1
	v_add_f64 v[53:54], v[53:54], v[57:58]
	v_add_f64 v[51:52], v[51:52], v[55:56]
.LBB161_10:                             ;   in Loop: Header=BB161_1 Depth=1
	s_or_b64 exec, exec, s[8:9]
	v_and_b32_e32 v0, 16, v62
	v_mov_b32_dpp v55, v51 row_bcast:15 row_mask:0xf bank_mask:0xf
	v_mov_b32_dpp v56, v52 row_bcast:15 row_mask:0xf bank_mask:0xf
	;; [unrolled: 1-line block ×4, first 2 shown]
	v_cmp_ne_u32_e64 s[2:3], 0, v0
	s_and_saveexec_b64 s[8:9], s[2:3]
	s_cbranch_execz .LBB161_12
; %bb.11:                               ;   in Loop: Header=BB161_1 Depth=1
	v_add_f64 v[53:54], v[53:54], v[57:58]
	v_add_f64 v[51:52], v[51:52], v[55:56]
.LBB161_12:                             ;   in Loop: Header=BB161_1 Depth=1
	s_or_b64 exec, exec, s[8:9]
	s_nop 0
	v_mov_b32_dpp v55, v51 row_bcast:31 row_mask:0xf bank_mask:0xf
	v_mov_b32_dpp v56, v52 row_bcast:31 row_mask:0xf bank_mask:0xf
	;; [unrolled: 1-line block ×4, first 2 shown]
	v_cmp_lt_u32_e64 s[2:3], 31, v62
	s_and_saveexec_b64 s[8:9], s[2:3]
	s_cbranch_execz .LBB161_14
; %bb.13:                               ;   in Loop: Header=BB161_1 Depth=1
	v_add_f64 v[53:54], v[53:54], v[57:58]
	v_add_f64 v[51:52], v[51:52], v[55:56]
.LBB161_14:                             ;   in Loop: Header=BB161_1 Depth=1
	s_or_b64 exec, exec, s[8:9]
	v_add_u32_e32 v0, -1, v62
	v_and_b32_e32 v55, 64, v62
	v_cmp_lt_i32_e64 s[2:3], v0, v55
	v_cndmask_b32_e64 v0, v0, v62, s[2:3]
	v_lshlrev_b32_e32 v0, 2, v0
	ds_bpermute_b32 v53, v0, v53
	ds_bpermute_b32 v54, v0, v54
	;; [unrolled: 1-line block ×4, first 2 shown]
	s_waitcnt lgkmcnt(2)
	v_add_f64 v[43:44], v[43:44], v[53:54]
	s_waitcnt lgkmcnt(0)
	v_add_f64 v[41:42], v[41:42], v[51:52]
	v_cndmask_b32_e64 v44, v44, v50, s[0:1]
	v_cndmask_b32_e64 v43, v43, v49, s[0:1]
	;; [unrolled: 1-line block ×4, first 2 shown]
	v_add_f64 v[29:30], v[29:30], v[41:42]
	v_add_f64 v[31:32], v[31:32], v[43:44]
	;; [unrolled: 1-line block ×6, first 2 shown]
	ds_write2_b64 v61, v[41:42], v[43:44] offset1:1
	ds_write2_b64 v61, v[29:30], v[31:32] offset0:2 offset1:3
	ds_write2_b64 v61, v[33:34], v[35:36] offset0:4 offset1:5
	;; [unrolled: 1-line block ×3, first 2 shown]
.LBB161_15:                             ;   in Loop: Header=BB161_1 Depth=1
	s_or_b64 exec, exec, s[6:7]
	v_mov_b32_e32 v34, s13
	v_mov_b32_e32 v36, s15
	;; [unrolled: 1-line block ×4, first 2 shown]
	s_waitcnt lgkmcnt(0)
	s_barrier
	s_and_saveexec_b64 s[2:3], s[4:5]
	s_cbranch_execz .LBB161_17
; %bb.16:                               ;   in Loop: Header=BB161_1 Depth=1
	ds_read2_b64 v[29:32], v60 offset1:1
	s_waitcnt lgkmcnt(0)
	v_add_f64 v[33:34], s[12:13], v[29:30]
	v_add_f64 v[35:36], s[14:15], v[31:32]
.LBB161_17:                             ;   in Loop: Header=BB161_1 Depth=1
	s_or_b64 exec, exec, s[2:3]
	v_add_f64 v[41:42], v[25:26], v[33:34]
	v_add_f64 v[43:44], v[27:28], v[35:36]
	s_add_i32 s16, s16, -1
	s_cmp_lg_u32 s16, 0
	v_add_f64 v[37:38], v[21:22], v[41:42]
	v_add_f64 v[39:40], v[23:24], v[43:44]
	;; [unrolled: 1-line block ×12, first 2 shown]
	s_cbranch_scc0 .LBB161_19
; %bb.18:                               ;   in Loop: Header=BB161_1 Depth=1
	v_mov_b32_e32 v12, v3
	v_mov_b32_e32 v10, v1
	;; [unrolled: 1-line block ×28, first 2 shown]
	s_branch .LBB161_1
.LBB161_19:
	v_mov_b32_e32 v9, s11
	v_add_co_u32_e32 v8, vcc, s10, v45
	v_addc_co_u32_e32 v9, vcc, v9, v46, vcc
	global_store_dwordx4 v[8:9], v[33:36], off
	global_store_dwordx4 v[8:9], v[41:44], off offset:16
	global_store_dwordx4 v[8:9], v[37:40], off offset:32
	;; [unrolled: 1-line block ×7, first 2 shown]
	s_endpgm
	.section	.rodata,"a",@progbits
	.p2align	6, 0x0
	.amdhsa_kernel _Z6kernelI14exclusive_scanILN6hipcub18BlockScanAlgorithmE1EEN15benchmark_utils11custom_typeIddEELj256ELj8ELj100EEvPKT0_PS7_S7_
		.amdhsa_group_segment_fixed_size 4224
		.amdhsa_private_segment_fixed_size 0
		.amdhsa_kernarg_size 288
		.amdhsa_user_sgpr_count 6
		.amdhsa_user_sgpr_private_segment_buffer 1
		.amdhsa_user_sgpr_dispatch_ptr 0
		.amdhsa_user_sgpr_queue_ptr 0
		.amdhsa_user_sgpr_kernarg_segment_ptr 1
		.amdhsa_user_sgpr_dispatch_id 0
		.amdhsa_user_sgpr_flat_scratch_init 0
		.amdhsa_user_sgpr_private_segment_size 0
		.amdhsa_uses_dynamic_stack 0
		.amdhsa_system_sgpr_private_segment_wavefront_offset 0
		.amdhsa_system_sgpr_workgroup_id_x 1
		.amdhsa_system_sgpr_workgroup_id_y 0
		.amdhsa_system_sgpr_workgroup_id_z 0
		.amdhsa_system_sgpr_workgroup_info 0
		.amdhsa_system_vgpr_workitem_id 0
		.amdhsa_next_free_vgpr 63
		.amdhsa_next_free_sgpr 17
		.amdhsa_reserve_vcc 1
		.amdhsa_reserve_flat_scratch 0
		.amdhsa_float_round_mode_32 0
		.amdhsa_float_round_mode_16_64 0
		.amdhsa_float_denorm_mode_32 3
		.amdhsa_float_denorm_mode_16_64 3
		.amdhsa_dx10_clamp 1
		.amdhsa_ieee_mode 1
		.amdhsa_fp16_overflow 0
		.amdhsa_exception_fp_ieee_invalid_op 0
		.amdhsa_exception_fp_denorm_src 0
		.amdhsa_exception_fp_ieee_div_zero 0
		.amdhsa_exception_fp_ieee_overflow 0
		.amdhsa_exception_fp_ieee_underflow 0
		.amdhsa_exception_fp_ieee_inexact 0
		.amdhsa_exception_int_div_zero 0
	.end_amdhsa_kernel
	.section	.text._Z6kernelI14exclusive_scanILN6hipcub18BlockScanAlgorithmE1EEN15benchmark_utils11custom_typeIddEELj256ELj8ELj100EEvPKT0_PS7_S7_,"axG",@progbits,_Z6kernelI14exclusive_scanILN6hipcub18BlockScanAlgorithmE1EEN15benchmark_utils11custom_typeIddEELj256ELj8ELj100EEvPKT0_PS7_S7_,comdat
.Lfunc_end161:
	.size	_Z6kernelI14exclusive_scanILN6hipcub18BlockScanAlgorithmE1EEN15benchmark_utils11custom_typeIddEELj256ELj8ELj100EEvPKT0_PS7_S7_, .Lfunc_end161-_Z6kernelI14exclusive_scanILN6hipcub18BlockScanAlgorithmE1EEN15benchmark_utils11custom_typeIddEELj256ELj8ELj100EEvPKT0_PS7_S7_
                                        ; -- End function
	.set _Z6kernelI14exclusive_scanILN6hipcub18BlockScanAlgorithmE1EEN15benchmark_utils11custom_typeIddEELj256ELj8ELj100EEvPKT0_PS7_S7_.num_vgpr, 63
	.set _Z6kernelI14exclusive_scanILN6hipcub18BlockScanAlgorithmE1EEN15benchmark_utils11custom_typeIddEELj256ELj8ELj100EEvPKT0_PS7_S7_.num_agpr, 0
	.set _Z6kernelI14exclusive_scanILN6hipcub18BlockScanAlgorithmE1EEN15benchmark_utils11custom_typeIddEELj256ELj8ELj100EEvPKT0_PS7_S7_.numbered_sgpr, 17
	.set _Z6kernelI14exclusive_scanILN6hipcub18BlockScanAlgorithmE1EEN15benchmark_utils11custom_typeIddEELj256ELj8ELj100EEvPKT0_PS7_S7_.num_named_barrier, 0
	.set _Z6kernelI14exclusive_scanILN6hipcub18BlockScanAlgorithmE1EEN15benchmark_utils11custom_typeIddEELj256ELj8ELj100EEvPKT0_PS7_S7_.private_seg_size, 0
	.set _Z6kernelI14exclusive_scanILN6hipcub18BlockScanAlgorithmE1EEN15benchmark_utils11custom_typeIddEELj256ELj8ELj100EEvPKT0_PS7_S7_.uses_vcc, 1
	.set _Z6kernelI14exclusive_scanILN6hipcub18BlockScanAlgorithmE1EEN15benchmark_utils11custom_typeIddEELj256ELj8ELj100EEvPKT0_PS7_S7_.uses_flat_scratch, 0
	.set _Z6kernelI14exclusive_scanILN6hipcub18BlockScanAlgorithmE1EEN15benchmark_utils11custom_typeIddEELj256ELj8ELj100EEvPKT0_PS7_S7_.has_dyn_sized_stack, 0
	.set _Z6kernelI14exclusive_scanILN6hipcub18BlockScanAlgorithmE1EEN15benchmark_utils11custom_typeIddEELj256ELj8ELj100EEvPKT0_PS7_S7_.has_recursion, 0
	.set _Z6kernelI14exclusive_scanILN6hipcub18BlockScanAlgorithmE1EEN15benchmark_utils11custom_typeIddEELj256ELj8ELj100EEvPKT0_PS7_S7_.has_indirect_call, 0
	.section	.AMDGPU.csdata,"",@progbits
; Kernel info:
; codeLenInByte = 1480
; TotalNumSgprs: 21
; NumVgprs: 63
; ScratchSize: 0
; MemoryBound: 1
; FloatMode: 240
; IeeeMode: 1
; LDSByteSize: 4224 bytes/workgroup (compile time only)
; SGPRBlocks: 2
; VGPRBlocks: 15
; NumSGPRsForWavesPerEU: 21
; NumVGPRsForWavesPerEU: 63
; Occupancy: 4
; WaveLimiterHint : 0
; COMPUTE_PGM_RSRC2:SCRATCH_EN: 0
; COMPUTE_PGM_RSRC2:USER_SGPR: 6
; COMPUTE_PGM_RSRC2:TRAP_HANDLER: 0
; COMPUTE_PGM_RSRC2:TGID_X_EN: 1
; COMPUTE_PGM_RSRC2:TGID_Y_EN: 0
; COMPUTE_PGM_RSRC2:TGID_Z_EN: 0
; COMPUTE_PGM_RSRC2:TIDIG_COMP_CNT: 0
	.section	.text._Z6kernelI14exclusive_scanILN6hipcub18BlockScanAlgorithmE0EEiLj64ELj1ELj100EEvPKT0_PS4_S4_,"axG",@progbits,_Z6kernelI14exclusive_scanILN6hipcub18BlockScanAlgorithmE0EEiLj64ELj1ELj100EEvPKT0_PS4_S4_,comdat
	.protected	_Z6kernelI14exclusive_scanILN6hipcub18BlockScanAlgorithmE0EEiLj64ELj1ELj100EEvPKT0_PS4_S4_ ; -- Begin function _Z6kernelI14exclusive_scanILN6hipcub18BlockScanAlgorithmE0EEiLj64ELj1ELj100EEvPKT0_PS4_S4_
	.globl	_Z6kernelI14exclusive_scanILN6hipcub18BlockScanAlgorithmE0EEiLj64ELj1ELj100EEvPKT0_PS4_S4_
	.p2align	8
	.type	_Z6kernelI14exclusive_scanILN6hipcub18BlockScanAlgorithmE0EEiLj64ELj1ELj100EEvPKT0_PS4_S4_,@function
_Z6kernelI14exclusive_scanILN6hipcub18BlockScanAlgorithmE0EEiLj64ELj1ELj100EEvPKT0_PS4_S4_: ; @_Z6kernelI14exclusive_scanILN6hipcub18BlockScanAlgorithmE0EEiLj64ELj1ELj100EEvPKT0_PS4_S4_
; %bb.0:
	s_load_dword s0, s[4:5], 0x24
	s_load_dwordx4 s[16:19], s[4:5], 0x0
	s_load_dword s20, s[4:5], 0x10
	v_mov_b32_e32 v3, 0
	v_cmp_eq_u32_e64 s[10:11], 63, v0
	s_waitcnt lgkmcnt(0)
	s_and_b32 s0, s0, 0xffff
	s_mul_i32 s6, s6, s0
	v_add_u32_e32 v2, s6, v0
	v_lshlrev_b64 v[1:2], 2, v[2:3]
	v_mov_b32_e32 v5, s17
	v_add_co_u32_e32 v4, vcc, s16, v1
	v_addc_co_u32_e32 v5, vcc, v5, v2, vcc
	global_load_dword v5, v[4:5], off
	v_mbcnt_lo_u32_b32 v4, -1, 0
	v_mbcnt_hi_u32_b32 v4, -1, v4
	v_and_b32_e32 v6, 15, v4
	v_cmp_eq_u32_e32 vcc, 0, v6
	v_cmp_lt_u32_e64 s[0:1], 1, v6
	v_cmp_lt_u32_e64 s[2:3], 3, v6
	;; [unrolled: 1-line block ×3, first 2 shown]
	v_and_b32_e32 v6, 16, v4
	v_cmp_eq_u32_e64 s[6:7], 0, v6
	v_subrev_co_u32_e64 v0, s[12:13], 1, v4
	v_and_b32_e32 v6, 64, v4
	v_cmp_lt_i32_e64 s[14:15], v0, v6
	v_cndmask_b32_e64 v0, v0, v4, s[14:15]
	v_cmp_lt_u32_e64 s[8:9], 31, v4
	v_lshlrev_b32_e32 v0, 2, v0
	s_movk_i32 s16, 0x64
	v_mov_b32_e32 v4, s20
	s_branch .LBB162_2
.LBB162_1:                              ;   in Loop: Header=BB162_2 Depth=1
	s_or_b64 exec, exec, s[14:15]
	v_add_u32_e32 v5, s20, v5
	ds_bpermute_b32 v5, v0, v5
	s_add_i32 s16, s16, -1
	s_cmp_lg_u32 s16, 0
	s_waitcnt lgkmcnt(0)
	; wave barrier
	v_cndmask_b32_e64 v5, v5, v4, s[12:13]
	s_cbranch_scc0 .LBB162_4
.LBB162_2:                              ; =>This Inner Loop Header: Depth=1
	s_waitcnt vmcnt(0)
	v_mov_b32_dpp v6, v5 row_shr:1 row_mask:0xf bank_mask:0xf
	v_cndmask_b32_e64 v6, v6, 0, vcc
	v_add_u32_e32 v5, v6, v5
	s_nop 1
	v_mov_b32_dpp v6, v5 row_shr:2 row_mask:0xf bank_mask:0xf
	v_cndmask_b32_e64 v6, 0, v6, s[0:1]
	v_add_u32_e32 v5, v5, v6
	s_nop 1
	v_mov_b32_dpp v6, v5 row_shr:4 row_mask:0xf bank_mask:0xf
	v_cndmask_b32_e64 v6, 0, v6, s[2:3]
	;; [unrolled: 4-line block ×3, first 2 shown]
	v_add_u32_e32 v5, v5, v6
	s_nop 1
	v_mov_b32_dpp v6, v5 row_bcast:15 row_mask:0xf bank_mask:0xf
	v_cndmask_b32_e64 v6, v6, 0, s[6:7]
	v_add_u32_e32 v5, v5, v6
	s_nop 1
	v_mov_b32_dpp v6, v5 row_bcast:31 row_mask:0xf bank_mask:0xf
	v_cndmask_b32_e64 v6, 0, v6, s[8:9]
	v_add_u32_e32 v5, v5, v6
	s_and_saveexec_b64 s[14:15], s[10:11]
	s_cbranch_execz .LBB162_1
; %bb.3:                                ;   in Loop: Header=BB162_2 Depth=1
	ds_write_b32 v3, v5
	s_branch .LBB162_1
.LBB162_4:
	v_mov_b32_e32 v3, s19
	v_add_co_u32_e32 v0, vcc, s18, v1
	v_addc_co_u32_e32 v1, vcc, v3, v2, vcc
	global_store_dword v[0:1], v5, off
	s_endpgm
	.section	.rodata,"a",@progbits
	.p2align	6, 0x0
	.amdhsa_kernel _Z6kernelI14exclusive_scanILN6hipcub18BlockScanAlgorithmE0EEiLj64ELj1ELj100EEvPKT0_PS4_S4_
		.amdhsa_group_segment_fixed_size 4
		.amdhsa_private_segment_fixed_size 0
		.amdhsa_kernarg_size 280
		.amdhsa_user_sgpr_count 6
		.amdhsa_user_sgpr_private_segment_buffer 1
		.amdhsa_user_sgpr_dispatch_ptr 0
		.amdhsa_user_sgpr_queue_ptr 0
		.amdhsa_user_sgpr_kernarg_segment_ptr 1
		.amdhsa_user_sgpr_dispatch_id 0
		.amdhsa_user_sgpr_flat_scratch_init 0
		.amdhsa_user_sgpr_private_segment_size 0
		.amdhsa_uses_dynamic_stack 0
		.amdhsa_system_sgpr_private_segment_wavefront_offset 0
		.amdhsa_system_sgpr_workgroup_id_x 1
		.amdhsa_system_sgpr_workgroup_id_y 0
		.amdhsa_system_sgpr_workgroup_id_z 0
		.amdhsa_system_sgpr_workgroup_info 0
		.amdhsa_system_vgpr_workitem_id 0
		.amdhsa_next_free_vgpr 7
		.amdhsa_next_free_sgpr 21
		.amdhsa_reserve_vcc 1
		.amdhsa_reserve_flat_scratch 0
		.amdhsa_float_round_mode_32 0
		.amdhsa_float_round_mode_16_64 0
		.amdhsa_float_denorm_mode_32 3
		.amdhsa_float_denorm_mode_16_64 3
		.amdhsa_dx10_clamp 1
		.amdhsa_ieee_mode 1
		.amdhsa_fp16_overflow 0
		.amdhsa_exception_fp_ieee_invalid_op 0
		.amdhsa_exception_fp_denorm_src 0
		.amdhsa_exception_fp_ieee_div_zero 0
		.amdhsa_exception_fp_ieee_overflow 0
		.amdhsa_exception_fp_ieee_underflow 0
		.amdhsa_exception_fp_ieee_inexact 0
		.amdhsa_exception_int_div_zero 0
	.end_amdhsa_kernel
	.section	.text._Z6kernelI14exclusive_scanILN6hipcub18BlockScanAlgorithmE0EEiLj64ELj1ELj100EEvPKT0_PS4_S4_,"axG",@progbits,_Z6kernelI14exclusive_scanILN6hipcub18BlockScanAlgorithmE0EEiLj64ELj1ELj100EEvPKT0_PS4_S4_,comdat
.Lfunc_end162:
	.size	_Z6kernelI14exclusive_scanILN6hipcub18BlockScanAlgorithmE0EEiLj64ELj1ELj100EEvPKT0_PS4_S4_, .Lfunc_end162-_Z6kernelI14exclusive_scanILN6hipcub18BlockScanAlgorithmE0EEiLj64ELj1ELj100EEvPKT0_PS4_S4_
                                        ; -- End function
	.set _Z6kernelI14exclusive_scanILN6hipcub18BlockScanAlgorithmE0EEiLj64ELj1ELj100EEvPKT0_PS4_S4_.num_vgpr, 7
	.set _Z6kernelI14exclusive_scanILN6hipcub18BlockScanAlgorithmE0EEiLj64ELj1ELj100EEvPKT0_PS4_S4_.num_agpr, 0
	.set _Z6kernelI14exclusive_scanILN6hipcub18BlockScanAlgorithmE0EEiLj64ELj1ELj100EEvPKT0_PS4_S4_.numbered_sgpr, 21
	.set _Z6kernelI14exclusive_scanILN6hipcub18BlockScanAlgorithmE0EEiLj64ELj1ELj100EEvPKT0_PS4_S4_.num_named_barrier, 0
	.set _Z6kernelI14exclusive_scanILN6hipcub18BlockScanAlgorithmE0EEiLj64ELj1ELj100EEvPKT0_PS4_S4_.private_seg_size, 0
	.set _Z6kernelI14exclusive_scanILN6hipcub18BlockScanAlgorithmE0EEiLj64ELj1ELj100EEvPKT0_PS4_S4_.uses_vcc, 1
	.set _Z6kernelI14exclusive_scanILN6hipcub18BlockScanAlgorithmE0EEiLj64ELj1ELj100EEvPKT0_PS4_S4_.uses_flat_scratch, 0
	.set _Z6kernelI14exclusive_scanILN6hipcub18BlockScanAlgorithmE0EEiLj64ELj1ELj100EEvPKT0_PS4_S4_.has_dyn_sized_stack, 0
	.set _Z6kernelI14exclusive_scanILN6hipcub18BlockScanAlgorithmE0EEiLj64ELj1ELj100EEvPKT0_PS4_S4_.has_recursion, 0
	.set _Z6kernelI14exclusive_scanILN6hipcub18BlockScanAlgorithmE0EEiLj64ELj1ELj100EEvPKT0_PS4_S4_.has_indirect_call, 0
	.section	.AMDGPU.csdata,"",@progbits
; Kernel info:
; codeLenInByte = 424
; TotalNumSgprs: 25
; NumVgprs: 7
; ScratchSize: 0
; MemoryBound: 0
; FloatMode: 240
; IeeeMode: 1
; LDSByteSize: 4 bytes/workgroup (compile time only)
; SGPRBlocks: 3
; VGPRBlocks: 1
; NumSGPRsForWavesPerEU: 25
; NumVGPRsForWavesPerEU: 7
; Occupancy: 10
; WaveLimiterHint : 0
; COMPUTE_PGM_RSRC2:SCRATCH_EN: 0
; COMPUTE_PGM_RSRC2:USER_SGPR: 6
; COMPUTE_PGM_RSRC2:TRAP_HANDLER: 0
; COMPUTE_PGM_RSRC2:TGID_X_EN: 1
; COMPUTE_PGM_RSRC2:TGID_Y_EN: 0
; COMPUTE_PGM_RSRC2:TGID_Z_EN: 0
; COMPUTE_PGM_RSRC2:TIDIG_COMP_CNT: 0
	.section	.text._Z6kernelI14exclusive_scanILN6hipcub18BlockScanAlgorithmE0EEiLj64ELj3ELj100EEvPKT0_PS4_S4_,"axG",@progbits,_Z6kernelI14exclusive_scanILN6hipcub18BlockScanAlgorithmE0EEiLj64ELj3ELj100EEvPKT0_PS4_S4_,comdat
	.protected	_Z6kernelI14exclusive_scanILN6hipcub18BlockScanAlgorithmE0EEiLj64ELj3ELj100EEvPKT0_PS4_S4_ ; -- Begin function _Z6kernelI14exclusive_scanILN6hipcub18BlockScanAlgorithmE0EEiLj64ELj3ELj100EEvPKT0_PS4_S4_
	.globl	_Z6kernelI14exclusive_scanILN6hipcub18BlockScanAlgorithmE0EEiLj64ELj3ELj100EEvPKT0_PS4_S4_
	.p2align	8
	.type	_Z6kernelI14exclusive_scanILN6hipcub18BlockScanAlgorithmE0EEiLj64ELj3ELj100EEvPKT0_PS4_S4_,@function
_Z6kernelI14exclusive_scanILN6hipcub18BlockScanAlgorithmE0EEiLj64ELj3ELj100EEvPKT0_PS4_S4_: ; @_Z6kernelI14exclusive_scanILN6hipcub18BlockScanAlgorithmE0EEiLj64ELj3ELj100EEvPKT0_PS4_S4_
; %bb.0:
	s_load_dword s0, s[4:5], 0x24
	s_load_dwordx4 s[16:19], s[4:5], 0x0
	s_load_dword s20, s[4:5], 0x10
	v_mov_b32_e32 v4, 0
	v_mov_b32_e32 v6, v4
	s_waitcnt lgkmcnt(0)
	s_and_b32 s0, s0, 0xffff
	s_mul_i32 s6, s6, s0
	v_add_u32_e32 v1, s6, v0
	v_lshl_add_u32 v3, v1, 1, v1
	v_lshlrev_b64 v[1:2], 2, v[3:4]
	v_mov_b32_e32 v5, s17
	v_add_co_u32_e32 v12, vcc, s16, v1
	v_addc_co_u32_e32 v13, vcc, v5, v2, vcc
	v_add_u32_e32 v5, 1, v3
	v_lshlrev_b64 v[5:6], 2, v[5:6]
	v_mov_b32_e32 v7, s17
	v_add_co_u32_e32 v14, vcc, s16, v5
	v_add_u32_e32 v3, 2, v3
	v_addc_co_u32_e32 v15, vcc, v7, v6, vcc
	v_lshlrev_b64 v[7:8], 2, v[3:4]
	v_mov_b32_e32 v3, s17
	v_add_co_u32_e32 v16, vcc, s16, v7
	v_addc_co_u32_e32 v17, vcc, v3, v8, vcc
	global_load_dword v3, v[12:13], off
	global_load_dword v9, v[14:15], off
	;; [unrolled: 1-line block ×3, first 2 shown]
	v_mbcnt_lo_u32_b32 v10, -1, 0
	v_mbcnt_hi_u32_b32 v10, -1, v10
	v_and_b32_e32 v12, 15, v10
	v_cmp_eq_u32_e32 vcc, 0, v12
	v_cmp_lt_u32_e64 s[0:1], 1, v12
	v_cmp_lt_u32_e64 s[2:3], 3, v12
	v_cmp_lt_u32_e64 s[4:5], 7, v12
	v_and_b32_e32 v12, 16, v10
	v_cmp_eq_u32_e64 s[6:7], 0, v12
	v_subrev_co_u32_e64 v12, s[12:13], 1, v10
	v_and_b32_e32 v13, 64, v10
	v_cmp_lt_i32_e64 s[14:15], v12, v13
	v_cmp_lt_u32_e64 s[8:9], 31, v10
	v_cndmask_b32_e64 v10, v12, v10, s[14:15]
	v_cmp_eq_u32_e64 s[14:15], 0, v0
	v_cmp_eq_u32_e64 s[10:11], 63, v0
	v_lshlrev_b32_e32 v10, 2, v10
	s_or_b64 s[12:13], s[14:15], s[12:13]
	s_movk_i32 s16, 0x64
.LBB163_1:                              ; =>This Inner Loop Header: Depth=1
	s_waitcnt vmcnt(0)
	v_add3_u32 v0, v9, v3, v11
	s_nop 1
	v_mov_b32_dpp v11, v0 row_shr:1 row_mask:0xf bank_mask:0xf
	v_cndmask_b32_e64 v11, v11, 0, vcc
	v_add_u32_e32 v0, v0, v11
	s_nop 1
	v_mov_b32_dpp v11, v0 row_shr:2 row_mask:0xf bank_mask:0xf
	v_cndmask_b32_e64 v11, 0, v11, s[0:1]
	v_add_u32_e32 v0, v0, v11
	s_nop 1
	v_mov_b32_dpp v11, v0 row_shr:4 row_mask:0xf bank_mask:0xf
	v_cndmask_b32_e64 v11, 0, v11, s[2:3]
	;; [unrolled: 4-line block ×3, first 2 shown]
	v_add_u32_e32 v0, v0, v11
	s_nop 1
	v_mov_b32_dpp v11, v0 row_bcast:15 row_mask:0xf bank_mask:0xf
	v_cndmask_b32_e64 v11, v11, 0, s[6:7]
	v_add_u32_e32 v0, v0, v11
	s_nop 1
	v_mov_b32_dpp v11, v0 row_bcast:31 row_mask:0xf bank_mask:0xf
	v_cndmask_b32_e64 v11, 0, v11, s[8:9]
	v_add_u32_e32 v0, v0, v11
	s_and_saveexec_b64 s[14:15], s[10:11]
; %bb.2:                                ;   in Loop: Header=BB163_1 Depth=1
	ds_write_b32 v4, v0
; %bb.3:                                ;   in Loop: Header=BB163_1 Depth=1
	s_or_b64 exec, exec, s[14:15]
	v_add_u32_e32 v0, s20, v0
	ds_bpermute_b32 v0, v10, v0
	v_mov_b32_e32 v11, s20
	s_add_i32 s16, s16, -1
	s_cmp_lg_u32 s16, 0
	s_waitcnt lgkmcnt(0)
	v_cndmask_b32_e64 v12, v0, v11, s[12:13]
	v_add_u32_e32 v0, v12, v3
	v_add_u32_e32 v11, v0, v9
	; wave barrier
	s_cbranch_scc0 .LBB163_5
; %bb.4:                                ;   in Loop: Header=BB163_1 Depth=1
	v_mov_b32_e32 v3, v12
	v_mov_b32_e32 v9, v0
	s_branch .LBB163_1
.LBB163_5:
	v_mov_b32_e32 v3, s19
	v_add_co_u32_e32 v1, vcc, s18, v1
	v_addc_co_u32_e32 v2, vcc, v3, v2, vcc
	global_store_dword v[1:2], v12, off
	v_mov_b32_e32 v2, s19
	v_add_co_u32_e32 v1, vcc, s18, v5
	v_addc_co_u32_e32 v2, vcc, v2, v6, vcc
	global_store_dword v[1:2], v0, off
	;; [unrolled: 4-line block ×3, first 2 shown]
	s_endpgm
	.section	.rodata,"a",@progbits
	.p2align	6, 0x0
	.amdhsa_kernel _Z6kernelI14exclusive_scanILN6hipcub18BlockScanAlgorithmE0EEiLj64ELj3ELj100EEvPKT0_PS4_S4_
		.amdhsa_group_segment_fixed_size 4
		.amdhsa_private_segment_fixed_size 0
		.amdhsa_kernarg_size 280
		.amdhsa_user_sgpr_count 6
		.amdhsa_user_sgpr_private_segment_buffer 1
		.amdhsa_user_sgpr_dispatch_ptr 0
		.amdhsa_user_sgpr_queue_ptr 0
		.amdhsa_user_sgpr_kernarg_segment_ptr 1
		.amdhsa_user_sgpr_dispatch_id 0
		.amdhsa_user_sgpr_flat_scratch_init 0
		.amdhsa_user_sgpr_private_segment_size 0
		.amdhsa_uses_dynamic_stack 0
		.amdhsa_system_sgpr_private_segment_wavefront_offset 0
		.amdhsa_system_sgpr_workgroup_id_x 1
		.amdhsa_system_sgpr_workgroup_id_y 0
		.amdhsa_system_sgpr_workgroup_id_z 0
		.amdhsa_system_sgpr_workgroup_info 0
		.amdhsa_system_vgpr_workitem_id 0
		.amdhsa_next_free_vgpr 18
		.amdhsa_next_free_sgpr 21
		.amdhsa_reserve_vcc 1
		.amdhsa_reserve_flat_scratch 0
		.amdhsa_float_round_mode_32 0
		.amdhsa_float_round_mode_16_64 0
		.amdhsa_float_denorm_mode_32 3
		.amdhsa_float_denorm_mode_16_64 3
		.amdhsa_dx10_clamp 1
		.amdhsa_ieee_mode 1
		.amdhsa_fp16_overflow 0
		.amdhsa_exception_fp_ieee_invalid_op 0
		.amdhsa_exception_fp_denorm_src 0
		.amdhsa_exception_fp_ieee_div_zero 0
		.amdhsa_exception_fp_ieee_overflow 0
		.amdhsa_exception_fp_ieee_underflow 0
		.amdhsa_exception_fp_ieee_inexact 0
		.amdhsa_exception_int_div_zero 0
	.end_amdhsa_kernel
	.section	.text._Z6kernelI14exclusive_scanILN6hipcub18BlockScanAlgorithmE0EEiLj64ELj3ELj100EEvPKT0_PS4_S4_,"axG",@progbits,_Z6kernelI14exclusive_scanILN6hipcub18BlockScanAlgorithmE0EEiLj64ELj3ELj100EEvPKT0_PS4_S4_,comdat
.Lfunc_end163:
	.size	_Z6kernelI14exclusive_scanILN6hipcub18BlockScanAlgorithmE0EEiLj64ELj3ELj100EEvPKT0_PS4_S4_, .Lfunc_end163-_Z6kernelI14exclusive_scanILN6hipcub18BlockScanAlgorithmE0EEiLj64ELj3ELj100EEvPKT0_PS4_S4_
                                        ; -- End function
	.set _Z6kernelI14exclusive_scanILN6hipcub18BlockScanAlgorithmE0EEiLj64ELj3ELj100EEvPKT0_PS4_S4_.num_vgpr, 18
	.set _Z6kernelI14exclusive_scanILN6hipcub18BlockScanAlgorithmE0EEiLj64ELj3ELj100EEvPKT0_PS4_S4_.num_agpr, 0
	.set _Z6kernelI14exclusive_scanILN6hipcub18BlockScanAlgorithmE0EEiLj64ELj3ELj100EEvPKT0_PS4_S4_.numbered_sgpr, 21
	.set _Z6kernelI14exclusive_scanILN6hipcub18BlockScanAlgorithmE0EEiLj64ELj3ELj100EEvPKT0_PS4_S4_.num_named_barrier, 0
	.set _Z6kernelI14exclusive_scanILN6hipcub18BlockScanAlgorithmE0EEiLj64ELj3ELj100EEvPKT0_PS4_S4_.private_seg_size, 0
	.set _Z6kernelI14exclusive_scanILN6hipcub18BlockScanAlgorithmE0EEiLj64ELj3ELj100EEvPKT0_PS4_S4_.uses_vcc, 1
	.set _Z6kernelI14exclusive_scanILN6hipcub18BlockScanAlgorithmE0EEiLj64ELj3ELj100EEvPKT0_PS4_S4_.uses_flat_scratch, 0
	.set _Z6kernelI14exclusive_scanILN6hipcub18BlockScanAlgorithmE0EEiLj64ELj3ELj100EEvPKT0_PS4_S4_.has_dyn_sized_stack, 0
	.set _Z6kernelI14exclusive_scanILN6hipcub18BlockScanAlgorithmE0EEiLj64ELj3ELj100EEvPKT0_PS4_S4_.has_recursion, 0
	.set _Z6kernelI14exclusive_scanILN6hipcub18BlockScanAlgorithmE0EEiLj64ELj3ELj100EEvPKT0_PS4_S4_.has_indirect_call, 0
	.section	.AMDGPU.csdata,"",@progbits
; Kernel info:
; codeLenInByte = 572
; TotalNumSgprs: 25
; NumVgprs: 18
; ScratchSize: 0
; MemoryBound: 0
; FloatMode: 240
; IeeeMode: 1
; LDSByteSize: 4 bytes/workgroup (compile time only)
; SGPRBlocks: 3
; VGPRBlocks: 4
; NumSGPRsForWavesPerEU: 25
; NumVGPRsForWavesPerEU: 18
; Occupancy: 10
; WaveLimiterHint : 0
; COMPUTE_PGM_RSRC2:SCRATCH_EN: 0
; COMPUTE_PGM_RSRC2:USER_SGPR: 6
; COMPUTE_PGM_RSRC2:TRAP_HANDLER: 0
; COMPUTE_PGM_RSRC2:TGID_X_EN: 1
; COMPUTE_PGM_RSRC2:TGID_Y_EN: 0
; COMPUTE_PGM_RSRC2:TGID_Z_EN: 0
; COMPUTE_PGM_RSRC2:TIDIG_COMP_CNT: 0
	.section	.text._Z6kernelI14exclusive_scanILN6hipcub18BlockScanAlgorithmE0EEiLj64ELj4ELj100EEvPKT0_PS4_S4_,"axG",@progbits,_Z6kernelI14exclusive_scanILN6hipcub18BlockScanAlgorithmE0EEiLj64ELj4ELj100EEvPKT0_PS4_S4_,comdat
	.protected	_Z6kernelI14exclusive_scanILN6hipcub18BlockScanAlgorithmE0EEiLj64ELj4ELj100EEvPKT0_PS4_S4_ ; -- Begin function _Z6kernelI14exclusive_scanILN6hipcub18BlockScanAlgorithmE0EEiLj64ELj4ELj100EEvPKT0_PS4_S4_
	.globl	_Z6kernelI14exclusive_scanILN6hipcub18BlockScanAlgorithmE0EEiLj64ELj4ELj100EEvPKT0_PS4_S4_
	.p2align	8
	.type	_Z6kernelI14exclusive_scanILN6hipcub18BlockScanAlgorithmE0EEiLj64ELj4ELj100EEvPKT0_PS4_S4_,@function
_Z6kernelI14exclusive_scanILN6hipcub18BlockScanAlgorithmE0EEiLj64ELj4ELj100EEvPKT0_PS4_S4_: ; @_Z6kernelI14exclusive_scanILN6hipcub18BlockScanAlgorithmE0EEiLj64ELj4ELj100EEvPKT0_PS4_S4_
; %bb.0:
	s_load_dword s0, s[4:5], 0x24
	s_load_dwordx4 s[16:19], s[4:5], 0x0
	s_load_dword s20, s[4:5], 0x10
	v_mov_b32_e32 v10, 0
	v_mbcnt_lo_u32_b32 v5, -1, 0
	s_waitcnt lgkmcnt(0)
	s_and_b32 s0, s0, 0xffff
	s_mul_i32 s6, s6, s0
	v_add_lshl_u32 v9, s6, v0, 2
	v_lshlrev_b64 v[8:9], 2, v[9:10]
	v_mov_b32_e32 v2, s17
	v_add_co_u32_e32 v1, vcc, s16, v8
	v_addc_co_u32_e32 v2, vcc, v2, v9, vcc
	global_load_dwordx4 v[1:4], v[1:2], off
	v_mbcnt_hi_u32_b32 v5, -1, v5
	v_and_b32_e32 v6, 15, v5
	v_cmp_eq_u32_e32 vcc, 0, v6
	v_cmp_lt_u32_e64 s[0:1], 1, v6
	v_cmp_lt_u32_e64 s[2:3], 3, v6
	;; [unrolled: 1-line block ×3, first 2 shown]
	v_and_b32_e32 v6, 16, v5
	v_cmp_eq_u32_e64 s[6:7], 0, v6
	v_subrev_co_u32_e64 v6, s[12:13], 1, v5
	v_and_b32_e32 v7, 64, v5
	v_cmp_lt_i32_e64 s[14:15], v6, v7
	v_cmp_lt_u32_e64 s[8:9], 31, v5
	v_cndmask_b32_e64 v5, v6, v5, s[14:15]
	v_cmp_eq_u32_e64 s[14:15], 0, v0
	v_cmp_eq_u32_e64 s[10:11], 63, v0
	v_lshlrev_b32_e32 v11, 2, v5
	s_or_b64 s[12:13], s[14:15], s[12:13]
	s_movk_i32 s16, 0x64
.LBB164_1:                              ; =>This Inner Loop Header: Depth=1
	s_waitcnt vmcnt(0)
	v_add_u32_e32 v0, v2, v1
	v_add3_u32 v0, v0, v3, v4
	s_nop 1
	v_mov_b32_dpp v4, v0 row_shr:1 row_mask:0xf bank_mask:0xf
	v_cndmask_b32_e64 v4, v4, 0, vcc
	v_add_u32_e32 v0, v0, v4
	s_nop 1
	v_mov_b32_dpp v4, v0 row_shr:2 row_mask:0xf bank_mask:0xf
	v_cndmask_b32_e64 v4, 0, v4, s[0:1]
	v_add_u32_e32 v0, v0, v4
	s_nop 1
	v_mov_b32_dpp v4, v0 row_shr:4 row_mask:0xf bank_mask:0xf
	v_cndmask_b32_e64 v4, 0, v4, s[2:3]
	;; [unrolled: 4-line block ×3, first 2 shown]
	v_add_u32_e32 v0, v0, v4
	s_nop 1
	v_mov_b32_dpp v4, v0 row_bcast:15 row_mask:0xf bank_mask:0xf
	v_cndmask_b32_e64 v4, v4, 0, s[6:7]
	v_add_u32_e32 v0, v0, v4
	s_nop 1
	v_mov_b32_dpp v4, v0 row_bcast:31 row_mask:0xf bank_mask:0xf
	v_cndmask_b32_e64 v4, 0, v4, s[8:9]
	v_add_u32_e32 v0, v0, v4
	s_and_saveexec_b64 s[14:15], s[10:11]
; %bb.2:                                ;   in Loop: Header=BB164_1 Depth=1
	ds_write_b32 v10, v0
; %bb.3:                                ;   in Loop: Header=BB164_1 Depth=1
	s_or_b64 exec, exec, s[14:15]
	v_add_u32_e32 v0, s20, v0
	ds_bpermute_b32 v0, v11, v0
	v_mov_b32_e32 v4, s20
	s_add_i32 s16, s16, -1
	s_cmp_lg_u32 s16, 0
	s_waitcnt lgkmcnt(0)
	v_cndmask_b32_e64 v5, v0, v4, s[12:13]
	v_add_u32_e32 v6, v5, v1
	v_add_u32_e32 v7, v6, v2
	;; [unrolled: 1-line block ×3, first 2 shown]
	; wave barrier
	s_cbranch_scc0 .LBB164_5
; %bb.4:                                ;   in Loop: Header=BB164_1 Depth=1
	v_mov_b32_e32 v1, v5
	v_mov_b32_e32 v2, v6
	;; [unrolled: 1-line block ×3, first 2 shown]
	s_branch .LBB164_1
.LBB164_5:
	v_mov_b32_e32 v1, s19
	v_add_co_u32_e32 v0, vcc, s18, v8
	v_addc_co_u32_e32 v1, vcc, v1, v9, vcc
	v_mov_b32_e32 v8, v4
	global_store_dwordx4 v[0:1], v[5:8], off
	s_endpgm
	.section	.rodata,"a",@progbits
	.p2align	6, 0x0
	.amdhsa_kernel _Z6kernelI14exclusive_scanILN6hipcub18BlockScanAlgorithmE0EEiLj64ELj4ELj100EEvPKT0_PS4_S4_
		.amdhsa_group_segment_fixed_size 4
		.amdhsa_private_segment_fixed_size 0
		.amdhsa_kernarg_size 280
		.amdhsa_user_sgpr_count 6
		.amdhsa_user_sgpr_private_segment_buffer 1
		.amdhsa_user_sgpr_dispatch_ptr 0
		.amdhsa_user_sgpr_queue_ptr 0
		.amdhsa_user_sgpr_kernarg_segment_ptr 1
		.amdhsa_user_sgpr_dispatch_id 0
		.amdhsa_user_sgpr_flat_scratch_init 0
		.amdhsa_user_sgpr_private_segment_size 0
		.amdhsa_uses_dynamic_stack 0
		.amdhsa_system_sgpr_private_segment_wavefront_offset 0
		.amdhsa_system_sgpr_workgroup_id_x 1
		.amdhsa_system_sgpr_workgroup_id_y 0
		.amdhsa_system_sgpr_workgroup_id_z 0
		.amdhsa_system_sgpr_workgroup_info 0
		.amdhsa_system_vgpr_workitem_id 0
		.amdhsa_next_free_vgpr 12
		.amdhsa_next_free_sgpr 21
		.amdhsa_reserve_vcc 1
		.amdhsa_reserve_flat_scratch 0
		.amdhsa_float_round_mode_32 0
		.amdhsa_float_round_mode_16_64 0
		.amdhsa_float_denorm_mode_32 3
		.amdhsa_float_denorm_mode_16_64 3
		.amdhsa_dx10_clamp 1
		.amdhsa_ieee_mode 1
		.amdhsa_fp16_overflow 0
		.amdhsa_exception_fp_ieee_invalid_op 0
		.amdhsa_exception_fp_denorm_src 0
		.amdhsa_exception_fp_ieee_div_zero 0
		.amdhsa_exception_fp_ieee_overflow 0
		.amdhsa_exception_fp_ieee_underflow 0
		.amdhsa_exception_fp_ieee_inexact 0
		.amdhsa_exception_int_div_zero 0
	.end_amdhsa_kernel
	.section	.text._Z6kernelI14exclusive_scanILN6hipcub18BlockScanAlgorithmE0EEiLj64ELj4ELj100EEvPKT0_PS4_S4_,"axG",@progbits,_Z6kernelI14exclusive_scanILN6hipcub18BlockScanAlgorithmE0EEiLj64ELj4ELj100EEvPKT0_PS4_S4_,comdat
.Lfunc_end164:
	.size	_Z6kernelI14exclusive_scanILN6hipcub18BlockScanAlgorithmE0EEiLj64ELj4ELj100EEvPKT0_PS4_S4_, .Lfunc_end164-_Z6kernelI14exclusive_scanILN6hipcub18BlockScanAlgorithmE0EEiLj64ELj4ELj100EEvPKT0_PS4_S4_
                                        ; -- End function
	.set _Z6kernelI14exclusive_scanILN6hipcub18BlockScanAlgorithmE0EEiLj64ELj4ELj100EEvPKT0_PS4_S4_.num_vgpr, 12
	.set _Z6kernelI14exclusive_scanILN6hipcub18BlockScanAlgorithmE0EEiLj64ELj4ELj100EEvPKT0_PS4_S4_.num_agpr, 0
	.set _Z6kernelI14exclusive_scanILN6hipcub18BlockScanAlgorithmE0EEiLj64ELj4ELj100EEvPKT0_PS4_S4_.numbered_sgpr, 21
	.set _Z6kernelI14exclusive_scanILN6hipcub18BlockScanAlgorithmE0EEiLj64ELj4ELj100EEvPKT0_PS4_S4_.num_named_barrier, 0
	.set _Z6kernelI14exclusive_scanILN6hipcub18BlockScanAlgorithmE0EEiLj64ELj4ELj100EEvPKT0_PS4_S4_.private_seg_size, 0
	.set _Z6kernelI14exclusive_scanILN6hipcub18BlockScanAlgorithmE0EEiLj64ELj4ELj100EEvPKT0_PS4_S4_.uses_vcc, 1
	.set _Z6kernelI14exclusive_scanILN6hipcub18BlockScanAlgorithmE0EEiLj64ELj4ELj100EEvPKT0_PS4_S4_.uses_flat_scratch, 0
	.set _Z6kernelI14exclusive_scanILN6hipcub18BlockScanAlgorithmE0EEiLj64ELj4ELj100EEvPKT0_PS4_S4_.has_dyn_sized_stack, 0
	.set _Z6kernelI14exclusive_scanILN6hipcub18BlockScanAlgorithmE0EEiLj64ELj4ELj100EEvPKT0_PS4_S4_.has_recursion, 0
	.set _Z6kernelI14exclusive_scanILN6hipcub18BlockScanAlgorithmE0EEiLj64ELj4ELj100EEvPKT0_PS4_S4_.has_indirect_call, 0
	.section	.AMDGPU.csdata,"",@progbits
; Kernel info:
; codeLenInByte = 476
; TotalNumSgprs: 25
; NumVgprs: 12
; ScratchSize: 0
; MemoryBound: 0
; FloatMode: 240
; IeeeMode: 1
; LDSByteSize: 4 bytes/workgroup (compile time only)
; SGPRBlocks: 3
; VGPRBlocks: 2
; NumSGPRsForWavesPerEU: 25
; NumVGPRsForWavesPerEU: 12
; Occupancy: 10
; WaveLimiterHint : 0
; COMPUTE_PGM_RSRC2:SCRATCH_EN: 0
; COMPUTE_PGM_RSRC2:USER_SGPR: 6
; COMPUTE_PGM_RSRC2:TRAP_HANDLER: 0
; COMPUTE_PGM_RSRC2:TGID_X_EN: 1
; COMPUTE_PGM_RSRC2:TGID_Y_EN: 0
; COMPUTE_PGM_RSRC2:TGID_Z_EN: 0
; COMPUTE_PGM_RSRC2:TIDIG_COMP_CNT: 0
	.section	.text._Z6kernelI14exclusive_scanILN6hipcub18BlockScanAlgorithmE0EEiLj64ELj8ELj100EEvPKT0_PS4_S4_,"axG",@progbits,_Z6kernelI14exclusive_scanILN6hipcub18BlockScanAlgorithmE0EEiLj64ELj8ELj100EEvPKT0_PS4_S4_,comdat
	.protected	_Z6kernelI14exclusive_scanILN6hipcub18BlockScanAlgorithmE0EEiLj64ELj8ELj100EEvPKT0_PS4_S4_ ; -- Begin function _Z6kernelI14exclusive_scanILN6hipcub18BlockScanAlgorithmE0EEiLj64ELj8ELj100EEvPKT0_PS4_S4_
	.globl	_Z6kernelI14exclusive_scanILN6hipcub18BlockScanAlgorithmE0EEiLj64ELj8ELj100EEvPKT0_PS4_S4_
	.p2align	8
	.type	_Z6kernelI14exclusive_scanILN6hipcub18BlockScanAlgorithmE0EEiLj64ELj8ELj100EEvPKT0_PS4_S4_,@function
_Z6kernelI14exclusive_scanILN6hipcub18BlockScanAlgorithmE0EEiLj64ELj8ELj100EEvPKT0_PS4_S4_: ; @_Z6kernelI14exclusive_scanILN6hipcub18BlockScanAlgorithmE0EEiLj64ELj8ELj100EEvPKT0_PS4_S4_
; %bb.0:
	s_load_dword s0, s[4:5], 0x24
	s_load_dwordx4 s[16:19], s[4:5], 0x0
	s_load_dword s20, s[4:5], 0x10
	v_mov_b32_e32 v18, 0
	v_cmp_eq_u32_e64 s[10:11], 63, v0
	s_waitcnt lgkmcnt(0)
	s_and_b32 s0, s0, 0xffff
	s_mul_i32 s6, s6, s0
	v_add_lshl_u32 v17, s6, v0, 3
	v_lshlrev_b64 v[16:17], 2, v[17:18]
	v_mov_b32_e32 v1, s17
	v_add_co_u32_e32 v9, vcc, s16, v16
	v_addc_co_u32_e32 v10, vcc, v1, v17, vcc
	global_load_dwordx4 v[5:8], v[9:10], off
	global_load_dwordx4 v[1:4], v[9:10], off offset:16
	v_mbcnt_lo_u32_b32 v9, -1, 0
	v_mbcnt_hi_u32_b32 v9, -1, v9
	v_and_b32_e32 v10, 15, v9
	v_cmp_eq_u32_e32 vcc, 0, v10
	v_cmp_lt_u32_e64 s[0:1], 1, v10
	v_cmp_lt_u32_e64 s[2:3], 3, v10
	;; [unrolled: 1-line block ×3, first 2 shown]
	v_and_b32_e32 v10, 16, v9
	v_cmp_eq_u32_e64 s[6:7], 0, v10
	v_subrev_co_u32_e64 v10, s[12:13], 1, v9
	v_and_b32_e32 v11, 64, v9
	v_cmp_lt_i32_e64 s[14:15], v10, v11
	v_cmp_lt_u32_e64 s[8:9], 31, v9
	v_cndmask_b32_e64 v9, v10, v9, s[14:15]
	v_cmp_eq_u32_e64 s[14:15], 0, v0
	v_lshlrev_b32_e32 v19, 2, v9
	s_or_b64 s[12:13], s[14:15], s[12:13]
	s_movk_i32 s16, 0x64
.LBB165_1:                              ; =>This Inner Loop Header: Depth=1
	s_waitcnt vmcnt(1)
	v_add_u32_e32 v0, v6, v5
	v_add3_u32 v0, v0, v7, v8
	s_waitcnt vmcnt(0)
	v_add3_u32 v0, v0, v1, v2
	v_add3_u32 v0, v0, v3, v4
	s_nop 1
	v_mov_b32_dpp v4, v0 row_shr:1 row_mask:0xf bank_mask:0xf
	v_cndmask_b32_e64 v4, v4, 0, vcc
	v_add_u32_e32 v0, v0, v4
	s_nop 1
	v_mov_b32_dpp v4, v0 row_shr:2 row_mask:0xf bank_mask:0xf
	v_cndmask_b32_e64 v4, 0, v4, s[0:1]
	v_add_u32_e32 v0, v0, v4
	s_nop 1
	v_mov_b32_dpp v4, v0 row_shr:4 row_mask:0xf bank_mask:0xf
	v_cndmask_b32_e64 v4, 0, v4, s[2:3]
	;; [unrolled: 4-line block ×3, first 2 shown]
	v_add_u32_e32 v0, v0, v4
	s_nop 1
	v_mov_b32_dpp v4, v0 row_bcast:15 row_mask:0xf bank_mask:0xf
	v_cndmask_b32_e64 v4, v4, 0, s[6:7]
	v_add_u32_e32 v0, v0, v4
	s_nop 1
	v_mov_b32_dpp v4, v0 row_bcast:31 row_mask:0xf bank_mask:0xf
	v_cndmask_b32_e64 v4, 0, v4, s[8:9]
	v_add_u32_e32 v0, v0, v4
	s_and_saveexec_b64 s[14:15], s[10:11]
; %bb.2:                                ;   in Loop: Header=BB165_1 Depth=1
	ds_write_b32 v18, v0
; %bb.3:                                ;   in Loop: Header=BB165_1 Depth=1
	s_or_b64 exec, exec, s[14:15]
	v_add_u32_e32 v0, s20, v0
	ds_bpermute_b32 v0, v19, v0
	v_mov_b32_e32 v4, s20
	s_add_i32 s16, s16, -1
	s_cmp_lg_u32 s16, 0
	s_waitcnt lgkmcnt(0)
	v_cndmask_b32_e64 v12, v0, v4, s[12:13]
	v_add_u32_e32 v13, v12, v5
	v_add_u32_e32 v14, v13, v6
	;; [unrolled: 1-line block ×7, first 2 shown]
	; wave barrier
	s_cbranch_scc0 .LBB165_5
; %bb.4:                                ;   in Loop: Header=BB165_1 Depth=1
	v_mov_b32_e32 v5, v12
	v_mov_b32_e32 v6, v13
	;; [unrolled: 1-line block ×7, first 2 shown]
	s_branch .LBB165_1
.LBB165_5:
	v_mov_b32_e32 v1, s19
	v_add_co_u32_e32 v0, vcc, s18, v16
	v_addc_co_u32_e32 v1, vcc, v1, v17, vcc
	global_store_dwordx4 v[0:1], v[12:15], off
	s_nop 0
	v_mov_b32_e32 v12, v4
	global_store_dwordx4 v[0:1], v[9:12], off offset:16
	s_endpgm
	.section	.rodata,"a",@progbits
	.p2align	6, 0x0
	.amdhsa_kernel _Z6kernelI14exclusive_scanILN6hipcub18BlockScanAlgorithmE0EEiLj64ELj8ELj100EEvPKT0_PS4_S4_
		.amdhsa_group_segment_fixed_size 4
		.amdhsa_private_segment_fixed_size 0
		.amdhsa_kernarg_size 280
		.amdhsa_user_sgpr_count 6
		.amdhsa_user_sgpr_private_segment_buffer 1
		.amdhsa_user_sgpr_dispatch_ptr 0
		.amdhsa_user_sgpr_queue_ptr 0
		.amdhsa_user_sgpr_kernarg_segment_ptr 1
		.amdhsa_user_sgpr_dispatch_id 0
		.amdhsa_user_sgpr_flat_scratch_init 0
		.amdhsa_user_sgpr_private_segment_size 0
		.amdhsa_uses_dynamic_stack 0
		.amdhsa_system_sgpr_private_segment_wavefront_offset 0
		.amdhsa_system_sgpr_workgroup_id_x 1
		.amdhsa_system_sgpr_workgroup_id_y 0
		.amdhsa_system_sgpr_workgroup_id_z 0
		.amdhsa_system_sgpr_workgroup_info 0
		.amdhsa_system_vgpr_workitem_id 0
		.amdhsa_next_free_vgpr 20
		.amdhsa_next_free_sgpr 21
		.amdhsa_reserve_vcc 1
		.amdhsa_reserve_flat_scratch 0
		.amdhsa_float_round_mode_32 0
		.amdhsa_float_round_mode_16_64 0
		.amdhsa_float_denorm_mode_32 3
		.amdhsa_float_denorm_mode_16_64 3
		.amdhsa_dx10_clamp 1
		.amdhsa_ieee_mode 1
		.amdhsa_fp16_overflow 0
		.amdhsa_exception_fp_ieee_invalid_op 0
		.amdhsa_exception_fp_denorm_src 0
		.amdhsa_exception_fp_ieee_div_zero 0
		.amdhsa_exception_fp_ieee_overflow 0
		.amdhsa_exception_fp_ieee_underflow 0
		.amdhsa_exception_fp_ieee_inexact 0
		.amdhsa_exception_int_div_zero 0
	.end_amdhsa_kernel
	.section	.text._Z6kernelI14exclusive_scanILN6hipcub18BlockScanAlgorithmE0EEiLj64ELj8ELj100EEvPKT0_PS4_S4_,"axG",@progbits,_Z6kernelI14exclusive_scanILN6hipcub18BlockScanAlgorithmE0EEiLj64ELj8ELj100EEvPKT0_PS4_S4_,comdat
.Lfunc_end165:
	.size	_Z6kernelI14exclusive_scanILN6hipcub18BlockScanAlgorithmE0EEiLj64ELj8ELj100EEvPKT0_PS4_S4_, .Lfunc_end165-_Z6kernelI14exclusive_scanILN6hipcub18BlockScanAlgorithmE0EEiLj64ELj8ELj100EEvPKT0_PS4_S4_
                                        ; -- End function
	.set _Z6kernelI14exclusive_scanILN6hipcub18BlockScanAlgorithmE0EEiLj64ELj8ELj100EEvPKT0_PS4_S4_.num_vgpr, 20
	.set _Z6kernelI14exclusive_scanILN6hipcub18BlockScanAlgorithmE0EEiLj64ELj8ELj100EEvPKT0_PS4_S4_.num_agpr, 0
	.set _Z6kernelI14exclusive_scanILN6hipcub18BlockScanAlgorithmE0EEiLj64ELj8ELj100EEvPKT0_PS4_S4_.numbered_sgpr, 21
	.set _Z6kernelI14exclusive_scanILN6hipcub18BlockScanAlgorithmE0EEiLj64ELj8ELj100EEvPKT0_PS4_S4_.num_named_barrier, 0
	.set _Z6kernelI14exclusive_scanILN6hipcub18BlockScanAlgorithmE0EEiLj64ELj8ELj100EEvPKT0_PS4_S4_.private_seg_size, 0
	.set _Z6kernelI14exclusive_scanILN6hipcub18BlockScanAlgorithmE0EEiLj64ELj8ELj100EEvPKT0_PS4_S4_.uses_vcc, 1
	.set _Z6kernelI14exclusive_scanILN6hipcub18BlockScanAlgorithmE0EEiLj64ELj8ELj100EEvPKT0_PS4_S4_.uses_flat_scratch, 0
	.set _Z6kernelI14exclusive_scanILN6hipcub18BlockScanAlgorithmE0EEiLj64ELj8ELj100EEvPKT0_PS4_S4_.has_dyn_sized_stack, 0
	.set _Z6kernelI14exclusive_scanILN6hipcub18BlockScanAlgorithmE0EEiLj64ELj8ELj100EEvPKT0_PS4_S4_.has_recursion, 0
	.set _Z6kernelI14exclusive_scanILN6hipcub18BlockScanAlgorithmE0EEiLj64ELj8ELj100EEvPKT0_PS4_S4_.has_indirect_call, 0
	.section	.AMDGPU.csdata,"",@progbits
; Kernel info:
; codeLenInByte = 548
; TotalNumSgprs: 25
; NumVgprs: 20
; ScratchSize: 0
; MemoryBound: 0
; FloatMode: 240
; IeeeMode: 1
; LDSByteSize: 4 bytes/workgroup (compile time only)
; SGPRBlocks: 3
; VGPRBlocks: 4
; NumSGPRsForWavesPerEU: 25
; NumVGPRsForWavesPerEU: 20
; Occupancy: 10
; WaveLimiterHint : 0
; COMPUTE_PGM_RSRC2:SCRATCH_EN: 0
; COMPUTE_PGM_RSRC2:USER_SGPR: 6
; COMPUTE_PGM_RSRC2:TRAP_HANDLER: 0
; COMPUTE_PGM_RSRC2:TGID_X_EN: 1
; COMPUTE_PGM_RSRC2:TGID_Y_EN: 0
; COMPUTE_PGM_RSRC2:TGID_Z_EN: 0
; COMPUTE_PGM_RSRC2:TIDIG_COMP_CNT: 0
	.section	.text._Z6kernelI14exclusive_scanILN6hipcub18BlockScanAlgorithmE0EEiLj64ELj11ELj100EEvPKT0_PS4_S4_,"axG",@progbits,_Z6kernelI14exclusive_scanILN6hipcub18BlockScanAlgorithmE0EEiLj64ELj11ELj100EEvPKT0_PS4_S4_,comdat
	.protected	_Z6kernelI14exclusive_scanILN6hipcub18BlockScanAlgorithmE0EEiLj64ELj11ELj100EEvPKT0_PS4_S4_ ; -- Begin function _Z6kernelI14exclusive_scanILN6hipcub18BlockScanAlgorithmE0EEiLj64ELj11ELj100EEvPKT0_PS4_S4_
	.globl	_Z6kernelI14exclusive_scanILN6hipcub18BlockScanAlgorithmE0EEiLj64ELj11ELj100EEvPKT0_PS4_S4_
	.p2align	8
	.type	_Z6kernelI14exclusive_scanILN6hipcub18BlockScanAlgorithmE0EEiLj64ELj11ELj100EEvPKT0_PS4_S4_,@function
_Z6kernelI14exclusive_scanILN6hipcub18BlockScanAlgorithmE0EEiLj64ELj11ELj100EEvPKT0_PS4_S4_: ; @_Z6kernelI14exclusive_scanILN6hipcub18BlockScanAlgorithmE0EEiLj64ELj11ELj100EEvPKT0_PS4_S4_
; %bb.0:
	s_load_dword s0, s[4:5], 0x24
	s_load_dwordx4 s[16:19], s[4:5], 0x0
	s_load_dword s20, s[4:5], 0x10
	v_mov_b32_e32 v18, 0
	v_cmp_eq_u32_e64 s[14:15], 0, v0
	s_waitcnt lgkmcnt(0)
	s_and_b32 s0, s0, 0xffff
	s_mul_i32 s6, s6, s0
	v_add_u32_e32 v1, s6, v0
	v_mul_lo_u32 v17, v1, 11
	v_mov_b32_e32 v2, s17
	v_mov_b32_e32 v25, s17
	v_lshlrev_b64 v[15:16], 2, v[17:18]
	v_add_u32_e32 v1, 1, v17
	v_add_co_u32_e32 v19, vcc, s16, v15
	v_addc_co_u32_e32 v20, vcc, v2, v16, vcc
	v_mov_b32_e32 v2, v18
	v_lshlrev_b64 v[13:14], 2, v[1:2]
	v_mov_b32_e32 v1, s17
	v_add_co_u32_e32 v21, vcc, s16, v13
	v_addc_co_u32_e32 v22, vcc, v1, v14, vcc
	v_add_u32_e32 v1, 2, v17
	v_lshlrev_b64 v[11:12], 2, v[1:2]
	v_mov_b32_e32 v1, s17
	v_add_co_u32_e32 v23, vcc, s16, v11
	v_addc_co_u32_e32 v24, vcc, v1, v12, vcc
	v_add_u32_e32 v1, 3, v17
	;; [unrolled: 5-line block ×6, first 2 shown]
	v_lshlrev_b64 v[1:2], 2, v[1:2]
	v_add_co_u32_e32 v41, vcc, s16, v1
	v_addc_co_u32_e32 v42, vcc, v25, v2, vcc
	global_load_dword v32, v[19:20], off
	global_load_dword v30, v[21:22], off
	;; [unrolled: 1-line block ×5, first 2 shown]
                                        ; kill: killed $vgpr21 killed $vgpr22
                                        ; kill: killed $vgpr23 killed $vgpr24
                                        ; kill: killed $vgpr35 killed $vgpr36
                                        ; kill: killed $vgpr19 killed $vgpr20
                                        ; kill: killed $vgpr33 killed $vgpr34
	global_load_dword v31, v[37:38], off
	global_load_dword v29, v[39:40], off
	;; [unrolled: 1-line block ×3, first 2 shown]
	v_add_u32_e32 v19, 8, v17
	v_mov_b32_e32 v20, v18
	v_lshlrev_b64 v[23:24], 2, v[19:20]
	v_mov_b32_e32 v19, s17
	v_add_co_u32_e32 v35, vcc, s16, v23
	v_addc_co_u32_e32 v36, vcc, v19, v24, vcc
	v_add_u32_e32 v19, 9, v17
	v_lshlrev_b64 v[21:22], 2, v[19:20]
	v_mov_b32_e32 v19, s17
	v_add_co_u32_e32 v37, vcc, s16, v21
	v_add_u32_e32 v17, 10, v17
	v_addc_co_u32_e32 v38, vcc, v19, v22, vcc
	v_lshlrev_b64 v[19:20], 2, v[17:18]
	v_mov_b32_e32 v33, s17
	v_add_co_u32_e32 v39, vcc, s16, v19
	v_addc_co_u32_e32 v40, vcc, v33, v20, vcc
	global_load_dword v34, v[35:36], off
	global_load_dword v33, v[37:38], off
                                        ; kill: killed $vgpr37 killed $vgpr38
                                        ; kill: killed $vgpr35 killed $vgpr36
	global_load_dword v17, v[39:40], off
	v_mbcnt_lo_u32_b32 v35, -1, 0
	v_mbcnt_hi_u32_b32 v35, -1, v35
	v_and_b32_e32 v36, 15, v35
	v_cmp_eq_u32_e32 vcc, 0, v36
	v_cmp_lt_u32_e64 s[0:1], 1, v36
	v_cmp_lt_u32_e64 s[2:3], 3, v36
	;; [unrolled: 1-line block ×3, first 2 shown]
	v_and_b32_e32 v36, 16, v35
	v_cmp_eq_u32_e64 s[6:7], 0, v36
	v_subrev_co_u32_e64 v36, s[12:13], 1, v35
	v_and_b32_e32 v37, 64, v35
	v_cmp_lt_i32_e64 s[10:11], v36, v37
	v_cmp_lt_u32_e64 s[8:9], 31, v35
	v_cndmask_b32_e64 v35, v36, v35, s[10:11]
	v_cmp_eq_u32_e64 s[10:11], 63, v0
	v_lshlrev_b32_e32 v0, 2, v35
	s_or_b64 s[12:13], s[14:15], s[12:13]
	s_movk_i32 s16, 0x64
.LBB166_1:                              ; =>This Inner Loop Header: Depth=1
	s_waitcnt vmcnt(0)
	v_add3_u32 v17, v33, v17, v34
	v_add3_u32 v17, v17, v27, v29
	v_add3_u32 v17, v17, v31, v25
	v_add3_u32 v17, v17, v26, v28
	v_add3_u32 v17, v17, v30, v32
	s_nop 1
	v_mov_b32_dpp v35, v17 row_shr:1 row_mask:0xf bank_mask:0xf
	v_cndmask_b32_e64 v35, v35, 0, vcc
	v_add_u32_e32 v17, v17, v35
	s_nop 1
	v_mov_b32_dpp v35, v17 row_shr:2 row_mask:0xf bank_mask:0xf
	v_cndmask_b32_e64 v35, 0, v35, s[0:1]
	v_add_u32_e32 v17, v17, v35
	s_nop 1
	v_mov_b32_dpp v35, v17 row_shr:4 row_mask:0xf bank_mask:0xf
	v_cndmask_b32_e64 v35, 0, v35, s[2:3]
	;; [unrolled: 4-line block ×3, first 2 shown]
	v_add_u32_e32 v17, v17, v35
	s_nop 1
	v_mov_b32_dpp v35, v17 row_bcast:15 row_mask:0xf bank_mask:0xf
	v_cndmask_b32_e64 v35, v35, 0, s[6:7]
	v_add_u32_e32 v17, v17, v35
	s_nop 1
	v_mov_b32_dpp v35, v17 row_bcast:31 row_mask:0xf bank_mask:0xf
	v_cndmask_b32_e64 v35, 0, v35, s[8:9]
	v_add_u32_e32 v17, v17, v35
	s_and_saveexec_b64 s[14:15], s[10:11]
; %bb.2:                                ;   in Loop: Header=BB166_1 Depth=1
	ds_write_b32 v18, v17
; %bb.3:                                ;   in Loop: Header=BB166_1 Depth=1
	s_or_b64 exec, exec, s[14:15]
	v_add_u32_e32 v17, s20, v17
	ds_bpermute_b32 v17, v0, v17
	v_mov_b32_e32 v35, s20
	s_add_i32 s16, s16, -1
	s_cmp_lg_u32 s16, 0
	s_waitcnt lgkmcnt(0)
	v_cndmask_b32_e64 v39, v17, v35, s[12:13]
	v_add_u32_e32 v38, v39, v32
	v_add_u32_e32 v37, v38, v30
	;; [unrolled: 1-line block ×10, first 2 shown]
	; wave barrier
	s_cbranch_scc0 .LBB166_5
; %bb.4:                                ;   in Loop: Header=BB166_1 Depth=1
	v_mov_b32_e32 v33, v25
	v_mov_b32_e32 v34, v26
	;; [unrolled: 1-line block ×10, first 2 shown]
	s_branch .LBB166_1
.LBB166_5:
	v_mov_b32_e32 v0, s19
	v_add_co_u32_e32 v15, vcc, s18, v15
	v_addc_co_u32_e32 v16, vcc, v0, v16, vcc
	v_add_co_u32_e32 v13, vcc, s18, v13
	v_addc_co_u32_e32 v14, vcc, v0, v14, vcc
	;; [unrolled: 2-line block ×7, first 2 shown]
	global_store_dword v[3:4], v30, off
	v_mov_b32_e32 v3, s19
	v_add_co_u32_e32 v0, vcc, s18, v1
	v_addc_co_u32_e32 v1, vcc, v3, v2, vcc
	global_store_dword v[0:1], v28, off
	v_mov_b32_e32 v1, s19
	v_add_co_u32_e32 v0, vcc, s18, v23
	v_addc_co_u32_e32 v1, vcc, v1, v24, vcc
	;; [unrolled: 4-line block ×4, first 2 shown]
	global_store_dword v[15:16], v39, off
	global_store_dword v[13:14], v38, off
	;; [unrolled: 1-line block ×7, first 2 shown]
	s_endpgm
	.section	.rodata,"a",@progbits
	.p2align	6, 0x0
	.amdhsa_kernel _Z6kernelI14exclusive_scanILN6hipcub18BlockScanAlgorithmE0EEiLj64ELj11ELj100EEvPKT0_PS4_S4_
		.amdhsa_group_segment_fixed_size 4
		.amdhsa_private_segment_fixed_size 0
		.amdhsa_kernarg_size 280
		.amdhsa_user_sgpr_count 6
		.amdhsa_user_sgpr_private_segment_buffer 1
		.amdhsa_user_sgpr_dispatch_ptr 0
		.amdhsa_user_sgpr_queue_ptr 0
		.amdhsa_user_sgpr_kernarg_segment_ptr 1
		.amdhsa_user_sgpr_dispatch_id 0
		.amdhsa_user_sgpr_flat_scratch_init 0
		.amdhsa_user_sgpr_private_segment_size 0
		.amdhsa_uses_dynamic_stack 0
		.amdhsa_system_sgpr_private_segment_wavefront_offset 0
		.amdhsa_system_sgpr_workgroup_id_x 1
		.amdhsa_system_sgpr_workgroup_id_y 0
		.amdhsa_system_sgpr_workgroup_id_z 0
		.amdhsa_system_sgpr_workgroup_info 0
		.amdhsa_system_vgpr_workitem_id 0
		.amdhsa_next_free_vgpr 43
		.amdhsa_next_free_sgpr 21
		.amdhsa_reserve_vcc 1
		.amdhsa_reserve_flat_scratch 0
		.amdhsa_float_round_mode_32 0
		.amdhsa_float_round_mode_16_64 0
		.amdhsa_float_denorm_mode_32 3
		.amdhsa_float_denorm_mode_16_64 3
		.amdhsa_dx10_clamp 1
		.amdhsa_ieee_mode 1
		.amdhsa_fp16_overflow 0
		.amdhsa_exception_fp_ieee_invalid_op 0
		.amdhsa_exception_fp_denorm_src 0
		.amdhsa_exception_fp_ieee_div_zero 0
		.amdhsa_exception_fp_ieee_overflow 0
		.amdhsa_exception_fp_ieee_underflow 0
		.amdhsa_exception_fp_ieee_inexact 0
		.amdhsa_exception_int_div_zero 0
	.end_amdhsa_kernel
	.section	.text._Z6kernelI14exclusive_scanILN6hipcub18BlockScanAlgorithmE0EEiLj64ELj11ELj100EEvPKT0_PS4_S4_,"axG",@progbits,_Z6kernelI14exclusive_scanILN6hipcub18BlockScanAlgorithmE0EEiLj64ELj11ELj100EEvPKT0_PS4_S4_,comdat
.Lfunc_end166:
	.size	_Z6kernelI14exclusive_scanILN6hipcub18BlockScanAlgorithmE0EEiLj64ELj11ELj100EEvPKT0_PS4_S4_, .Lfunc_end166-_Z6kernelI14exclusive_scanILN6hipcub18BlockScanAlgorithmE0EEiLj64ELj11ELj100EEvPKT0_PS4_S4_
                                        ; -- End function
	.set _Z6kernelI14exclusive_scanILN6hipcub18BlockScanAlgorithmE0EEiLj64ELj11ELj100EEvPKT0_PS4_S4_.num_vgpr, 43
	.set _Z6kernelI14exclusive_scanILN6hipcub18BlockScanAlgorithmE0EEiLj64ELj11ELj100EEvPKT0_PS4_S4_.num_agpr, 0
	.set _Z6kernelI14exclusive_scanILN6hipcub18BlockScanAlgorithmE0EEiLj64ELj11ELj100EEvPKT0_PS4_S4_.numbered_sgpr, 21
	.set _Z6kernelI14exclusive_scanILN6hipcub18BlockScanAlgorithmE0EEiLj64ELj11ELj100EEvPKT0_PS4_S4_.num_named_barrier, 0
	.set _Z6kernelI14exclusive_scanILN6hipcub18BlockScanAlgorithmE0EEiLj64ELj11ELj100EEvPKT0_PS4_S4_.private_seg_size, 0
	.set _Z6kernelI14exclusive_scanILN6hipcub18BlockScanAlgorithmE0EEiLj64ELj11ELj100EEvPKT0_PS4_S4_.uses_vcc, 1
	.set _Z6kernelI14exclusive_scanILN6hipcub18BlockScanAlgorithmE0EEiLj64ELj11ELj100EEvPKT0_PS4_S4_.uses_flat_scratch, 0
	.set _Z6kernelI14exclusive_scanILN6hipcub18BlockScanAlgorithmE0EEiLj64ELj11ELj100EEvPKT0_PS4_S4_.has_dyn_sized_stack, 0
	.set _Z6kernelI14exclusive_scanILN6hipcub18BlockScanAlgorithmE0EEiLj64ELj11ELj100EEvPKT0_PS4_S4_.has_recursion, 0
	.set _Z6kernelI14exclusive_scanILN6hipcub18BlockScanAlgorithmE0EEiLj64ELj11ELj100EEvPKT0_PS4_S4_.has_indirect_call, 0
	.section	.AMDGPU.csdata,"",@progbits
; Kernel info:
; codeLenInByte = 1064
; TotalNumSgprs: 25
; NumVgprs: 43
; ScratchSize: 0
; MemoryBound: 0
; FloatMode: 240
; IeeeMode: 1
; LDSByteSize: 4 bytes/workgroup (compile time only)
; SGPRBlocks: 3
; VGPRBlocks: 10
; NumSGPRsForWavesPerEU: 25
; NumVGPRsForWavesPerEU: 43
; Occupancy: 5
; WaveLimiterHint : 0
; COMPUTE_PGM_RSRC2:SCRATCH_EN: 0
; COMPUTE_PGM_RSRC2:USER_SGPR: 6
; COMPUTE_PGM_RSRC2:TRAP_HANDLER: 0
; COMPUTE_PGM_RSRC2:TGID_X_EN: 1
; COMPUTE_PGM_RSRC2:TGID_Y_EN: 0
; COMPUTE_PGM_RSRC2:TGID_Z_EN: 0
; COMPUTE_PGM_RSRC2:TIDIG_COMP_CNT: 0
	.section	.text._Z6kernelI14exclusive_scanILN6hipcub18BlockScanAlgorithmE0EEiLj64ELj16ELj100EEvPKT0_PS4_S4_,"axG",@progbits,_Z6kernelI14exclusive_scanILN6hipcub18BlockScanAlgorithmE0EEiLj64ELj16ELj100EEvPKT0_PS4_S4_,comdat
	.protected	_Z6kernelI14exclusive_scanILN6hipcub18BlockScanAlgorithmE0EEiLj64ELj16ELj100EEvPKT0_PS4_S4_ ; -- Begin function _Z6kernelI14exclusive_scanILN6hipcub18BlockScanAlgorithmE0EEiLj64ELj16ELj100EEvPKT0_PS4_S4_
	.globl	_Z6kernelI14exclusive_scanILN6hipcub18BlockScanAlgorithmE0EEiLj64ELj16ELj100EEvPKT0_PS4_S4_
	.p2align	8
	.type	_Z6kernelI14exclusive_scanILN6hipcub18BlockScanAlgorithmE0EEiLj64ELj16ELj100EEvPKT0_PS4_S4_,@function
_Z6kernelI14exclusive_scanILN6hipcub18BlockScanAlgorithmE0EEiLj64ELj16ELj100EEvPKT0_PS4_S4_: ; @_Z6kernelI14exclusive_scanILN6hipcub18BlockScanAlgorithmE0EEiLj64ELj16ELj100EEvPKT0_PS4_S4_
; %bb.0:
	s_load_dword s0, s[4:5], 0x24
	s_load_dwordx4 s[16:19], s[4:5], 0x0
	s_load_dword s20, s[4:5], 0x10
	v_mov_b32_e32 v22, 0
	v_cmp_eq_u32_e64 s[10:11], 63, v0
	s_waitcnt lgkmcnt(0)
	s_and_b32 s0, s0, 0xffff
	s_mul_i32 s6, s6, s0
	v_add_lshl_u32 v21, s6, v0, 4
	v_lshlrev_b64 v[20:21], 2, v[21:22]
	v_mov_b32_e32 v1, s17
	v_add_co_u32_e32 v16, vcc, s16, v20
	v_addc_co_u32_e32 v17, vcc, v1, v21, vcc
	v_mbcnt_lo_u32_b32 v1, -1, 0
	v_mbcnt_hi_u32_b32 v1, -1, v1
	v_and_b32_e32 v2, 15, v1
	v_cmp_eq_u32_e32 vcc, 0, v2
	v_cmp_lt_u32_e64 s[0:1], 1, v2
	v_cmp_lt_u32_e64 s[2:3], 3, v2
	;; [unrolled: 1-line block ×3, first 2 shown]
	v_and_b32_e32 v2, 16, v1
	v_cmp_eq_u32_e64 s[6:7], 0, v2
	v_subrev_co_u32_e64 v2, s[12:13], 1, v1
	v_and_b32_e32 v3, 64, v1
	v_cmp_lt_i32_e64 s[14:15], v2, v3
	v_cmp_lt_u32_e64 s[8:9], 31, v1
	v_cndmask_b32_e64 v1, v2, v1, s[14:15]
	global_load_dwordx4 v[8:11], v[16:17], off
	global_load_dwordx4 v[4:7], v[16:17], off offset:16
	v_lshlrev_b32_e32 v23, 2, v1
	v_cmp_eq_u32_e64 s[14:15], 0, v0
	global_load_dwordx4 v[12:15], v[16:17], off offset:32
	global_load_dwordx4 v[0:3], v[16:17], off offset:48
	s_or_b64 s[12:13], s[14:15], s[12:13]
	s_movk_i32 s16, 0x64
.LBB167_1:                              ; =>This Inner Loop Header: Depth=1
	s_waitcnt vmcnt(0)
	v_add_u32_e32 v3, v2, v3
	v_add3_u32 v3, v3, v1, v0
	v_add3_u32 v3, v3, v15, v14
	;; [unrolled: 1-line block ×7, first 2 shown]
	s_nop 1
	v_mov_b32_dpp v16, v3 row_shr:1 row_mask:0xf bank_mask:0xf
	v_cndmask_b32_e64 v16, v16, 0, vcc
	v_add_u32_e32 v3, v3, v16
	s_nop 1
	v_mov_b32_dpp v16, v3 row_shr:2 row_mask:0xf bank_mask:0xf
	v_cndmask_b32_e64 v16, 0, v16, s[0:1]
	v_add_u32_e32 v3, v3, v16
	s_nop 1
	v_mov_b32_dpp v16, v3 row_shr:4 row_mask:0xf bank_mask:0xf
	v_cndmask_b32_e64 v16, 0, v16, s[2:3]
	;; [unrolled: 4-line block ×3, first 2 shown]
	v_add_u32_e32 v3, v3, v16
	s_nop 1
	v_mov_b32_dpp v16, v3 row_bcast:15 row_mask:0xf bank_mask:0xf
	v_cndmask_b32_e64 v16, v16, 0, s[6:7]
	v_add_u32_e32 v3, v3, v16
	s_nop 1
	v_mov_b32_dpp v16, v3 row_bcast:31 row_mask:0xf bank_mask:0xf
	v_cndmask_b32_e64 v16, 0, v16, s[8:9]
	v_add_u32_e32 v3, v3, v16
	s_and_saveexec_b64 s[14:15], s[10:11]
; %bb.2:                                ;   in Loop: Header=BB167_1 Depth=1
	ds_write_b32 v22, v3
; %bb.3:                                ;   in Loop: Header=BB167_1 Depth=1
	s_or_b64 exec, exec, s[14:15]
	v_add_u32_e32 v3, s20, v3
	ds_bpermute_b32 v3, v23, v3
	v_mov_b32_e32 v16, s20
	s_add_i32 s16, s16, -1
	s_cmp_lg_u32 s16, 0
	s_waitcnt lgkmcnt(0)
	v_cndmask_b32_e64 v16, v3, v16, s[12:13]
	v_add_u32_e32 v17, v16, v8
	v_add_u32_e32 v18, v17, v9
	;; [unrolled: 1-line block ×15, first 2 shown]
	; wave barrier
	s_cbranch_scc0 .LBB167_5
; %bb.4:                                ;   in Loop: Header=BB167_1 Depth=1
	v_mov_b32_e32 v2, v14
	v_mov_b32_e32 v1, v13
	;; [unrolled: 1-line block ×15, first 2 shown]
	s_branch .LBB167_1
.LBB167_5:
	v_mov_b32_e32 v1, s19
	v_add_co_u32_e32 v0, vcc, s18, v20
	v_addc_co_u32_e32 v1, vcc, v1, v21, vcc
	v_mov_b32_e32 v15, v3
	global_store_dwordx4 v[0:1], v[16:19], off
	global_store_dwordx4 v[0:1], v[8:11], off offset:16
	global_store_dwordx4 v[0:1], v[4:7], off offset:32
	;; [unrolled: 1-line block ×3, first 2 shown]
	s_endpgm
	.section	.rodata,"a",@progbits
	.p2align	6, 0x0
	.amdhsa_kernel _Z6kernelI14exclusive_scanILN6hipcub18BlockScanAlgorithmE0EEiLj64ELj16ELj100EEvPKT0_PS4_S4_
		.amdhsa_group_segment_fixed_size 4
		.amdhsa_private_segment_fixed_size 0
		.amdhsa_kernarg_size 280
		.amdhsa_user_sgpr_count 6
		.amdhsa_user_sgpr_private_segment_buffer 1
		.amdhsa_user_sgpr_dispatch_ptr 0
		.amdhsa_user_sgpr_queue_ptr 0
		.amdhsa_user_sgpr_kernarg_segment_ptr 1
		.amdhsa_user_sgpr_dispatch_id 0
		.amdhsa_user_sgpr_flat_scratch_init 0
		.amdhsa_user_sgpr_private_segment_size 0
		.amdhsa_uses_dynamic_stack 0
		.amdhsa_system_sgpr_private_segment_wavefront_offset 0
		.amdhsa_system_sgpr_workgroup_id_x 1
		.amdhsa_system_sgpr_workgroup_id_y 0
		.amdhsa_system_sgpr_workgroup_id_z 0
		.amdhsa_system_sgpr_workgroup_info 0
		.amdhsa_system_vgpr_workitem_id 0
		.amdhsa_next_free_vgpr 24
		.amdhsa_next_free_sgpr 21
		.amdhsa_reserve_vcc 1
		.amdhsa_reserve_flat_scratch 0
		.amdhsa_float_round_mode_32 0
		.amdhsa_float_round_mode_16_64 0
		.amdhsa_float_denorm_mode_32 3
		.amdhsa_float_denorm_mode_16_64 3
		.amdhsa_dx10_clamp 1
		.amdhsa_ieee_mode 1
		.amdhsa_fp16_overflow 0
		.amdhsa_exception_fp_ieee_invalid_op 0
		.amdhsa_exception_fp_denorm_src 0
		.amdhsa_exception_fp_ieee_div_zero 0
		.amdhsa_exception_fp_ieee_overflow 0
		.amdhsa_exception_fp_ieee_underflow 0
		.amdhsa_exception_fp_ieee_inexact 0
		.amdhsa_exception_int_div_zero 0
	.end_amdhsa_kernel
	.section	.text._Z6kernelI14exclusive_scanILN6hipcub18BlockScanAlgorithmE0EEiLj64ELj16ELj100EEvPKT0_PS4_S4_,"axG",@progbits,_Z6kernelI14exclusive_scanILN6hipcub18BlockScanAlgorithmE0EEiLj64ELj16ELj100EEvPKT0_PS4_S4_,comdat
.Lfunc_end167:
	.size	_Z6kernelI14exclusive_scanILN6hipcub18BlockScanAlgorithmE0EEiLj64ELj16ELj100EEvPKT0_PS4_S4_, .Lfunc_end167-_Z6kernelI14exclusive_scanILN6hipcub18BlockScanAlgorithmE0EEiLj64ELj16ELj100EEvPKT0_PS4_S4_
                                        ; -- End function
	.set _Z6kernelI14exclusive_scanILN6hipcub18BlockScanAlgorithmE0EEiLj64ELj16ELj100EEvPKT0_PS4_S4_.num_vgpr, 24
	.set _Z6kernelI14exclusive_scanILN6hipcub18BlockScanAlgorithmE0EEiLj64ELj16ELj100EEvPKT0_PS4_S4_.num_agpr, 0
	.set _Z6kernelI14exclusive_scanILN6hipcub18BlockScanAlgorithmE0EEiLj64ELj16ELj100EEvPKT0_PS4_S4_.numbered_sgpr, 21
	.set _Z6kernelI14exclusive_scanILN6hipcub18BlockScanAlgorithmE0EEiLj64ELj16ELj100EEvPKT0_PS4_S4_.num_named_barrier, 0
	.set _Z6kernelI14exclusive_scanILN6hipcub18BlockScanAlgorithmE0EEiLj64ELj16ELj100EEvPKT0_PS4_S4_.private_seg_size, 0
	.set _Z6kernelI14exclusive_scanILN6hipcub18BlockScanAlgorithmE0EEiLj64ELj16ELj100EEvPKT0_PS4_S4_.uses_vcc, 1
	.set _Z6kernelI14exclusive_scanILN6hipcub18BlockScanAlgorithmE0EEiLj64ELj16ELj100EEvPKT0_PS4_S4_.uses_flat_scratch, 0
	.set _Z6kernelI14exclusive_scanILN6hipcub18BlockScanAlgorithmE0EEiLj64ELj16ELj100EEvPKT0_PS4_S4_.has_dyn_sized_stack, 0
	.set _Z6kernelI14exclusive_scanILN6hipcub18BlockScanAlgorithmE0EEiLj64ELj16ELj100EEvPKT0_PS4_S4_.has_recursion, 0
	.set _Z6kernelI14exclusive_scanILN6hipcub18BlockScanAlgorithmE0EEiLj64ELj16ELj100EEvPKT0_PS4_S4_.has_indirect_call, 0
	.section	.AMDGPU.csdata,"",@progbits
; Kernel info:
; codeLenInByte = 668
; TotalNumSgprs: 25
; NumVgprs: 24
; ScratchSize: 0
; MemoryBound: 0
; FloatMode: 240
; IeeeMode: 1
; LDSByteSize: 4 bytes/workgroup (compile time only)
; SGPRBlocks: 3
; VGPRBlocks: 5
; NumSGPRsForWavesPerEU: 25
; NumVGPRsForWavesPerEU: 24
; Occupancy: 10
; WaveLimiterHint : 0
; COMPUTE_PGM_RSRC2:SCRATCH_EN: 0
; COMPUTE_PGM_RSRC2:USER_SGPR: 6
; COMPUTE_PGM_RSRC2:TRAP_HANDLER: 0
; COMPUTE_PGM_RSRC2:TGID_X_EN: 1
; COMPUTE_PGM_RSRC2:TGID_Y_EN: 0
; COMPUTE_PGM_RSRC2:TGID_Z_EN: 0
; COMPUTE_PGM_RSRC2:TIDIG_COMP_CNT: 0
	.section	.text._Z6kernelI14exclusive_scanILN6hipcub18BlockScanAlgorithmE0EEfLj64ELj1ELj100EEvPKT0_PS4_S4_,"axG",@progbits,_Z6kernelI14exclusive_scanILN6hipcub18BlockScanAlgorithmE0EEfLj64ELj1ELj100EEvPKT0_PS4_S4_,comdat
	.protected	_Z6kernelI14exclusive_scanILN6hipcub18BlockScanAlgorithmE0EEfLj64ELj1ELj100EEvPKT0_PS4_S4_ ; -- Begin function _Z6kernelI14exclusive_scanILN6hipcub18BlockScanAlgorithmE0EEfLj64ELj1ELj100EEvPKT0_PS4_S4_
	.globl	_Z6kernelI14exclusive_scanILN6hipcub18BlockScanAlgorithmE0EEfLj64ELj1ELj100EEvPKT0_PS4_S4_
	.p2align	8
	.type	_Z6kernelI14exclusive_scanILN6hipcub18BlockScanAlgorithmE0EEfLj64ELj1ELj100EEvPKT0_PS4_S4_,@function
_Z6kernelI14exclusive_scanILN6hipcub18BlockScanAlgorithmE0EEfLj64ELj1ELj100EEvPKT0_PS4_S4_: ; @_Z6kernelI14exclusive_scanILN6hipcub18BlockScanAlgorithmE0EEfLj64ELj1ELj100EEvPKT0_PS4_S4_
; %bb.0:
	s_load_dword s0, s[4:5], 0x24
	s_load_dwordx4 s[16:19], s[4:5], 0x0
	s_load_dword s20, s[4:5], 0x10
	v_mov_b32_e32 v3, 0
	v_cmp_eq_u32_e64 s[10:11], 63, v0
	s_waitcnt lgkmcnt(0)
	s_and_b32 s0, s0, 0xffff
	s_mul_i32 s6, s6, s0
	v_add_u32_e32 v2, s6, v0
	v_lshlrev_b64 v[1:2], 2, v[2:3]
	v_mov_b32_e32 v5, s17
	v_add_co_u32_e32 v4, vcc, s16, v1
	v_addc_co_u32_e32 v5, vcc, v5, v2, vcc
	global_load_dword v5, v[4:5], off
	v_mbcnt_lo_u32_b32 v4, -1, 0
	v_mbcnt_hi_u32_b32 v4, -1, v4
	v_and_b32_e32 v6, 15, v4
	v_cmp_eq_u32_e32 vcc, 0, v6
	v_cmp_lt_u32_e64 s[0:1], 1, v6
	v_cmp_lt_u32_e64 s[2:3], 3, v6
	;; [unrolled: 1-line block ×3, first 2 shown]
	v_and_b32_e32 v6, 16, v4
	v_cmp_eq_u32_e64 s[6:7], 0, v6
	v_subrev_co_u32_e64 v0, s[12:13], 1, v4
	v_and_b32_e32 v6, 64, v4
	v_cmp_lt_i32_e64 s[14:15], v0, v6
	v_cndmask_b32_e64 v0, v0, v4, s[14:15]
	v_cmp_lt_u32_e64 s[8:9], 31, v4
	v_lshlrev_b32_e32 v0, 2, v0
	s_movk_i32 s16, 0x64
	v_mov_b32_e32 v4, s20
	s_branch .LBB168_2
.LBB168_1:                              ;   in Loop: Header=BB168_2 Depth=1
	s_or_b64 exec, exec, s[14:15]
	v_add_f32_e32 v5, s20, v5
	ds_bpermute_b32 v5, v0, v5
	s_add_i32 s16, s16, -1
	s_cmp_lg_u32 s16, 0
	s_waitcnt lgkmcnt(0)
	; wave barrier
	v_cndmask_b32_e64 v5, v5, v4, s[12:13]
	s_cbranch_scc0 .LBB168_4
.LBB168_2:                              ; =>This Inner Loop Header: Depth=1
	s_waitcnt vmcnt(0)
	v_mov_b32_dpp v6, v5 row_shr:1 row_mask:0xf bank_mask:0xf
	v_add_f32_e32 v6, v5, v6
	v_cndmask_b32_e32 v5, v6, v5, vcc
	s_nop 1
	v_mov_b32_dpp v6, v5 row_shr:2 row_mask:0xf bank_mask:0xf
	v_add_f32_e32 v6, v5, v6
	v_cndmask_b32_e64 v5, v5, v6, s[0:1]
	s_nop 1
	v_mov_b32_dpp v6, v5 row_shr:4 row_mask:0xf bank_mask:0xf
	v_add_f32_e32 v6, v5, v6
	v_cndmask_b32_e64 v5, v5, v6, s[2:3]
	;; [unrolled: 4-line block ×3, first 2 shown]
	s_nop 1
	v_mov_b32_dpp v6, v5 row_bcast:15 row_mask:0xf bank_mask:0xf
	v_add_f32_e32 v6, v5, v6
	v_cndmask_b32_e64 v5, v6, v5, s[6:7]
	s_nop 1
	v_mov_b32_dpp v6, v5 row_bcast:31 row_mask:0xf bank_mask:0xf
	v_add_f32_e32 v6, v5, v6
	v_cndmask_b32_e64 v5, v5, v6, s[8:9]
	s_and_saveexec_b64 s[14:15], s[10:11]
	s_cbranch_execz .LBB168_1
; %bb.3:                                ;   in Loop: Header=BB168_2 Depth=1
	ds_write_b32 v3, v5
	s_branch .LBB168_1
.LBB168_4:
	v_mov_b32_e32 v3, s19
	v_add_co_u32_e32 v0, vcc, s18, v1
	v_addc_co_u32_e32 v1, vcc, v3, v2, vcc
	global_store_dword v[0:1], v5, off
	s_endpgm
	.section	.rodata,"a",@progbits
	.p2align	6, 0x0
	.amdhsa_kernel _Z6kernelI14exclusive_scanILN6hipcub18BlockScanAlgorithmE0EEfLj64ELj1ELj100EEvPKT0_PS4_S4_
		.amdhsa_group_segment_fixed_size 4
		.amdhsa_private_segment_fixed_size 0
		.amdhsa_kernarg_size 280
		.amdhsa_user_sgpr_count 6
		.amdhsa_user_sgpr_private_segment_buffer 1
		.amdhsa_user_sgpr_dispatch_ptr 0
		.amdhsa_user_sgpr_queue_ptr 0
		.amdhsa_user_sgpr_kernarg_segment_ptr 1
		.amdhsa_user_sgpr_dispatch_id 0
		.amdhsa_user_sgpr_flat_scratch_init 0
		.amdhsa_user_sgpr_private_segment_size 0
		.amdhsa_uses_dynamic_stack 0
		.amdhsa_system_sgpr_private_segment_wavefront_offset 0
		.amdhsa_system_sgpr_workgroup_id_x 1
		.amdhsa_system_sgpr_workgroup_id_y 0
		.amdhsa_system_sgpr_workgroup_id_z 0
		.amdhsa_system_sgpr_workgroup_info 0
		.amdhsa_system_vgpr_workitem_id 0
		.amdhsa_next_free_vgpr 7
		.amdhsa_next_free_sgpr 21
		.amdhsa_reserve_vcc 1
		.amdhsa_reserve_flat_scratch 0
		.amdhsa_float_round_mode_32 0
		.amdhsa_float_round_mode_16_64 0
		.amdhsa_float_denorm_mode_32 3
		.amdhsa_float_denorm_mode_16_64 3
		.amdhsa_dx10_clamp 1
		.amdhsa_ieee_mode 1
		.amdhsa_fp16_overflow 0
		.amdhsa_exception_fp_ieee_invalid_op 0
		.amdhsa_exception_fp_denorm_src 0
		.amdhsa_exception_fp_ieee_div_zero 0
		.amdhsa_exception_fp_ieee_overflow 0
		.amdhsa_exception_fp_ieee_underflow 0
		.amdhsa_exception_fp_ieee_inexact 0
		.amdhsa_exception_int_div_zero 0
	.end_amdhsa_kernel
	.section	.text._Z6kernelI14exclusive_scanILN6hipcub18BlockScanAlgorithmE0EEfLj64ELj1ELj100EEvPKT0_PS4_S4_,"axG",@progbits,_Z6kernelI14exclusive_scanILN6hipcub18BlockScanAlgorithmE0EEfLj64ELj1ELj100EEvPKT0_PS4_S4_,comdat
.Lfunc_end168:
	.size	_Z6kernelI14exclusive_scanILN6hipcub18BlockScanAlgorithmE0EEfLj64ELj1ELj100EEvPKT0_PS4_S4_, .Lfunc_end168-_Z6kernelI14exclusive_scanILN6hipcub18BlockScanAlgorithmE0EEfLj64ELj1ELj100EEvPKT0_PS4_S4_
                                        ; -- End function
	.set _Z6kernelI14exclusive_scanILN6hipcub18BlockScanAlgorithmE0EEfLj64ELj1ELj100EEvPKT0_PS4_S4_.num_vgpr, 7
	.set _Z6kernelI14exclusive_scanILN6hipcub18BlockScanAlgorithmE0EEfLj64ELj1ELj100EEvPKT0_PS4_S4_.num_agpr, 0
	.set _Z6kernelI14exclusive_scanILN6hipcub18BlockScanAlgorithmE0EEfLj64ELj1ELj100EEvPKT0_PS4_S4_.numbered_sgpr, 21
	.set _Z6kernelI14exclusive_scanILN6hipcub18BlockScanAlgorithmE0EEfLj64ELj1ELj100EEvPKT0_PS4_S4_.num_named_barrier, 0
	.set _Z6kernelI14exclusive_scanILN6hipcub18BlockScanAlgorithmE0EEfLj64ELj1ELj100EEvPKT0_PS4_S4_.private_seg_size, 0
	.set _Z6kernelI14exclusive_scanILN6hipcub18BlockScanAlgorithmE0EEfLj64ELj1ELj100EEvPKT0_PS4_S4_.uses_vcc, 1
	.set _Z6kernelI14exclusive_scanILN6hipcub18BlockScanAlgorithmE0EEfLj64ELj1ELj100EEvPKT0_PS4_S4_.uses_flat_scratch, 0
	.set _Z6kernelI14exclusive_scanILN6hipcub18BlockScanAlgorithmE0EEfLj64ELj1ELj100EEvPKT0_PS4_S4_.has_dyn_sized_stack, 0
	.set _Z6kernelI14exclusive_scanILN6hipcub18BlockScanAlgorithmE0EEfLj64ELj1ELj100EEvPKT0_PS4_S4_.has_recursion, 0
	.set _Z6kernelI14exclusive_scanILN6hipcub18BlockScanAlgorithmE0EEfLj64ELj1ELj100EEvPKT0_PS4_S4_.has_indirect_call, 0
	.section	.AMDGPU.csdata,"",@progbits
; Kernel info:
; codeLenInByte = 420
; TotalNumSgprs: 25
; NumVgprs: 7
; ScratchSize: 0
; MemoryBound: 0
; FloatMode: 240
; IeeeMode: 1
; LDSByteSize: 4 bytes/workgroup (compile time only)
; SGPRBlocks: 3
; VGPRBlocks: 1
; NumSGPRsForWavesPerEU: 25
; NumVGPRsForWavesPerEU: 7
; Occupancy: 10
; WaveLimiterHint : 0
; COMPUTE_PGM_RSRC2:SCRATCH_EN: 0
; COMPUTE_PGM_RSRC2:USER_SGPR: 6
; COMPUTE_PGM_RSRC2:TRAP_HANDLER: 0
; COMPUTE_PGM_RSRC2:TGID_X_EN: 1
; COMPUTE_PGM_RSRC2:TGID_Y_EN: 0
; COMPUTE_PGM_RSRC2:TGID_Z_EN: 0
; COMPUTE_PGM_RSRC2:TIDIG_COMP_CNT: 0
	.section	.text._Z6kernelI14exclusive_scanILN6hipcub18BlockScanAlgorithmE0EEfLj64ELj3ELj100EEvPKT0_PS4_S4_,"axG",@progbits,_Z6kernelI14exclusive_scanILN6hipcub18BlockScanAlgorithmE0EEfLj64ELj3ELj100EEvPKT0_PS4_S4_,comdat
	.protected	_Z6kernelI14exclusive_scanILN6hipcub18BlockScanAlgorithmE0EEfLj64ELj3ELj100EEvPKT0_PS4_S4_ ; -- Begin function _Z6kernelI14exclusive_scanILN6hipcub18BlockScanAlgorithmE0EEfLj64ELj3ELj100EEvPKT0_PS4_S4_
	.globl	_Z6kernelI14exclusive_scanILN6hipcub18BlockScanAlgorithmE0EEfLj64ELj3ELj100EEvPKT0_PS4_S4_
	.p2align	8
	.type	_Z6kernelI14exclusive_scanILN6hipcub18BlockScanAlgorithmE0EEfLj64ELj3ELj100EEvPKT0_PS4_S4_,@function
_Z6kernelI14exclusive_scanILN6hipcub18BlockScanAlgorithmE0EEfLj64ELj3ELj100EEvPKT0_PS4_S4_: ; @_Z6kernelI14exclusive_scanILN6hipcub18BlockScanAlgorithmE0EEfLj64ELj3ELj100EEvPKT0_PS4_S4_
; %bb.0:
	s_load_dword s0, s[4:5], 0x24
	s_load_dwordx4 s[16:19], s[4:5], 0x0
	s_load_dword s20, s[4:5], 0x10
	v_mov_b32_e32 v4, 0
	v_mov_b32_e32 v6, v4
	s_waitcnt lgkmcnt(0)
	s_and_b32 s0, s0, 0xffff
	s_mul_i32 s6, s6, s0
	v_add_u32_e32 v1, s6, v0
	v_lshl_add_u32 v3, v1, 1, v1
	v_lshlrev_b64 v[1:2], 2, v[3:4]
	v_mov_b32_e32 v5, s17
	v_add_co_u32_e32 v12, vcc, s16, v1
	v_addc_co_u32_e32 v13, vcc, v5, v2, vcc
	v_add_u32_e32 v5, 1, v3
	v_lshlrev_b64 v[5:6], 2, v[5:6]
	v_mov_b32_e32 v7, s17
	v_add_co_u32_e32 v14, vcc, s16, v5
	v_add_u32_e32 v3, 2, v3
	v_addc_co_u32_e32 v15, vcc, v7, v6, vcc
	v_lshlrev_b64 v[7:8], 2, v[3:4]
	v_mov_b32_e32 v3, s17
	v_add_co_u32_e32 v16, vcc, s16, v7
	v_addc_co_u32_e32 v17, vcc, v3, v8, vcc
	global_load_dword v3, v[12:13], off
	global_load_dword v9, v[14:15], off
	global_load_dword v11, v[16:17], off
	v_mbcnt_lo_u32_b32 v10, -1, 0
	v_mbcnt_hi_u32_b32 v10, -1, v10
	v_and_b32_e32 v12, 15, v10
	v_cmp_eq_u32_e32 vcc, 0, v12
	v_cmp_lt_u32_e64 s[0:1], 1, v12
	v_cmp_lt_u32_e64 s[2:3], 3, v12
	;; [unrolled: 1-line block ×3, first 2 shown]
	v_and_b32_e32 v12, 16, v10
	v_cmp_eq_u32_e64 s[6:7], 0, v12
	v_subrev_co_u32_e64 v12, s[12:13], 1, v10
	v_and_b32_e32 v13, 64, v10
	v_cmp_lt_i32_e64 s[14:15], v12, v13
	v_cmp_lt_u32_e64 s[8:9], 31, v10
	v_cndmask_b32_e64 v10, v12, v10, s[14:15]
	v_cmp_eq_u32_e64 s[14:15], 0, v0
	v_cmp_eq_u32_e64 s[10:11], 63, v0
	v_lshlrev_b32_e32 v10, 2, v10
	s_or_b64 s[12:13], s[14:15], s[12:13]
	s_movk_i32 s16, 0x64
.LBB169_1:                              ; =>This Inner Loop Header: Depth=1
	s_waitcnt vmcnt(1)
	v_add_f32_e32 v0, v3, v9
	s_waitcnt vmcnt(0)
	v_add_f32_e32 v0, v11, v0
	s_nop 1
	v_mov_b32_dpp v11, v0 row_shr:1 row_mask:0xf bank_mask:0xf
	v_add_f32_e32 v11, v0, v11
	v_cndmask_b32_e32 v0, v11, v0, vcc
	s_nop 1
	v_mov_b32_dpp v11, v0 row_shr:2 row_mask:0xf bank_mask:0xf
	v_add_f32_e32 v11, v0, v11
	v_cndmask_b32_e64 v0, v0, v11, s[0:1]
	s_nop 1
	v_mov_b32_dpp v11, v0 row_shr:4 row_mask:0xf bank_mask:0xf
	v_add_f32_e32 v11, v0, v11
	v_cndmask_b32_e64 v0, v0, v11, s[2:3]
	;; [unrolled: 4-line block ×3, first 2 shown]
	s_nop 1
	v_mov_b32_dpp v11, v0 row_bcast:15 row_mask:0xf bank_mask:0xf
	v_add_f32_e32 v11, v0, v11
	v_cndmask_b32_e64 v0, v11, v0, s[6:7]
	s_nop 1
	v_mov_b32_dpp v11, v0 row_bcast:31 row_mask:0xf bank_mask:0xf
	v_add_f32_e32 v11, v0, v11
	v_cndmask_b32_e64 v0, v0, v11, s[8:9]
	s_and_saveexec_b64 s[14:15], s[10:11]
; %bb.2:                                ;   in Loop: Header=BB169_1 Depth=1
	ds_write_b32 v4, v0
; %bb.3:                                ;   in Loop: Header=BB169_1 Depth=1
	s_or_b64 exec, exec, s[14:15]
	v_add_f32_e32 v0, s20, v0
	ds_bpermute_b32 v0, v10, v0
	v_mov_b32_e32 v11, s20
	s_add_i32 s16, s16, -1
	s_cmp_lg_u32 s16, 0
	s_waitcnt lgkmcnt(0)
	v_cndmask_b32_e64 v12, v0, v11, s[12:13]
	v_add_f32_e32 v0, v3, v12
	v_add_f32_e32 v11, v9, v0
	; wave barrier
	s_cbranch_scc0 .LBB169_5
; %bb.4:                                ;   in Loop: Header=BB169_1 Depth=1
	v_mov_b32_e32 v3, v12
	v_mov_b32_e32 v9, v0
	s_branch .LBB169_1
.LBB169_5:
	v_mov_b32_e32 v3, s19
	v_add_co_u32_e32 v1, vcc, s18, v1
	v_addc_co_u32_e32 v2, vcc, v3, v2, vcc
	global_store_dword v[1:2], v12, off
	v_mov_b32_e32 v2, s19
	v_add_co_u32_e32 v1, vcc, s18, v5
	v_addc_co_u32_e32 v2, vcc, v2, v6, vcc
	global_store_dword v[1:2], v0, off
	;; [unrolled: 4-line block ×3, first 2 shown]
	s_endpgm
	.section	.rodata,"a",@progbits
	.p2align	6, 0x0
	.amdhsa_kernel _Z6kernelI14exclusive_scanILN6hipcub18BlockScanAlgorithmE0EEfLj64ELj3ELj100EEvPKT0_PS4_S4_
		.amdhsa_group_segment_fixed_size 4
		.amdhsa_private_segment_fixed_size 0
		.amdhsa_kernarg_size 280
		.amdhsa_user_sgpr_count 6
		.amdhsa_user_sgpr_private_segment_buffer 1
		.amdhsa_user_sgpr_dispatch_ptr 0
		.amdhsa_user_sgpr_queue_ptr 0
		.amdhsa_user_sgpr_kernarg_segment_ptr 1
		.amdhsa_user_sgpr_dispatch_id 0
		.amdhsa_user_sgpr_flat_scratch_init 0
		.amdhsa_user_sgpr_private_segment_size 0
		.amdhsa_uses_dynamic_stack 0
		.amdhsa_system_sgpr_private_segment_wavefront_offset 0
		.amdhsa_system_sgpr_workgroup_id_x 1
		.amdhsa_system_sgpr_workgroup_id_y 0
		.amdhsa_system_sgpr_workgroup_id_z 0
		.amdhsa_system_sgpr_workgroup_info 0
		.amdhsa_system_vgpr_workitem_id 0
		.amdhsa_next_free_vgpr 18
		.amdhsa_next_free_sgpr 21
		.amdhsa_reserve_vcc 1
		.amdhsa_reserve_flat_scratch 0
		.amdhsa_float_round_mode_32 0
		.amdhsa_float_round_mode_16_64 0
		.amdhsa_float_denorm_mode_32 3
		.amdhsa_float_denorm_mode_16_64 3
		.amdhsa_dx10_clamp 1
		.amdhsa_ieee_mode 1
		.amdhsa_fp16_overflow 0
		.amdhsa_exception_fp_ieee_invalid_op 0
		.amdhsa_exception_fp_denorm_src 0
		.amdhsa_exception_fp_ieee_div_zero 0
		.amdhsa_exception_fp_ieee_overflow 0
		.amdhsa_exception_fp_ieee_underflow 0
		.amdhsa_exception_fp_ieee_inexact 0
		.amdhsa_exception_int_div_zero 0
	.end_amdhsa_kernel
	.section	.text._Z6kernelI14exclusive_scanILN6hipcub18BlockScanAlgorithmE0EEfLj64ELj3ELj100EEvPKT0_PS4_S4_,"axG",@progbits,_Z6kernelI14exclusive_scanILN6hipcub18BlockScanAlgorithmE0EEfLj64ELj3ELj100EEvPKT0_PS4_S4_,comdat
.Lfunc_end169:
	.size	_Z6kernelI14exclusive_scanILN6hipcub18BlockScanAlgorithmE0EEfLj64ELj3ELj100EEvPKT0_PS4_S4_, .Lfunc_end169-_Z6kernelI14exclusive_scanILN6hipcub18BlockScanAlgorithmE0EEfLj64ELj3ELj100EEvPKT0_PS4_S4_
                                        ; -- End function
	.set _Z6kernelI14exclusive_scanILN6hipcub18BlockScanAlgorithmE0EEfLj64ELj3ELj100EEvPKT0_PS4_S4_.num_vgpr, 18
	.set _Z6kernelI14exclusive_scanILN6hipcub18BlockScanAlgorithmE0EEfLj64ELj3ELj100EEvPKT0_PS4_S4_.num_agpr, 0
	.set _Z6kernelI14exclusive_scanILN6hipcub18BlockScanAlgorithmE0EEfLj64ELj3ELj100EEvPKT0_PS4_S4_.numbered_sgpr, 21
	.set _Z6kernelI14exclusive_scanILN6hipcub18BlockScanAlgorithmE0EEfLj64ELj3ELj100EEvPKT0_PS4_S4_.num_named_barrier, 0
	.set _Z6kernelI14exclusive_scanILN6hipcub18BlockScanAlgorithmE0EEfLj64ELj3ELj100EEvPKT0_PS4_S4_.private_seg_size, 0
	.set _Z6kernelI14exclusive_scanILN6hipcub18BlockScanAlgorithmE0EEfLj64ELj3ELj100EEvPKT0_PS4_S4_.uses_vcc, 1
	.set _Z6kernelI14exclusive_scanILN6hipcub18BlockScanAlgorithmE0EEfLj64ELj3ELj100EEvPKT0_PS4_S4_.uses_flat_scratch, 0
	.set _Z6kernelI14exclusive_scanILN6hipcub18BlockScanAlgorithmE0EEfLj64ELj3ELj100EEvPKT0_PS4_S4_.has_dyn_sized_stack, 0
	.set _Z6kernelI14exclusive_scanILN6hipcub18BlockScanAlgorithmE0EEfLj64ELj3ELj100EEvPKT0_PS4_S4_.has_recursion, 0
	.set _Z6kernelI14exclusive_scanILN6hipcub18BlockScanAlgorithmE0EEfLj64ELj3ELj100EEvPKT0_PS4_S4_.has_indirect_call, 0
	.section	.AMDGPU.csdata,"",@progbits
; Kernel info:
; codeLenInByte = 572
; TotalNumSgprs: 25
; NumVgprs: 18
; ScratchSize: 0
; MemoryBound: 0
; FloatMode: 240
; IeeeMode: 1
; LDSByteSize: 4 bytes/workgroup (compile time only)
; SGPRBlocks: 3
; VGPRBlocks: 4
; NumSGPRsForWavesPerEU: 25
; NumVGPRsForWavesPerEU: 18
; Occupancy: 10
; WaveLimiterHint : 0
; COMPUTE_PGM_RSRC2:SCRATCH_EN: 0
; COMPUTE_PGM_RSRC2:USER_SGPR: 6
; COMPUTE_PGM_RSRC2:TRAP_HANDLER: 0
; COMPUTE_PGM_RSRC2:TGID_X_EN: 1
; COMPUTE_PGM_RSRC2:TGID_Y_EN: 0
; COMPUTE_PGM_RSRC2:TGID_Z_EN: 0
; COMPUTE_PGM_RSRC2:TIDIG_COMP_CNT: 0
	.section	.text._Z6kernelI14exclusive_scanILN6hipcub18BlockScanAlgorithmE0EEfLj64ELj4ELj100EEvPKT0_PS4_S4_,"axG",@progbits,_Z6kernelI14exclusive_scanILN6hipcub18BlockScanAlgorithmE0EEfLj64ELj4ELj100EEvPKT0_PS4_S4_,comdat
	.protected	_Z6kernelI14exclusive_scanILN6hipcub18BlockScanAlgorithmE0EEfLj64ELj4ELj100EEvPKT0_PS4_S4_ ; -- Begin function _Z6kernelI14exclusive_scanILN6hipcub18BlockScanAlgorithmE0EEfLj64ELj4ELj100EEvPKT0_PS4_S4_
	.globl	_Z6kernelI14exclusive_scanILN6hipcub18BlockScanAlgorithmE0EEfLj64ELj4ELj100EEvPKT0_PS4_S4_
	.p2align	8
	.type	_Z6kernelI14exclusive_scanILN6hipcub18BlockScanAlgorithmE0EEfLj64ELj4ELj100EEvPKT0_PS4_S4_,@function
_Z6kernelI14exclusive_scanILN6hipcub18BlockScanAlgorithmE0EEfLj64ELj4ELj100EEvPKT0_PS4_S4_: ; @_Z6kernelI14exclusive_scanILN6hipcub18BlockScanAlgorithmE0EEfLj64ELj4ELj100EEvPKT0_PS4_S4_
; %bb.0:
	s_load_dword s0, s[4:5], 0x24
	s_load_dwordx4 s[16:19], s[4:5], 0x0
	s_load_dword s20, s[4:5], 0x10
	v_mov_b32_e32 v10, 0
	v_mbcnt_lo_u32_b32 v5, -1, 0
	s_waitcnt lgkmcnt(0)
	s_and_b32 s0, s0, 0xffff
	s_mul_i32 s6, s6, s0
	v_add_lshl_u32 v9, s6, v0, 2
	v_lshlrev_b64 v[8:9], 2, v[9:10]
	v_mov_b32_e32 v2, s17
	v_add_co_u32_e32 v1, vcc, s16, v8
	v_addc_co_u32_e32 v2, vcc, v2, v9, vcc
	global_load_dwordx4 v[1:4], v[1:2], off
	v_mbcnt_hi_u32_b32 v5, -1, v5
	v_and_b32_e32 v6, 15, v5
	v_cmp_eq_u32_e32 vcc, 0, v6
	v_cmp_lt_u32_e64 s[0:1], 1, v6
	v_cmp_lt_u32_e64 s[2:3], 3, v6
	;; [unrolled: 1-line block ×3, first 2 shown]
	v_and_b32_e32 v6, 16, v5
	v_cmp_eq_u32_e64 s[6:7], 0, v6
	v_subrev_co_u32_e64 v6, s[12:13], 1, v5
	v_and_b32_e32 v7, 64, v5
	v_cmp_lt_i32_e64 s[14:15], v6, v7
	v_cmp_lt_u32_e64 s[8:9], 31, v5
	v_cndmask_b32_e64 v5, v6, v5, s[14:15]
	v_cmp_eq_u32_e64 s[14:15], 0, v0
	v_cmp_eq_u32_e64 s[10:11], 63, v0
	v_lshlrev_b32_e32 v11, 2, v5
	s_or_b64 s[12:13], s[14:15], s[12:13]
	s_movk_i32 s16, 0x64
.LBB170_1:                              ; =>This Inner Loop Header: Depth=1
	s_waitcnt vmcnt(0)
	v_add_f32_e32 v0, v1, v2
	v_add_f32_e32 v0, v3, v0
	;; [unrolled: 1-line block ×3, first 2 shown]
	s_nop 1
	v_mov_b32_dpp v4, v0 row_shr:1 row_mask:0xf bank_mask:0xf
	v_add_f32_e32 v4, v0, v4
	v_cndmask_b32_e32 v0, v4, v0, vcc
	s_nop 1
	v_mov_b32_dpp v4, v0 row_shr:2 row_mask:0xf bank_mask:0xf
	v_add_f32_e32 v4, v0, v4
	v_cndmask_b32_e64 v0, v0, v4, s[0:1]
	s_nop 1
	v_mov_b32_dpp v4, v0 row_shr:4 row_mask:0xf bank_mask:0xf
	v_add_f32_e32 v4, v0, v4
	v_cndmask_b32_e64 v0, v0, v4, s[2:3]
	;; [unrolled: 4-line block ×3, first 2 shown]
	s_nop 1
	v_mov_b32_dpp v4, v0 row_bcast:15 row_mask:0xf bank_mask:0xf
	v_add_f32_e32 v4, v0, v4
	v_cndmask_b32_e64 v0, v4, v0, s[6:7]
	s_nop 1
	v_mov_b32_dpp v4, v0 row_bcast:31 row_mask:0xf bank_mask:0xf
	v_add_f32_e32 v4, v0, v4
	v_cndmask_b32_e64 v0, v0, v4, s[8:9]
	s_and_saveexec_b64 s[14:15], s[10:11]
; %bb.2:                                ;   in Loop: Header=BB170_1 Depth=1
	ds_write_b32 v10, v0
; %bb.3:                                ;   in Loop: Header=BB170_1 Depth=1
	s_or_b64 exec, exec, s[14:15]
	v_add_f32_e32 v0, s20, v0
	ds_bpermute_b32 v0, v11, v0
	v_mov_b32_e32 v4, s20
	s_add_i32 s16, s16, -1
	s_cmp_lg_u32 s16, 0
	s_waitcnt lgkmcnt(0)
	v_cndmask_b32_e64 v5, v0, v4, s[12:13]
	v_add_f32_e32 v6, v1, v5
	v_add_f32_e32 v7, v2, v6
	;; [unrolled: 1-line block ×3, first 2 shown]
	; wave barrier
	s_cbranch_scc0 .LBB170_5
; %bb.4:                                ;   in Loop: Header=BB170_1 Depth=1
	v_mov_b32_e32 v1, v5
	v_mov_b32_e32 v2, v6
	;; [unrolled: 1-line block ×3, first 2 shown]
	s_branch .LBB170_1
.LBB170_5:
	v_mov_b32_e32 v1, s19
	v_add_co_u32_e32 v0, vcc, s18, v8
	v_addc_co_u32_e32 v1, vcc, v1, v9, vcc
	v_mov_b32_e32 v8, v4
	global_store_dwordx4 v[0:1], v[5:8], off
	s_endpgm
	.section	.rodata,"a",@progbits
	.p2align	6, 0x0
	.amdhsa_kernel _Z6kernelI14exclusive_scanILN6hipcub18BlockScanAlgorithmE0EEfLj64ELj4ELj100EEvPKT0_PS4_S4_
		.amdhsa_group_segment_fixed_size 4
		.amdhsa_private_segment_fixed_size 0
		.amdhsa_kernarg_size 280
		.amdhsa_user_sgpr_count 6
		.amdhsa_user_sgpr_private_segment_buffer 1
		.amdhsa_user_sgpr_dispatch_ptr 0
		.amdhsa_user_sgpr_queue_ptr 0
		.amdhsa_user_sgpr_kernarg_segment_ptr 1
		.amdhsa_user_sgpr_dispatch_id 0
		.amdhsa_user_sgpr_flat_scratch_init 0
		.amdhsa_user_sgpr_private_segment_size 0
		.amdhsa_uses_dynamic_stack 0
		.amdhsa_system_sgpr_private_segment_wavefront_offset 0
		.amdhsa_system_sgpr_workgroup_id_x 1
		.amdhsa_system_sgpr_workgroup_id_y 0
		.amdhsa_system_sgpr_workgroup_id_z 0
		.amdhsa_system_sgpr_workgroup_info 0
		.amdhsa_system_vgpr_workitem_id 0
		.amdhsa_next_free_vgpr 12
		.amdhsa_next_free_sgpr 21
		.amdhsa_reserve_vcc 1
		.amdhsa_reserve_flat_scratch 0
		.amdhsa_float_round_mode_32 0
		.amdhsa_float_round_mode_16_64 0
		.amdhsa_float_denorm_mode_32 3
		.amdhsa_float_denorm_mode_16_64 3
		.amdhsa_dx10_clamp 1
		.amdhsa_ieee_mode 1
		.amdhsa_fp16_overflow 0
		.amdhsa_exception_fp_ieee_invalid_op 0
		.amdhsa_exception_fp_denorm_src 0
		.amdhsa_exception_fp_ieee_div_zero 0
		.amdhsa_exception_fp_ieee_overflow 0
		.amdhsa_exception_fp_ieee_underflow 0
		.amdhsa_exception_fp_ieee_inexact 0
		.amdhsa_exception_int_div_zero 0
	.end_amdhsa_kernel
	.section	.text._Z6kernelI14exclusive_scanILN6hipcub18BlockScanAlgorithmE0EEfLj64ELj4ELj100EEvPKT0_PS4_S4_,"axG",@progbits,_Z6kernelI14exclusive_scanILN6hipcub18BlockScanAlgorithmE0EEfLj64ELj4ELj100EEvPKT0_PS4_S4_,comdat
.Lfunc_end170:
	.size	_Z6kernelI14exclusive_scanILN6hipcub18BlockScanAlgorithmE0EEfLj64ELj4ELj100EEvPKT0_PS4_S4_, .Lfunc_end170-_Z6kernelI14exclusive_scanILN6hipcub18BlockScanAlgorithmE0EEfLj64ELj4ELj100EEvPKT0_PS4_S4_
                                        ; -- End function
	.set _Z6kernelI14exclusive_scanILN6hipcub18BlockScanAlgorithmE0EEfLj64ELj4ELj100EEvPKT0_PS4_S4_.num_vgpr, 12
	.set _Z6kernelI14exclusive_scanILN6hipcub18BlockScanAlgorithmE0EEfLj64ELj4ELj100EEvPKT0_PS4_S4_.num_agpr, 0
	.set _Z6kernelI14exclusive_scanILN6hipcub18BlockScanAlgorithmE0EEfLj64ELj4ELj100EEvPKT0_PS4_S4_.numbered_sgpr, 21
	.set _Z6kernelI14exclusive_scanILN6hipcub18BlockScanAlgorithmE0EEfLj64ELj4ELj100EEvPKT0_PS4_S4_.num_named_barrier, 0
	.set _Z6kernelI14exclusive_scanILN6hipcub18BlockScanAlgorithmE0EEfLj64ELj4ELj100EEvPKT0_PS4_S4_.private_seg_size, 0
	.set _Z6kernelI14exclusive_scanILN6hipcub18BlockScanAlgorithmE0EEfLj64ELj4ELj100EEvPKT0_PS4_S4_.uses_vcc, 1
	.set _Z6kernelI14exclusive_scanILN6hipcub18BlockScanAlgorithmE0EEfLj64ELj4ELj100EEvPKT0_PS4_S4_.uses_flat_scratch, 0
	.set _Z6kernelI14exclusive_scanILN6hipcub18BlockScanAlgorithmE0EEfLj64ELj4ELj100EEvPKT0_PS4_S4_.has_dyn_sized_stack, 0
	.set _Z6kernelI14exclusive_scanILN6hipcub18BlockScanAlgorithmE0EEfLj64ELj4ELj100EEvPKT0_PS4_S4_.has_recursion, 0
	.set _Z6kernelI14exclusive_scanILN6hipcub18BlockScanAlgorithmE0EEfLj64ELj4ELj100EEvPKT0_PS4_S4_.has_indirect_call, 0
	.section	.AMDGPU.csdata,"",@progbits
; Kernel info:
; codeLenInByte = 472
; TotalNumSgprs: 25
; NumVgprs: 12
; ScratchSize: 0
; MemoryBound: 0
; FloatMode: 240
; IeeeMode: 1
; LDSByteSize: 4 bytes/workgroup (compile time only)
; SGPRBlocks: 3
; VGPRBlocks: 2
; NumSGPRsForWavesPerEU: 25
; NumVGPRsForWavesPerEU: 12
; Occupancy: 10
; WaveLimiterHint : 0
; COMPUTE_PGM_RSRC2:SCRATCH_EN: 0
; COMPUTE_PGM_RSRC2:USER_SGPR: 6
; COMPUTE_PGM_RSRC2:TRAP_HANDLER: 0
; COMPUTE_PGM_RSRC2:TGID_X_EN: 1
; COMPUTE_PGM_RSRC2:TGID_Y_EN: 0
; COMPUTE_PGM_RSRC2:TGID_Z_EN: 0
; COMPUTE_PGM_RSRC2:TIDIG_COMP_CNT: 0
	.section	.text._Z6kernelI14exclusive_scanILN6hipcub18BlockScanAlgorithmE0EEfLj64ELj8ELj100EEvPKT0_PS4_S4_,"axG",@progbits,_Z6kernelI14exclusive_scanILN6hipcub18BlockScanAlgorithmE0EEfLj64ELj8ELj100EEvPKT0_PS4_S4_,comdat
	.protected	_Z6kernelI14exclusive_scanILN6hipcub18BlockScanAlgorithmE0EEfLj64ELj8ELj100EEvPKT0_PS4_S4_ ; -- Begin function _Z6kernelI14exclusive_scanILN6hipcub18BlockScanAlgorithmE0EEfLj64ELj8ELj100EEvPKT0_PS4_S4_
	.globl	_Z6kernelI14exclusive_scanILN6hipcub18BlockScanAlgorithmE0EEfLj64ELj8ELj100EEvPKT0_PS4_S4_
	.p2align	8
	.type	_Z6kernelI14exclusive_scanILN6hipcub18BlockScanAlgorithmE0EEfLj64ELj8ELj100EEvPKT0_PS4_S4_,@function
_Z6kernelI14exclusive_scanILN6hipcub18BlockScanAlgorithmE0EEfLj64ELj8ELj100EEvPKT0_PS4_S4_: ; @_Z6kernelI14exclusive_scanILN6hipcub18BlockScanAlgorithmE0EEfLj64ELj8ELj100EEvPKT0_PS4_S4_
; %bb.0:
	s_load_dword s0, s[4:5], 0x24
	s_load_dwordx4 s[16:19], s[4:5], 0x0
	s_load_dword s20, s[4:5], 0x10
	v_mov_b32_e32 v18, 0
	v_cmp_eq_u32_e64 s[10:11], 63, v0
	s_waitcnt lgkmcnt(0)
	s_and_b32 s0, s0, 0xffff
	s_mul_i32 s6, s6, s0
	v_add_lshl_u32 v17, s6, v0, 3
	v_lshlrev_b64 v[16:17], 2, v[17:18]
	v_mov_b32_e32 v1, s17
	v_add_co_u32_e32 v9, vcc, s16, v16
	v_addc_co_u32_e32 v10, vcc, v1, v17, vcc
	global_load_dwordx4 v[5:8], v[9:10], off
	global_load_dwordx4 v[1:4], v[9:10], off offset:16
	v_mbcnt_lo_u32_b32 v9, -1, 0
	v_mbcnt_hi_u32_b32 v9, -1, v9
	v_and_b32_e32 v10, 15, v9
	v_cmp_eq_u32_e32 vcc, 0, v10
	v_cmp_lt_u32_e64 s[0:1], 1, v10
	v_cmp_lt_u32_e64 s[2:3], 3, v10
	;; [unrolled: 1-line block ×3, first 2 shown]
	v_and_b32_e32 v10, 16, v9
	v_cmp_eq_u32_e64 s[6:7], 0, v10
	v_subrev_co_u32_e64 v10, s[12:13], 1, v9
	v_and_b32_e32 v11, 64, v9
	v_cmp_lt_i32_e64 s[14:15], v10, v11
	v_cmp_lt_u32_e64 s[8:9], 31, v9
	v_cndmask_b32_e64 v9, v10, v9, s[14:15]
	v_cmp_eq_u32_e64 s[14:15], 0, v0
	v_lshlrev_b32_e32 v19, 2, v9
	s_or_b64 s[12:13], s[14:15], s[12:13]
	s_movk_i32 s16, 0x64
.LBB171_1:                              ; =>This Inner Loop Header: Depth=1
	s_waitcnt vmcnt(1)
	v_add_f32_e32 v0, v5, v6
	v_add_f32_e32 v0, v7, v0
	;; [unrolled: 1-line block ×3, first 2 shown]
	s_waitcnt vmcnt(0)
	v_add_f32_e32 v0, v1, v0
	v_add_f32_e32 v0, v2, v0
	;; [unrolled: 1-line block ×4, first 2 shown]
	s_nop 1
	v_mov_b32_dpp v4, v0 row_shr:1 row_mask:0xf bank_mask:0xf
	v_add_f32_e32 v4, v0, v4
	v_cndmask_b32_e32 v0, v4, v0, vcc
	s_nop 1
	v_mov_b32_dpp v4, v0 row_shr:2 row_mask:0xf bank_mask:0xf
	v_add_f32_e32 v4, v0, v4
	v_cndmask_b32_e64 v0, v0, v4, s[0:1]
	s_nop 1
	v_mov_b32_dpp v4, v0 row_shr:4 row_mask:0xf bank_mask:0xf
	v_add_f32_e32 v4, v0, v4
	v_cndmask_b32_e64 v0, v0, v4, s[2:3]
	;; [unrolled: 4-line block ×3, first 2 shown]
	s_nop 1
	v_mov_b32_dpp v4, v0 row_bcast:15 row_mask:0xf bank_mask:0xf
	v_add_f32_e32 v4, v0, v4
	v_cndmask_b32_e64 v0, v4, v0, s[6:7]
	s_nop 1
	v_mov_b32_dpp v4, v0 row_bcast:31 row_mask:0xf bank_mask:0xf
	v_add_f32_e32 v4, v0, v4
	v_cndmask_b32_e64 v0, v0, v4, s[8:9]
	s_and_saveexec_b64 s[14:15], s[10:11]
; %bb.2:                                ;   in Loop: Header=BB171_1 Depth=1
	ds_write_b32 v18, v0
; %bb.3:                                ;   in Loop: Header=BB171_1 Depth=1
	s_or_b64 exec, exec, s[14:15]
	v_add_f32_e32 v0, s20, v0
	ds_bpermute_b32 v0, v19, v0
	v_mov_b32_e32 v4, s20
	s_add_i32 s16, s16, -1
	s_cmp_lg_u32 s16, 0
	s_waitcnt lgkmcnt(0)
	v_cndmask_b32_e64 v12, v0, v4, s[12:13]
	v_add_f32_e32 v13, v5, v12
	v_add_f32_e32 v14, v6, v13
	;; [unrolled: 1-line block ×7, first 2 shown]
	; wave barrier
	s_cbranch_scc0 .LBB171_5
; %bb.4:                                ;   in Loop: Header=BB171_1 Depth=1
	v_mov_b32_e32 v5, v12
	v_mov_b32_e32 v6, v13
	;; [unrolled: 1-line block ×7, first 2 shown]
	s_branch .LBB171_1
.LBB171_5:
	v_mov_b32_e32 v1, s19
	v_add_co_u32_e32 v0, vcc, s18, v16
	v_addc_co_u32_e32 v1, vcc, v1, v17, vcc
	global_store_dwordx4 v[0:1], v[12:15], off
	s_nop 0
	v_mov_b32_e32 v12, v4
	global_store_dwordx4 v[0:1], v[9:12], off offset:16
	s_endpgm
	.section	.rodata,"a",@progbits
	.p2align	6, 0x0
	.amdhsa_kernel _Z6kernelI14exclusive_scanILN6hipcub18BlockScanAlgorithmE0EEfLj64ELj8ELj100EEvPKT0_PS4_S4_
		.amdhsa_group_segment_fixed_size 4
		.amdhsa_private_segment_fixed_size 0
		.amdhsa_kernarg_size 280
		.amdhsa_user_sgpr_count 6
		.amdhsa_user_sgpr_private_segment_buffer 1
		.amdhsa_user_sgpr_dispatch_ptr 0
		.amdhsa_user_sgpr_queue_ptr 0
		.amdhsa_user_sgpr_kernarg_segment_ptr 1
		.amdhsa_user_sgpr_dispatch_id 0
		.amdhsa_user_sgpr_flat_scratch_init 0
		.amdhsa_user_sgpr_private_segment_size 0
		.amdhsa_uses_dynamic_stack 0
		.amdhsa_system_sgpr_private_segment_wavefront_offset 0
		.amdhsa_system_sgpr_workgroup_id_x 1
		.amdhsa_system_sgpr_workgroup_id_y 0
		.amdhsa_system_sgpr_workgroup_id_z 0
		.amdhsa_system_sgpr_workgroup_info 0
		.amdhsa_system_vgpr_workitem_id 0
		.amdhsa_next_free_vgpr 20
		.amdhsa_next_free_sgpr 21
		.amdhsa_reserve_vcc 1
		.amdhsa_reserve_flat_scratch 0
		.amdhsa_float_round_mode_32 0
		.amdhsa_float_round_mode_16_64 0
		.amdhsa_float_denorm_mode_32 3
		.amdhsa_float_denorm_mode_16_64 3
		.amdhsa_dx10_clamp 1
		.amdhsa_ieee_mode 1
		.amdhsa_fp16_overflow 0
		.amdhsa_exception_fp_ieee_invalid_op 0
		.amdhsa_exception_fp_denorm_src 0
		.amdhsa_exception_fp_ieee_div_zero 0
		.amdhsa_exception_fp_ieee_overflow 0
		.amdhsa_exception_fp_ieee_underflow 0
		.amdhsa_exception_fp_ieee_inexact 0
		.amdhsa_exception_int_div_zero 0
	.end_amdhsa_kernel
	.section	.text._Z6kernelI14exclusive_scanILN6hipcub18BlockScanAlgorithmE0EEfLj64ELj8ELj100EEvPKT0_PS4_S4_,"axG",@progbits,_Z6kernelI14exclusive_scanILN6hipcub18BlockScanAlgorithmE0EEfLj64ELj8ELj100EEvPKT0_PS4_S4_,comdat
.Lfunc_end171:
	.size	_Z6kernelI14exclusive_scanILN6hipcub18BlockScanAlgorithmE0EEfLj64ELj8ELj100EEvPKT0_PS4_S4_, .Lfunc_end171-_Z6kernelI14exclusive_scanILN6hipcub18BlockScanAlgorithmE0EEfLj64ELj8ELj100EEvPKT0_PS4_S4_
                                        ; -- End function
	.set _Z6kernelI14exclusive_scanILN6hipcub18BlockScanAlgorithmE0EEfLj64ELj8ELj100EEvPKT0_PS4_S4_.num_vgpr, 20
	.set _Z6kernelI14exclusive_scanILN6hipcub18BlockScanAlgorithmE0EEfLj64ELj8ELj100EEvPKT0_PS4_S4_.num_agpr, 0
	.set _Z6kernelI14exclusive_scanILN6hipcub18BlockScanAlgorithmE0EEfLj64ELj8ELj100EEvPKT0_PS4_S4_.numbered_sgpr, 21
	.set _Z6kernelI14exclusive_scanILN6hipcub18BlockScanAlgorithmE0EEfLj64ELj8ELj100EEvPKT0_PS4_S4_.num_named_barrier, 0
	.set _Z6kernelI14exclusive_scanILN6hipcub18BlockScanAlgorithmE0EEfLj64ELj8ELj100EEvPKT0_PS4_S4_.private_seg_size, 0
	.set _Z6kernelI14exclusive_scanILN6hipcub18BlockScanAlgorithmE0EEfLj64ELj8ELj100EEvPKT0_PS4_S4_.uses_vcc, 1
	.set _Z6kernelI14exclusive_scanILN6hipcub18BlockScanAlgorithmE0EEfLj64ELj8ELj100EEvPKT0_PS4_S4_.uses_flat_scratch, 0
	.set _Z6kernelI14exclusive_scanILN6hipcub18BlockScanAlgorithmE0EEfLj64ELj8ELj100EEvPKT0_PS4_S4_.has_dyn_sized_stack, 0
	.set _Z6kernelI14exclusive_scanILN6hipcub18BlockScanAlgorithmE0EEfLj64ELj8ELj100EEvPKT0_PS4_S4_.has_recursion, 0
	.set _Z6kernelI14exclusive_scanILN6hipcub18BlockScanAlgorithmE0EEfLj64ELj8ELj100EEvPKT0_PS4_S4_.has_indirect_call, 0
	.section	.AMDGPU.csdata,"",@progbits
; Kernel info:
; codeLenInByte = 544
; TotalNumSgprs: 25
; NumVgprs: 20
; ScratchSize: 0
; MemoryBound: 0
; FloatMode: 240
; IeeeMode: 1
; LDSByteSize: 4 bytes/workgroup (compile time only)
; SGPRBlocks: 3
; VGPRBlocks: 4
; NumSGPRsForWavesPerEU: 25
; NumVGPRsForWavesPerEU: 20
; Occupancy: 10
; WaveLimiterHint : 0
; COMPUTE_PGM_RSRC2:SCRATCH_EN: 0
; COMPUTE_PGM_RSRC2:USER_SGPR: 6
; COMPUTE_PGM_RSRC2:TRAP_HANDLER: 0
; COMPUTE_PGM_RSRC2:TGID_X_EN: 1
; COMPUTE_PGM_RSRC2:TGID_Y_EN: 0
; COMPUTE_PGM_RSRC2:TGID_Z_EN: 0
; COMPUTE_PGM_RSRC2:TIDIG_COMP_CNT: 0
	.section	.text._Z6kernelI14exclusive_scanILN6hipcub18BlockScanAlgorithmE0EEfLj64ELj11ELj100EEvPKT0_PS4_S4_,"axG",@progbits,_Z6kernelI14exclusive_scanILN6hipcub18BlockScanAlgorithmE0EEfLj64ELj11ELj100EEvPKT0_PS4_S4_,comdat
	.protected	_Z6kernelI14exclusive_scanILN6hipcub18BlockScanAlgorithmE0EEfLj64ELj11ELj100EEvPKT0_PS4_S4_ ; -- Begin function _Z6kernelI14exclusive_scanILN6hipcub18BlockScanAlgorithmE0EEfLj64ELj11ELj100EEvPKT0_PS4_S4_
	.globl	_Z6kernelI14exclusive_scanILN6hipcub18BlockScanAlgorithmE0EEfLj64ELj11ELj100EEvPKT0_PS4_S4_
	.p2align	8
	.type	_Z6kernelI14exclusive_scanILN6hipcub18BlockScanAlgorithmE0EEfLj64ELj11ELj100EEvPKT0_PS4_S4_,@function
_Z6kernelI14exclusive_scanILN6hipcub18BlockScanAlgorithmE0EEfLj64ELj11ELj100EEvPKT0_PS4_S4_: ; @_Z6kernelI14exclusive_scanILN6hipcub18BlockScanAlgorithmE0EEfLj64ELj11ELj100EEvPKT0_PS4_S4_
; %bb.0:
	s_load_dword s0, s[4:5], 0x24
	s_load_dwordx4 s[16:19], s[4:5], 0x0
	s_load_dword s20, s[4:5], 0x10
	v_mov_b32_e32 v18, 0
	v_cmp_eq_u32_e64 s[14:15], 0, v0
	s_waitcnt lgkmcnt(0)
	s_and_b32 s0, s0, 0xffff
	s_mul_i32 s6, s6, s0
	v_add_u32_e32 v1, s6, v0
	v_mul_lo_u32 v17, v1, 11
	v_mov_b32_e32 v2, s17
	v_mov_b32_e32 v25, s17
	v_lshlrev_b64 v[15:16], 2, v[17:18]
	v_add_u32_e32 v1, 1, v17
	v_add_co_u32_e32 v19, vcc, s16, v15
	v_addc_co_u32_e32 v20, vcc, v2, v16, vcc
	v_mov_b32_e32 v2, v18
	v_lshlrev_b64 v[13:14], 2, v[1:2]
	v_mov_b32_e32 v1, s17
	v_add_co_u32_e32 v21, vcc, s16, v13
	v_addc_co_u32_e32 v22, vcc, v1, v14, vcc
	v_add_u32_e32 v1, 2, v17
	v_lshlrev_b64 v[11:12], 2, v[1:2]
	v_mov_b32_e32 v1, s17
	v_add_co_u32_e32 v23, vcc, s16, v11
	v_addc_co_u32_e32 v24, vcc, v1, v12, vcc
	v_add_u32_e32 v1, 3, v17
	;; [unrolled: 5-line block ×6, first 2 shown]
	v_lshlrev_b64 v[1:2], 2, v[1:2]
	v_add_co_u32_e32 v41, vcc, s16, v1
	v_addc_co_u32_e32 v42, vcc, v25, v2, vcc
	global_load_dword v32, v[19:20], off
	global_load_dword v30, v[21:22], off
	;; [unrolled: 1-line block ×5, first 2 shown]
                                        ; kill: killed $vgpr21 killed $vgpr22
                                        ; kill: killed $vgpr23 killed $vgpr24
                                        ; kill: killed $vgpr35 killed $vgpr36
                                        ; kill: killed $vgpr19 killed $vgpr20
                                        ; kill: killed $vgpr33 killed $vgpr34
	global_load_dword v31, v[37:38], off
	global_load_dword v29, v[39:40], off
	;; [unrolled: 1-line block ×3, first 2 shown]
	v_add_u32_e32 v19, 8, v17
	v_mov_b32_e32 v20, v18
	v_lshlrev_b64 v[23:24], 2, v[19:20]
	v_mov_b32_e32 v19, s17
	v_add_co_u32_e32 v35, vcc, s16, v23
	v_addc_co_u32_e32 v36, vcc, v19, v24, vcc
	v_add_u32_e32 v19, 9, v17
	v_lshlrev_b64 v[21:22], 2, v[19:20]
	v_mov_b32_e32 v19, s17
	v_add_co_u32_e32 v37, vcc, s16, v21
	v_add_u32_e32 v17, 10, v17
	v_addc_co_u32_e32 v38, vcc, v19, v22, vcc
	v_lshlrev_b64 v[19:20], 2, v[17:18]
	v_mov_b32_e32 v33, s17
	v_add_co_u32_e32 v39, vcc, s16, v19
	v_addc_co_u32_e32 v40, vcc, v33, v20, vcc
	global_load_dword v34, v[35:36], off
	global_load_dword v33, v[37:38], off
                                        ; kill: killed $vgpr37 killed $vgpr38
                                        ; kill: killed $vgpr35 killed $vgpr36
	global_load_dword v17, v[39:40], off
	v_mbcnt_lo_u32_b32 v35, -1, 0
	v_mbcnt_hi_u32_b32 v35, -1, v35
	v_and_b32_e32 v36, 15, v35
	v_cmp_eq_u32_e32 vcc, 0, v36
	v_cmp_lt_u32_e64 s[0:1], 1, v36
	v_cmp_lt_u32_e64 s[2:3], 3, v36
	;; [unrolled: 1-line block ×3, first 2 shown]
	v_and_b32_e32 v36, 16, v35
	v_cmp_eq_u32_e64 s[6:7], 0, v36
	v_subrev_co_u32_e64 v36, s[12:13], 1, v35
	v_and_b32_e32 v37, 64, v35
	v_cmp_lt_i32_e64 s[10:11], v36, v37
	v_cmp_lt_u32_e64 s[8:9], 31, v35
	v_cndmask_b32_e64 v35, v36, v35, s[10:11]
	v_cmp_eq_u32_e64 s[10:11], 63, v0
	v_lshlrev_b32_e32 v0, 2, v35
	s_or_b64 s[12:13], s[14:15], s[12:13]
	s_movk_i32 s16, 0x64
.LBB172_1:                              ; =>This Inner Loop Header: Depth=1
	s_waitcnt vmcnt(9)
	v_add_f32_e32 v35, v30, v32
	s_waitcnt vmcnt(8)
	v_add_f32_e32 v35, v28, v35
	;; [unrolled: 2-line block ×10, first 2 shown]
	s_nop 1
	v_mov_b32_dpp v35, v17 row_shr:1 row_mask:0xf bank_mask:0xf
	v_add_f32_e32 v35, v17, v35
	v_cndmask_b32_e32 v17, v35, v17, vcc
	s_nop 1
	v_mov_b32_dpp v35, v17 row_shr:2 row_mask:0xf bank_mask:0xf
	v_add_f32_e32 v35, v17, v35
	v_cndmask_b32_e64 v17, v17, v35, s[0:1]
	s_nop 1
	v_mov_b32_dpp v35, v17 row_shr:4 row_mask:0xf bank_mask:0xf
	v_add_f32_e32 v35, v17, v35
	v_cndmask_b32_e64 v17, v17, v35, s[2:3]
	;; [unrolled: 4-line block ×3, first 2 shown]
	s_nop 1
	v_mov_b32_dpp v35, v17 row_bcast:15 row_mask:0xf bank_mask:0xf
	v_add_f32_e32 v35, v17, v35
	v_cndmask_b32_e64 v17, v35, v17, s[6:7]
	s_nop 1
	v_mov_b32_dpp v35, v17 row_bcast:31 row_mask:0xf bank_mask:0xf
	v_add_f32_e32 v35, v17, v35
	v_cndmask_b32_e64 v17, v17, v35, s[8:9]
	s_and_saveexec_b64 s[14:15], s[10:11]
; %bb.2:                                ;   in Loop: Header=BB172_1 Depth=1
	ds_write_b32 v18, v17
; %bb.3:                                ;   in Loop: Header=BB172_1 Depth=1
	s_or_b64 exec, exec, s[14:15]
	v_add_f32_e32 v17, s20, v17
	ds_bpermute_b32 v17, v0, v17
	v_mov_b32_e32 v35, s20
	s_add_i32 s16, s16, -1
	s_cmp_lg_u32 s16, 0
	s_waitcnt lgkmcnt(0)
	v_cndmask_b32_e64 v39, v17, v35, s[12:13]
	v_add_f32_e32 v38, v32, v39
	v_add_f32_e32 v37, v30, v38
	;; [unrolled: 1-line block ×10, first 2 shown]
	; wave barrier
	s_cbranch_scc0 .LBB172_5
; %bb.4:                                ;   in Loop: Header=BB172_1 Depth=1
	v_mov_b32_e32 v33, v25
	v_mov_b32_e32 v34, v26
	;; [unrolled: 1-line block ×10, first 2 shown]
	s_branch .LBB172_1
.LBB172_5:
	v_mov_b32_e32 v0, s19
	v_add_co_u32_e32 v15, vcc, s18, v15
	v_addc_co_u32_e32 v16, vcc, v0, v16, vcc
	v_add_co_u32_e32 v13, vcc, s18, v13
	v_addc_co_u32_e32 v14, vcc, v0, v14, vcc
	;; [unrolled: 2-line block ×7, first 2 shown]
	global_store_dword v[3:4], v30, off
	v_mov_b32_e32 v3, s19
	v_add_co_u32_e32 v0, vcc, s18, v1
	v_addc_co_u32_e32 v1, vcc, v3, v2, vcc
	global_store_dword v[0:1], v28, off
	v_mov_b32_e32 v1, s19
	v_add_co_u32_e32 v0, vcc, s18, v23
	v_addc_co_u32_e32 v1, vcc, v1, v24, vcc
	;; [unrolled: 4-line block ×4, first 2 shown]
	global_store_dword v[15:16], v39, off
	global_store_dword v[13:14], v38, off
	;; [unrolled: 1-line block ×7, first 2 shown]
	s_endpgm
	.section	.rodata,"a",@progbits
	.p2align	6, 0x0
	.amdhsa_kernel _Z6kernelI14exclusive_scanILN6hipcub18BlockScanAlgorithmE0EEfLj64ELj11ELj100EEvPKT0_PS4_S4_
		.amdhsa_group_segment_fixed_size 4
		.amdhsa_private_segment_fixed_size 0
		.amdhsa_kernarg_size 280
		.amdhsa_user_sgpr_count 6
		.amdhsa_user_sgpr_private_segment_buffer 1
		.amdhsa_user_sgpr_dispatch_ptr 0
		.amdhsa_user_sgpr_queue_ptr 0
		.amdhsa_user_sgpr_kernarg_segment_ptr 1
		.amdhsa_user_sgpr_dispatch_id 0
		.amdhsa_user_sgpr_flat_scratch_init 0
		.amdhsa_user_sgpr_private_segment_size 0
		.amdhsa_uses_dynamic_stack 0
		.amdhsa_system_sgpr_private_segment_wavefront_offset 0
		.amdhsa_system_sgpr_workgroup_id_x 1
		.amdhsa_system_sgpr_workgroup_id_y 0
		.amdhsa_system_sgpr_workgroup_id_z 0
		.amdhsa_system_sgpr_workgroup_info 0
		.amdhsa_system_vgpr_workitem_id 0
		.amdhsa_next_free_vgpr 43
		.amdhsa_next_free_sgpr 21
		.amdhsa_reserve_vcc 1
		.amdhsa_reserve_flat_scratch 0
		.amdhsa_float_round_mode_32 0
		.amdhsa_float_round_mode_16_64 0
		.amdhsa_float_denorm_mode_32 3
		.amdhsa_float_denorm_mode_16_64 3
		.amdhsa_dx10_clamp 1
		.amdhsa_ieee_mode 1
		.amdhsa_fp16_overflow 0
		.amdhsa_exception_fp_ieee_invalid_op 0
		.amdhsa_exception_fp_denorm_src 0
		.amdhsa_exception_fp_ieee_div_zero 0
		.amdhsa_exception_fp_ieee_overflow 0
		.amdhsa_exception_fp_ieee_underflow 0
		.amdhsa_exception_fp_ieee_inexact 0
		.amdhsa_exception_int_div_zero 0
	.end_amdhsa_kernel
	.section	.text._Z6kernelI14exclusive_scanILN6hipcub18BlockScanAlgorithmE0EEfLj64ELj11ELj100EEvPKT0_PS4_S4_,"axG",@progbits,_Z6kernelI14exclusive_scanILN6hipcub18BlockScanAlgorithmE0EEfLj64ELj11ELj100EEvPKT0_PS4_S4_,comdat
.Lfunc_end172:
	.size	_Z6kernelI14exclusive_scanILN6hipcub18BlockScanAlgorithmE0EEfLj64ELj11ELj100EEvPKT0_PS4_S4_, .Lfunc_end172-_Z6kernelI14exclusive_scanILN6hipcub18BlockScanAlgorithmE0EEfLj64ELj11ELj100EEvPKT0_PS4_S4_
                                        ; -- End function
	.set _Z6kernelI14exclusive_scanILN6hipcub18BlockScanAlgorithmE0EEfLj64ELj11ELj100EEvPKT0_PS4_S4_.num_vgpr, 43
	.set _Z6kernelI14exclusive_scanILN6hipcub18BlockScanAlgorithmE0EEfLj64ELj11ELj100EEvPKT0_PS4_S4_.num_agpr, 0
	.set _Z6kernelI14exclusive_scanILN6hipcub18BlockScanAlgorithmE0EEfLj64ELj11ELj100EEvPKT0_PS4_S4_.numbered_sgpr, 21
	.set _Z6kernelI14exclusive_scanILN6hipcub18BlockScanAlgorithmE0EEfLj64ELj11ELj100EEvPKT0_PS4_S4_.num_named_barrier, 0
	.set _Z6kernelI14exclusive_scanILN6hipcub18BlockScanAlgorithmE0EEfLj64ELj11ELj100EEvPKT0_PS4_S4_.private_seg_size, 0
	.set _Z6kernelI14exclusive_scanILN6hipcub18BlockScanAlgorithmE0EEfLj64ELj11ELj100EEvPKT0_PS4_S4_.uses_vcc, 1
	.set _Z6kernelI14exclusive_scanILN6hipcub18BlockScanAlgorithmE0EEfLj64ELj11ELj100EEvPKT0_PS4_S4_.uses_flat_scratch, 0
	.set _Z6kernelI14exclusive_scanILN6hipcub18BlockScanAlgorithmE0EEfLj64ELj11ELj100EEvPKT0_PS4_S4_.has_dyn_sized_stack, 0
	.set _Z6kernelI14exclusive_scanILN6hipcub18BlockScanAlgorithmE0EEfLj64ELj11ELj100EEvPKT0_PS4_S4_.has_recursion, 0
	.set _Z6kernelI14exclusive_scanILN6hipcub18BlockScanAlgorithmE0EEfLj64ELj11ELj100EEvPKT0_PS4_S4_.has_indirect_call, 0
	.section	.AMDGPU.csdata,"",@progbits
; Kernel info:
; codeLenInByte = 1096
; TotalNumSgprs: 25
; NumVgprs: 43
; ScratchSize: 0
; MemoryBound: 0
; FloatMode: 240
; IeeeMode: 1
; LDSByteSize: 4 bytes/workgroup (compile time only)
; SGPRBlocks: 3
; VGPRBlocks: 10
; NumSGPRsForWavesPerEU: 25
; NumVGPRsForWavesPerEU: 43
; Occupancy: 5
; WaveLimiterHint : 0
; COMPUTE_PGM_RSRC2:SCRATCH_EN: 0
; COMPUTE_PGM_RSRC2:USER_SGPR: 6
; COMPUTE_PGM_RSRC2:TRAP_HANDLER: 0
; COMPUTE_PGM_RSRC2:TGID_X_EN: 1
; COMPUTE_PGM_RSRC2:TGID_Y_EN: 0
; COMPUTE_PGM_RSRC2:TGID_Z_EN: 0
; COMPUTE_PGM_RSRC2:TIDIG_COMP_CNT: 0
	.section	.text._Z6kernelI14exclusive_scanILN6hipcub18BlockScanAlgorithmE0EEfLj64ELj16ELj100EEvPKT0_PS4_S4_,"axG",@progbits,_Z6kernelI14exclusive_scanILN6hipcub18BlockScanAlgorithmE0EEfLj64ELj16ELj100EEvPKT0_PS4_S4_,comdat
	.protected	_Z6kernelI14exclusive_scanILN6hipcub18BlockScanAlgorithmE0EEfLj64ELj16ELj100EEvPKT0_PS4_S4_ ; -- Begin function _Z6kernelI14exclusive_scanILN6hipcub18BlockScanAlgorithmE0EEfLj64ELj16ELj100EEvPKT0_PS4_S4_
	.globl	_Z6kernelI14exclusive_scanILN6hipcub18BlockScanAlgorithmE0EEfLj64ELj16ELj100EEvPKT0_PS4_S4_
	.p2align	8
	.type	_Z6kernelI14exclusive_scanILN6hipcub18BlockScanAlgorithmE0EEfLj64ELj16ELj100EEvPKT0_PS4_S4_,@function
_Z6kernelI14exclusive_scanILN6hipcub18BlockScanAlgorithmE0EEfLj64ELj16ELj100EEvPKT0_PS4_S4_: ; @_Z6kernelI14exclusive_scanILN6hipcub18BlockScanAlgorithmE0EEfLj64ELj16ELj100EEvPKT0_PS4_S4_
; %bb.0:
	s_load_dword s0, s[4:5], 0x24
	s_load_dwordx4 s[16:19], s[4:5], 0x0
	s_load_dword s20, s[4:5], 0x10
	v_mov_b32_e32 v22, 0
	v_cmp_eq_u32_e64 s[10:11], 63, v0
	s_waitcnt lgkmcnt(0)
	s_and_b32 s0, s0, 0xffff
	s_mul_i32 s6, s6, s0
	v_add_lshl_u32 v21, s6, v0, 4
	v_lshlrev_b64 v[20:21], 2, v[21:22]
	v_mov_b32_e32 v1, s17
	v_add_co_u32_e32 v16, vcc, s16, v20
	v_addc_co_u32_e32 v17, vcc, v1, v21, vcc
	v_mbcnt_lo_u32_b32 v1, -1, 0
	v_mbcnt_hi_u32_b32 v1, -1, v1
	v_and_b32_e32 v2, 15, v1
	v_cmp_eq_u32_e32 vcc, 0, v2
	v_cmp_lt_u32_e64 s[0:1], 1, v2
	v_cmp_lt_u32_e64 s[2:3], 3, v2
	;; [unrolled: 1-line block ×3, first 2 shown]
	v_and_b32_e32 v2, 16, v1
	v_cmp_eq_u32_e64 s[6:7], 0, v2
	v_subrev_co_u32_e64 v2, s[12:13], 1, v1
	v_and_b32_e32 v3, 64, v1
	v_cmp_lt_i32_e64 s[14:15], v2, v3
	v_cmp_lt_u32_e64 s[8:9], 31, v1
	v_cndmask_b32_e64 v1, v2, v1, s[14:15]
	global_load_dwordx4 v[8:11], v[16:17], off
	global_load_dwordx4 v[4:7], v[16:17], off offset:16
	v_lshlrev_b32_e32 v23, 2, v1
	v_cmp_eq_u32_e64 s[14:15], 0, v0
	global_load_dwordx4 v[12:15], v[16:17], off offset:32
	global_load_dwordx4 v[0:3], v[16:17], off offset:48
	s_or_b64 s[12:13], s[14:15], s[12:13]
	s_movk_i32 s16, 0x64
.LBB173_1:                              ; =>This Inner Loop Header: Depth=1
	s_waitcnt vmcnt(3)
	v_add_f32_e32 v16, v9, v8
	v_add_f32_e32 v16, v10, v16
	v_add_f32_e32 v16, v11, v16
	s_waitcnt vmcnt(2)
	v_add_f32_e32 v16, v4, v16
	v_add_f32_e32 v16, v5, v16
	v_add_f32_e32 v16, v6, v16
	v_add_f32_e32 v16, v7, v16
	s_waitcnt vmcnt(1)
	v_add_f32_e32 v16, v12, v16
	;; [unrolled: 5-line block ×3, first 2 shown]
	v_add_f32_e32 v16, v1, v16
	v_add_f32_e32 v16, v2, v16
	;; [unrolled: 1-line block ×3, first 2 shown]
	s_nop 1
	v_mov_b32_dpp v16, v3 row_shr:1 row_mask:0xf bank_mask:0xf
	v_add_f32_e32 v16, v3, v16
	v_cndmask_b32_e32 v3, v16, v3, vcc
	s_nop 1
	v_mov_b32_dpp v16, v3 row_shr:2 row_mask:0xf bank_mask:0xf
	v_add_f32_e32 v16, v3, v16
	v_cndmask_b32_e64 v3, v3, v16, s[0:1]
	s_nop 1
	v_mov_b32_dpp v16, v3 row_shr:4 row_mask:0xf bank_mask:0xf
	v_add_f32_e32 v16, v3, v16
	v_cndmask_b32_e64 v3, v3, v16, s[2:3]
	;; [unrolled: 4-line block ×3, first 2 shown]
	s_nop 1
	v_mov_b32_dpp v16, v3 row_bcast:15 row_mask:0xf bank_mask:0xf
	v_add_f32_e32 v16, v3, v16
	v_cndmask_b32_e64 v3, v16, v3, s[6:7]
	s_nop 1
	v_mov_b32_dpp v16, v3 row_bcast:31 row_mask:0xf bank_mask:0xf
	v_add_f32_e32 v16, v3, v16
	v_cndmask_b32_e64 v3, v3, v16, s[8:9]
	s_and_saveexec_b64 s[14:15], s[10:11]
; %bb.2:                                ;   in Loop: Header=BB173_1 Depth=1
	ds_write_b32 v22, v3
; %bb.3:                                ;   in Loop: Header=BB173_1 Depth=1
	s_or_b64 exec, exec, s[14:15]
	v_add_f32_e32 v3, s20, v3
	ds_bpermute_b32 v3, v23, v3
	v_mov_b32_e32 v16, s20
	s_add_i32 s16, s16, -1
	s_cmp_lg_u32 s16, 0
	s_waitcnt lgkmcnt(0)
	v_cndmask_b32_e64 v16, v3, v16, s[12:13]
	v_add_f32_e32 v17, v8, v16
	v_add_f32_e32 v18, v9, v17
	;; [unrolled: 1-line block ×15, first 2 shown]
	; wave barrier
	s_cbranch_scc0 .LBB173_5
; %bb.4:                                ;   in Loop: Header=BB173_1 Depth=1
	v_mov_b32_e32 v2, v14
	v_mov_b32_e32 v1, v13
	;; [unrolled: 1-line block ×15, first 2 shown]
	s_branch .LBB173_1
.LBB173_5:
	v_mov_b32_e32 v1, s19
	v_add_co_u32_e32 v0, vcc, s18, v20
	v_addc_co_u32_e32 v1, vcc, v1, v21, vcc
	v_mov_b32_e32 v15, v3
	global_store_dwordx4 v[0:1], v[16:19], off
	global_store_dwordx4 v[0:1], v[8:11], off offset:16
	global_store_dwordx4 v[0:1], v[4:7], off offset:32
	;; [unrolled: 1-line block ×3, first 2 shown]
	s_endpgm
	.section	.rodata,"a",@progbits
	.p2align	6, 0x0
	.amdhsa_kernel _Z6kernelI14exclusive_scanILN6hipcub18BlockScanAlgorithmE0EEfLj64ELj16ELj100EEvPKT0_PS4_S4_
		.amdhsa_group_segment_fixed_size 4
		.amdhsa_private_segment_fixed_size 0
		.amdhsa_kernarg_size 280
		.amdhsa_user_sgpr_count 6
		.amdhsa_user_sgpr_private_segment_buffer 1
		.amdhsa_user_sgpr_dispatch_ptr 0
		.amdhsa_user_sgpr_queue_ptr 0
		.amdhsa_user_sgpr_kernarg_segment_ptr 1
		.amdhsa_user_sgpr_dispatch_id 0
		.amdhsa_user_sgpr_flat_scratch_init 0
		.amdhsa_user_sgpr_private_segment_size 0
		.amdhsa_uses_dynamic_stack 0
		.amdhsa_system_sgpr_private_segment_wavefront_offset 0
		.amdhsa_system_sgpr_workgroup_id_x 1
		.amdhsa_system_sgpr_workgroup_id_y 0
		.amdhsa_system_sgpr_workgroup_id_z 0
		.amdhsa_system_sgpr_workgroup_info 0
		.amdhsa_system_vgpr_workitem_id 0
		.amdhsa_next_free_vgpr 24
		.amdhsa_next_free_sgpr 21
		.amdhsa_reserve_vcc 1
		.amdhsa_reserve_flat_scratch 0
		.amdhsa_float_round_mode_32 0
		.amdhsa_float_round_mode_16_64 0
		.amdhsa_float_denorm_mode_32 3
		.amdhsa_float_denorm_mode_16_64 3
		.amdhsa_dx10_clamp 1
		.amdhsa_ieee_mode 1
		.amdhsa_fp16_overflow 0
		.amdhsa_exception_fp_ieee_invalid_op 0
		.amdhsa_exception_fp_denorm_src 0
		.amdhsa_exception_fp_ieee_div_zero 0
		.amdhsa_exception_fp_ieee_overflow 0
		.amdhsa_exception_fp_ieee_underflow 0
		.amdhsa_exception_fp_ieee_inexact 0
		.amdhsa_exception_int_div_zero 0
	.end_amdhsa_kernel
	.section	.text._Z6kernelI14exclusive_scanILN6hipcub18BlockScanAlgorithmE0EEfLj64ELj16ELj100EEvPKT0_PS4_S4_,"axG",@progbits,_Z6kernelI14exclusive_scanILN6hipcub18BlockScanAlgorithmE0EEfLj64ELj16ELj100EEvPKT0_PS4_S4_,comdat
.Lfunc_end173:
	.size	_Z6kernelI14exclusive_scanILN6hipcub18BlockScanAlgorithmE0EEfLj64ELj16ELj100EEvPKT0_PS4_S4_, .Lfunc_end173-_Z6kernelI14exclusive_scanILN6hipcub18BlockScanAlgorithmE0EEfLj64ELj16ELj100EEvPKT0_PS4_S4_
                                        ; -- End function
	.set _Z6kernelI14exclusive_scanILN6hipcub18BlockScanAlgorithmE0EEfLj64ELj16ELj100EEvPKT0_PS4_S4_.num_vgpr, 24
	.set _Z6kernelI14exclusive_scanILN6hipcub18BlockScanAlgorithmE0EEfLj64ELj16ELj100EEvPKT0_PS4_S4_.num_agpr, 0
	.set _Z6kernelI14exclusive_scanILN6hipcub18BlockScanAlgorithmE0EEfLj64ELj16ELj100EEvPKT0_PS4_S4_.numbered_sgpr, 21
	.set _Z6kernelI14exclusive_scanILN6hipcub18BlockScanAlgorithmE0EEfLj64ELj16ELj100EEvPKT0_PS4_S4_.num_named_barrier, 0
	.set _Z6kernelI14exclusive_scanILN6hipcub18BlockScanAlgorithmE0EEfLj64ELj16ELj100EEvPKT0_PS4_S4_.private_seg_size, 0
	.set _Z6kernelI14exclusive_scanILN6hipcub18BlockScanAlgorithmE0EEfLj64ELj16ELj100EEvPKT0_PS4_S4_.uses_vcc, 1
	.set _Z6kernelI14exclusive_scanILN6hipcub18BlockScanAlgorithmE0EEfLj64ELj16ELj100EEvPKT0_PS4_S4_.uses_flat_scratch, 0
	.set _Z6kernelI14exclusive_scanILN6hipcub18BlockScanAlgorithmE0EEfLj64ELj16ELj100EEvPKT0_PS4_S4_.has_dyn_sized_stack, 0
	.set _Z6kernelI14exclusive_scanILN6hipcub18BlockScanAlgorithmE0EEfLj64ELj16ELj100EEvPKT0_PS4_S4_.has_recursion, 0
	.set _Z6kernelI14exclusive_scanILN6hipcub18BlockScanAlgorithmE0EEfLj64ELj16ELj100EEvPKT0_PS4_S4_.has_indirect_call, 0
	.section	.AMDGPU.csdata,"",@progbits
; Kernel info:
; codeLenInByte = 676
; TotalNumSgprs: 25
; NumVgprs: 24
; ScratchSize: 0
; MemoryBound: 0
; FloatMode: 240
; IeeeMode: 1
; LDSByteSize: 4 bytes/workgroup (compile time only)
; SGPRBlocks: 3
; VGPRBlocks: 5
; NumSGPRsForWavesPerEU: 25
; NumVGPRsForWavesPerEU: 24
; Occupancy: 10
; WaveLimiterHint : 0
; COMPUTE_PGM_RSRC2:SCRATCH_EN: 0
; COMPUTE_PGM_RSRC2:USER_SGPR: 6
; COMPUTE_PGM_RSRC2:TRAP_HANDLER: 0
; COMPUTE_PGM_RSRC2:TGID_X_EN: 1
; COMPUTE_PGM_RSRC2:TGID_Y_EN: 0
; COMPUTE_PGM_RSRC2:TGID_Z_EN: 0
; COMPUTE_PGM_RSRC2:TIDIG_COMP_CNT: 0
	.section	.text._Z6kernelI14exclusive_scanILN6hipcub18BlockScanAlgorithmE0EEdLj64ELj1ELj100EEvPKT0_PS4_S4_,"axG",@progbits,_Z6kernelI14exclusive_scanILN6hipcub18BlockScanAlgorithmE0EEdLj64ELj1ELj100EEvPKT0_PS4_S4_,comdat
	.protected	_Z6kernelI14exclusive_scanILN6hipcub18BlockScanAlgorithmE0EEdLj64ELj1ELj100EEvPKT0_PS4_S4_ ; -- Begin function _Z6kernelI14exclusive_scanILN6hipcub18BlockScanAlgorithmE0EEdLj64ELj1ELj100EEvPKT0_PS4_S4_
	.globl	_Z6kernelI14exclusive_scanILN6hipcub18BlockScanAlgorithmE0EEdLj64ELj1ELj100EEvPKT0_PS4_S4_
	.p2align	8
	.type	_Z6kernelI14exclusive_scanILN6hipcub18BlockScanAlgorithmE0EEdLj64ELj1ELj100EEvPKT0_PS4_S4_,@function
_Z6kernelI14exclusive_scanILN6hipcub18BlockScanAlgorithmE0EEdLj64ELj1ELj100EEvPKT0_PS4_S4_: ; @_Z6kernelI14exclusive_scanILN6hipcub18BlockScanAlgorithmE0EEdLj64ELj1ELj100EEvPKT0_PS4_S4_
; %bb.0:
	s_load_dword s0, s[4:5], 0x24
	s_load_dwordx4 s[16:19], s[4:5], 0x0
	s_load_dwordx2 s[20:21], s[4:5], 0x10
	v_mov_b32_e32 v3, 0
	v_mbcnt_lo_u32_b32 v6, -1, 0
	s_waitcnt lgkmcnt(0)
	s_and_b32 s0, s0, 0xffff
	s_mul_i32 s6, s6, s0
	v_add_u32_e32 v2, s6, v0
	v_lshlrev_b64 v[1:2], 3, v[2:3]
	v_mov_b32_e32 v5, s17
	v_add_co_u32_e32 v4, vcc, s16, v1
	v_addc_co_u32_e32 v5, vcc, v5, v2, vcc
	global_load_dwordx2 v[4:5], v[4:5], off
	v_mbcnt_hi_u32_b32 v6, -1, v6
	v_and_b32_e32 v7, 15, v6
	v_cmp_ne_u32_e32 vcc, 0, v7
	v_cmp_lt_u32_e64 s[0:1], 1, v7
	v_cmp_lt_u32_e64 s[2:3], 3, v7
	;; [unrolled: 1-line block ×3, first 2 shown]
	v_and_b32_e32 v7, 16, v6
	v_cmp_ne_u32_e64 s[6:7], 0, v7
	v_cmp_eq_u32_e64 s[10:11], 63, v0
	v_subrev_co_u32_e64 v0, s[12:13], 1, v6
	v_and_b32_e32 v7, 64, v6
	v_cmp_lt_i32_e64 s[14:15], v0, v7
	v_cndmask_b32_e64 v0, v0, v6, s[14:15]
	v_cmp_lt_u32_e64 s[8:9], 31, v6
	v_lshlrev_b32_e32 v0, 2, v0
	s_movk_i32 s16, 0x64
	s_branch .LBB174_2
.LBB174_1:                              ;   in Loop: Header=BB174_2 Depth=1
	s_or_b64 exec, exec, s[14:15]
	v_add_f64 v[4:5], s[20:21], v[4:5]
	v_mov_b32_e32 v6, s21
	v_mov_b32_e32 v7, s20
	s_add_i32 s16, s16, -1
	s_cmp_lg_u32 s16, 0
	s_waitcnt lgkmcnt(0)
	; wave barrier
	ds_bpermute_b32 v5, v0, v5
	ds_bpermute_b32 v4, v0, v4
	s_waitcnt lgkmcnt(1)
	v_cndmask_b32_e64 v5, v5, v6, s[12:13]
	s_waitcnt lgkmcnt(0)
	v_cndmask_b32_e64 v4, v4, v7, s[12:13]
	s_cbranch_scc0 .LBB174_14
.LBB174_2:                              ; =>This Inner Loop Header: Depth=1
	s_waitcnt vmcnt(0)
	v_mov_b32_dpp v6, v4 row_shr:1 row_mask:0xf bank_mask:0xf
	v_mov_b32_dpp v7, v5 row_shr:1 row_mask:0xf bank_mask:0xf
	s_and_saveexec_b64 s[14:15], vcc
; %bb.3:                                ;   in Loop: Header=BB174_2 Depth=1
	v_add_f64 v[4:5], v[4:5], v[6:7]
; %bb.4:                                ;   in Loop: Header=BB174_2 Depth=1
	s_or_b64 exec, exec, s[14:15]
	s_nop 0
	v_mov_b32_dpp v6, v4 row_shr:2 row_mask:0xf bank_mask:0xf
	v_mov_b32_dpp v7, v5 row_shr:2 row_mask:0xf bank_mask:0xf
	s_and_saveexec_b64 s[14:15], s[0:1]
; %bb.5:                                ;   in Loop: Header=BB174_2 Depth=1
	v_add_f64 v[4:5], v[4:5], v[6:7]
; %bb.6:                                ;   in Loop: Header=BB174_2 Depth=1
	s_or_b64 exec, exec, s[14:15]
	s_nop 0
	v_mov_b32_dpp v6, v4 row_shr:4 row_mask:0xf bank_mask:0xf
	v_mov_b32_dpp v7, v5 row_shr:4 row_mask:0xf bank_mask:0xf
	s_and_saveexec_b64 s[14:15], s[2:3]
	;; [unrolled: 8-line block ×3, first 2 shown]
; %bb.9:                                ;   in Loop: Header=BB174_2 Depth=1
	v_add_f64 v[4:5], v[4:5], v[6:7]
; %bb.10:                               ;   in Loop: Header=BB174_2 Depth=1
	s_or_b64 exec, exec, s[14:15]
	s_nop 0
	v_mov_b32_dpp v6, v4 row_bcast:15 row_mask:0xf bank_mask:0xf
	v_mov_b32_dpp v7, v5 row_bcast:15 row_mask:0xf bank_mask:0xf
	s_and_saveexec_b64 s[14:15], s[6:7]
; %bb.11:                               ;   in Loop: Header=BB174_2 Depth=1
	v_add_f64 v[4:5], v[4:5], v[6:7]
; %bb.12:                               ;   in Loop: Header=BB174_2 Depth=1
	s_or_b64 exec, exec, s[14:15]
	s_nop 0
	v_mov_b32_dpp v6, v4 row_bcast:31 row_mask:0xf bank_mask:0xf
	v_mov_b32_dpp v7, v5 row_bcast:31 row_mask:0xf bank_mask:0xf
	v_add_f64 v[6:7], v[4:5], v[6:7]
	v_cndmask_b32_e64 v5, v5, v7, s[8:9]
	v_cndmask_b32_e64 v4, v4, v6, s[8:9]
	s_and_saveexec_b64 s[14:15], s[10:11]
	s_cbranch_execz .LBB174_1
; %bb.13:                               ;   in Loop: Header=BB174_2 Depth=1
	ds_write_b64 v3, v[4:5]
	s_branch .LBB174_1
.LBB174_14:
	v_mov_b32_e32 v3, s19
	v_add_co_u32_e32 v0, vcc, s18, v1
	v_addc_co_u32_e32 v1, vcc, v3, v2, vcc
	global_store_dwordx2 v[0:1], v[4:5], off
	s_endpgm
	.section	.rodata,"a",@progbits
	.p2align	6, 0x0
	.amdhsa_kernel _Z6kernelI14exclusive_scanILN6hipcub18BlockScanAlgorithmE0EEdLj64ELj1ELj100EEvPKT0_PS4_S4_
		.amdhsa_group_segment_fixed_size 8
		.amdhsa_private_segment_fixed_size 0
		.amdhsa_kernarg_size 280
		.amdhsa_user_sgpr_count 6
		.amdhsa_user_sgpr_private_segment_buffer 1
		.amdhsa_user_sgpr_dispatch_ptr 0
		.amdhsa_user_sgpr_queue_ptr 0
		.amdhsa_user_sgpr_kernarg_segment_ptr 1
		.amdhsa_user_sgpr_dispatch_id 0
		.amdhsa_user_sgpr_flat_scratch_init 0
		.amdhsa_user_sgpr_private_segment_size 0
		.amdhsa_uses_dynamic_stack 0
		.amdhsa_system_sgpr_private_segment_wavefront_offset 0
		.amdhsa_system_sgpr_workgroup_id_x 1
		.amdhsa_system_sgpr_workgroup_id_y 0
		.amdhsa_system_sgpr_workgroup_id_z 0
		.amdhsa_system_sgpr_workgroup_info 0
		.amdhsa_system_vgpr_workitem_id 0
		.amdhsa_next_free_vgpr 8
		.amdhsa_next_free_sgpr 22
		.amdhsa_reserve_vcc 1
		.amdhsa_reserve_flat_scratch 0
		.amdhsa_float_round_mode_32 0
		.amdhsa_float_round_mode_16_64 0
		.amdhsa_float_denorm_mode_32 3
		.amdhsa_float_denorm_mode_16_64 3
		.amdhsa_dx10_clamp 1
		.amdhsa_ieee_mode 1
		.amdhsa_fp16_overflow 0
		.amdhsa_exception_fp_ieee_invalid_op 0
		.amdhsa_exception_fp_denorm_src 0
		.amdhsa_exception_fp_ieee_div_zero 0
		.amdhsa_exception_fp_ieee_overflow 0
		.amdhsa_exception_fp_ieee_underflow 0
		.amdhsa_exception_fp_ieee_inexact 0
		.amdhsa_exception_int_div_zero 0
	.end_amdhsa_kernel
	.section	.text._Z6kernelI14exclusive_scanILN6hipcub18BlockScanAlgorithmE0EEdLj64ELj1ELj100EEvPKT0_PS4_S4_,"axG",@progbits,_Z6kernelI14exclusive_scanILN6hipcub18BlockScanAlgorithmE0EEdLj64ELj1ELj100EEvPKT0_PS4_S4_,comdat
.Lfunc_end174:
	.size	_Z6kernelI14exclusive_scanILN6hipcub18BlockScanAlgorithmE0EEdLj64ELj1ELj100EEvPKT0_PS4_S4_, .Lfunc_end174-_Z6kernelI14exclusive_scanILN6hipcub18BlockScanAlgorithmE0EEdLj64ELj1ELj100EEvPKT0_PS4_S4_
                                        ; -- End function
	.set _Z6kernelI14exclusive_scanILN6hipcub18BlockScanAlgorithmE0EEdLj64ELj1ELj100EEvPKT0_PS4_S4_.num_vgpr, 8
	.set _Z6kernelI14exclusive_scanILN6hipcub18BlockScanAlgorithmE0EEdLj64ELj1ELj100EEvPKT0_PS4_S4_.num_agpr, 0
	.set _Z6kernelI14exclusive_scanILN6hipcub18BlockScanAlgorithmE0EEdLj64ELj1ELj100EEvPKT0_PS4_S4_.numbered_sgpr, 22
	.set _Z6kernelI14exclusive_scanILN6hipcub18BlockScanAlgorithmE0EEdLj64ELj1ELj100EEvPKT0_PS4_S4_.num_named_barrier, 0
	.set _Z6kernelI14exclusive_scanILN6hipcub18BlockScanAlgorithmE0EEdLj64ELj1ELj100EEvPKT0_PS4_S4_.private_seg_size, 0
	.set _Z6kernelI14exclusive_scanILN6hipcub18BlockScanAlgorithmE0EEdLj64ELj1ELj100EEvPKT0_PS4_S4_.uses_vcc, 1
	.set _Z6kernelI14exclusive_scanILN6hipcub18BlockScanAlgorithmE0EEdLj64ELj1ELj100EEvPKT0_PS4_S4_.uses_flat_scratch, 0
	.set _Z6kernelI14exclusive_scanILN6hipcub18BlockScanAlgorithmE0EEdLj64ELj1ELj100EEvPKT0_PS4_S4_.has_dyn_sized_stack, 0
	.set _Z6kernelI14exclusive_scanILN6hipcub18BlockScanAlgorithmE0EEdLj64ELj1ELj100EEvPKT0_PS4_S4_.has_recursion, 0
	.set _Z6kernelI14exclusive_scanILN6hipcub18BlockScanAlgorithmE0EEdLj64ELj1ELj100EEvPKT0_PS4_S4_.has_indirect_call, 0
	.section	.AMDGPU.csdata,"",@progbits
; Kernel info:
; codeLenInByte = 536
; TotalNumSgprs: 26
; NumVgprs: 8
; ScratchSize: 0
; MemoryBound: 0
; FloatMode: 240
; IeeeMode: 1
; LDSByteSize: 8 bytes/workgroup (compile time only)
; SGPRBlocks: 3
; VGPRBlocks: 1
; NumSGPRsForWavesPerEU: 26
; NumVGPRsForWavesPerEU: 8
; Occupancy: 10
; WaveLimiterHint : 0
; COMPUTE_PGM_RSRC2:SCRATCH_EN: 0
; COMPUTE_PGM_RSRC2:USER_SGPR: 6
; COMPUTE_PGM_RSRC2:TRAP_HANDLER: 0
; COMPUTE_PGM_RSRC2:TGID_X_EN: 1
; COMPUTE_PGM_RSRC2:TGID_Y_EN: 0
; COMPUTE_PGM_RSRC2:TGID_Z_EN: 0
; COMPUTE_PGM_RSRC2:TIDIG_COMP_CNT: 0
	.section	.text._Z6kernelI14exclusive_scanILN6hipcub18BlockScanAlgorithmE0EEdLj64ELj3ELj100EEvPKT0_PS4_S4_,"axG",@progbits,_Z6kernelI14exclusive_scanILN6hipcub18BlockScanAlgorithmE0EEdLj64ELj3ELj100EEvPKT0_PS4_S4_,comdat
	.protected	_Z6kernelI14exclusive_scanILN6hipcub18BlockScanAlgorithmE0EEdLj64ELj3ELj100EEvPKT0_PS4_S4_ ; -- Begin function _Z6kernelI14exclusive_scanILN6hipcub18BlockScanAlgorithmE0EEdLj64ELj3ELj100EEvPKT0_PS4_S4_
	.globl	_Z6kernelI14exclusive_scanILN6hipcub18BlockScanAlgorithmE0EEdLj64ELj3ELj100EEvPKT0_PS4_S4_
	.p2align	8
	.type	_Z6kernelI14exclusive_scanILN6hipcub18BlockScanAlgorithmE0EEdLj64ELj3ELj100EEvPKT0_PS4_S4_,@function
_Z6kernelI14exclusive_scanILN6hipcub18BlockScanAlgorithmE0EEdLj64ELj3ELj100EEvPKT0_PS4_S4_: ; @_Z6kernelI14exclusive_scanILN6hipcub18BlockScanAlgorithmE0EEdLj64ELj3ELj100EEvPKT0_PS4_S4_
; %bb.0:
	s_load_dword s0, s[4:5], 0x24
	s_load_dwordx4 s[16:19], s[4:5], 0x0
	s_load_dwordx2 s[20:21], s[4:5], 0x10
	v_mov_b32_e32 v4, 0
	v_mov_b32_e32 v6, v4
	s_waitcnt lgkmcnt(0)
	s_and_b32 s0, s0, 0xffff
	s_mul_i32 s6, s6, s0
	v_add_u32_e32 v1, s6, v0
	v_lshl_add_u32 v3, v1, 1, v1
	v_lshlrev_b64 v[1:2], 3, v[3:4]
	v_mov_b32_e32 v5, s17
	v_add_co_u32_e32 v15, vcc, s16, v1
	v_addc_co_u32_e32 v16, vcc, v5, v2, vcc
	v_add_u32_e32 v5, 1, v3
	v_lshlrev_b64 v[5:6], 3, v[5:6]
	v_mov_b32_e32 v7, s17
	v_add_co_u32_e32 v17, vcc, s16, v5
	v_add_u32_e32 v3, 2, v3
	v_addc_co_u32_e32 v18, vcc, v7, v6, vcc
	v_lshlrev_b64 v[7:8], 3, v[3:4]
	v_mov_b32_e32 v3, s17
	v_add_co_u32_e32 v19, vcc, s16, v7
	v_addc_co_u32_e32 v20, vcc, v3, v8, vcc
	global_load_dwordx2 v[9:10], v[15:16], off
	global_load_dwordx2 v[11:12], v[17:18], off
	;; [unrolled: 1-line block ×3, first 2 shown]
	v_mbcnt_lo_u32_b32 v3, -1, 0
	v_mbcnt_hi_u32_b32 v3, -1, v3
	v_and_b32_e32 v15, 15, v3
	v_cmp_ne_u32_e32 vcc, 0, v15
	v_cmp_lt_u32_e64 s[0:1], 1, v15
	v_cmp_lt_u32_e64 s[2:3], 3, v15
	;; [unrolled: 1-line block ×3, first 2 shown]
	v_and_b32_e32 v15, 16, v3
	v_cmp_ne_u32_e64 s[6:7], 0, v15
	v_subrev_co_u32_e64 v15, s[12:13], 1, v3
	v_and_b32_e32 v16, 64, v3
	v_cmp_lt_i32_e64 s[14:15], v15, v16
	v_cmp_lt_u32_e64 s[8:9], 31, v3
	v_cndmask_b32_e64 v3, v15, v3, s[14:15]
	v_cmp_eq_u32_e64 s[14:15], 0, v0
	v_cmp_eq_u32_e64 s[10:11], 63, v0
	v_lshlrev_b32_e32 v3, 2, v3
	s_or_b64 s[12:13], s[14:15], s[12:13]
	s_movk_i32 s16, 0x64
.LBB175_1:                              ; =>This Inner Loop Header: Depth=1
	s_waitcnt vmcnt(1)
	v_add_f64 v[15:16], v[9:10], v[11:12]
	s_waitcnt vmcnt(0)
	v_add_f64 v[13:14], v[13:14], v[15:16]
	s_nop 1
	v_mov_b32_dpp v15, v13 row_shr:1 row_mask:0xf bank_mask:0xf
	v_mov_b32_dpp v16, v14 row_shr:1 row_mask:0xf bank_mask:0xf
	s_and_saveexec_b64 s[14:15], vcc
; %bb.2:                                ;   in Loop: Header=BB175_1 Depth=1
	v_add_f64 v[13:14], v[13:14], v[15:16]
; %bb.3:                                ;   in Loop: Header=BB175_1 Depth=1
	s_or_b64 exec, exec, s[14:15]
	s_nop 0
	v_mov_b32_dpp v15, v13 row_shr:2 row_mask:0xf bank_mask:0xf
	v_mov_b32_dpp v16, v14 row_shr:2 row_mask:0xf bank_mask:0xf
	s_and_saveexec_b64 s[14:15], s[0:1]
; %bb.4:                                ;   in Loop: Header=BB175_1 Depth=1
	v_add_f64 v[13:14], v[13:14], v[15:16]
; %bb.5:                                ;   in Loop: Header=BB175_1 Depth=1
	s_or_b64 exec, exec, s[14:15]
	s_nop 0
	v_mov_b32_dpp v15, v13 row_shr:4 row_mask:0xf bank_mask:0xf
	v_mov_b32_dpp v16, v14 row_shr:4 row_mask:0xf bank_mask:0xf
	s_and_saveexec_b64 s[14:15], s[2:3]
	;; [unrolled: 8-line block ×3, first 2 shown]
; %bb.8:                                ;   in Loop: Header=BB175_1 Depth=1
	v_add_f64 v[13:14], v[13:14], v[15:16]
; %bb.9:                                ;   in Loop: Header=BB175_1 Depth=1
	s_or_b64 exec, exec, s[14:15]
	s_nop 0
	v_mov_b32_dpp v15, v13 row_bcast:15 row_mask:0xf bank_mask:0xf
	v_mov_b32_dpp v16, v14 row_bcast:15 row_mask:0xf bank_mask:0xf
	s_and_saveexec_b64 s[14:15], s[6:7]
; %bb.10:                               ;   in Loop: Header=BB175_1 Depth=1
	v_add_f64 v[13:14], v[13:14], v[15:16]
; %bb.11:                               ;   in Loop: Header=BB175_1 Depth=1
	s_or_b64 exec, exec, s[14:15]
	s_nop 0
	v_mov_b32_dpp v15, v13 row_bcast:31 row_mask:0xf bank_mask:0xf
	v_mov_b32_dpp v16, v14 row_bcast:31 row_mask:0xf bank_mask:0xf
	v_add_f64 v[15:16], v[13:14], v[15:16]
	v_cndmask_b32_e64 v14, v14, v16, s[8:9]
	v_cndmask_b32_e64 v13, v13, v15, s[8:9]
	s_and_saveexec_b64 s[14:15], s[10:11]
; %bb.12:                               ;   in Loop: Header=BB175_1 Depth=1
	ds_write_b64 v4, v[13:14]
; %bb.13:                               ;   in Loop: Header=BB175_1 Depth=1
	s_or_b64 exec, exec, s[14:15]
	v_add_f64 v[13:14], s[20:21], v[13:14]
	v_mov_b32_e32 v15, s20
	s_add_i32 s16, s16, -1
	s_cmp_lg_u32 s16, 0
	s_waitcnt lgkmcnt(0)
	; wave barrier
	ds_bpermute_b32 v0, v3, v14
	ds_bpermute_b32 v13, v3, v13
	v_mov_b32_e32 v14, s21
	s_waitcnt lgkmcnt(1)
	v_cndmask_b32_e64 v18, v0, v14, s[12:13]
	s_waitcnt lgkmcnt(0)
	v_cndmask_b32_e64 v17, v13, v15, s[12:13]
	v_add_f64 v[15:16], v[9:10], v[17:18]
	v_add_f64 v[13:14], v[11:12], v[15:16]
	s_cbranch_scc0 .LBB175_15
; %bb.14:                               ;   in Loop: Header=BB175_1 Depth=1
	v_mov_b32_e32 v9, v17
	v_mov_b32_e32 v11, v15
	;; [unrolled: 1-line block ×4, first 2 shown]
	s_branch .LBB175_1
.LBB175_15:
	v_mov_b32_e32 v3, s19
	v_add_co_u32_e32 v0, vcc, s18, v1
	v_addc_co_u32_e32 v1, vcc, v3, v2, vcc
	global_store_dwordx2 v[0:1], v[17:18], off
	v_mov_b32_e32 v1, s19
	v_add_co_u32_e32 v0, vcc, s18, v5
	v_addc_co_u32_e32 v1, vcc, v1, v6, vcc
	global_store_dwordx2 v[0:1], v[15:16], off
	;; [unrolled: 4-line block ×3, first 2 shown]
	s_endpgm
	.section	.rodata,"a",@progbits
	.p2align	6, 0x0
	.amdhsa_kernel _Z6kernelI14exclusive_scanILN6hipcub18BlockScanAlgorithmE0EEdLj64ELj3ELj100EEvPKT0_PS4_S4_
		.amdhsa_group_segment_fixed_size 8
		.amdhsa_private_segment_fixed_size 0
		.amdhsa_kernarg_size 280
		.amdhsa_user_sgpr_count 6
		.amdhsa_user_sgpr_private_segment_buffer 1
		.amdhsa_user_sgpr_dispatch_ptr 0
		.amdhsa_user_sgpr_queue_ptr 0
		.amdhsa_user_sgpr_kernarg_segment_ptr 1
		.amdhsa_user_sgpr_dispatch_id 0
		.amdhsa_user_sgpr_flat_scratch_init 0
		.amdhsa_user_sgpr_private_segment_size 0
		.amdhsa_uses_dynamic_stack 0
		.amdhsa_system_sgpr_private_segment_wavefront_offset 0
		.amdhsa_system_sgpr_workgroup_id_x 1
		.amdhsa_system_sgpr_workgroup_id_y 0
		.amdhsa_system_sgpr_workgroup_id_z 0
		.amdhsa_system_sgpr_workgroup_info 0
		.amdhsa_system_vgpr_workitem_id 0
		.amdhsa_next_free_vgpr 21
		.amdhsa_next_free_sgpr 22
		.amdhsa_reserve_vcc 1
		.amdhsa_reserve_flat_scratch 0
		.amdhsa_float_round_mode_32 0
		.amdhsa_float_round_mode_16_64 0
		.amdhsa_float_denorm_mode_32 3
		.amdhsa_float_denorm_mode_16_64 3
		.amdhsa_dx10_clamp 1
		.amdhsa_ieee_mode 1
		.amdhsa_fp16_overflow 0
		.amdhsa_exception_fp_ieee_invalid_op 0
		.amdhsa_exception_fp_denorm_src 0
		.amdhsa_exception_fp_ieee_div_zero 0
		.amdhsa_exception_fp_ieee_overflow 0
		.amdhsa_exception_fp_ieee_underflow 0
		.amdhsa_exception_fp_ieee_inexact 0
		.amdhsa_exception_int_div_zero 0
	.end_amdhsa_kernel
	.section	.text._Z6kernelI14exclusive_scanILN6hipcub18BlockScanAlgorithmE0EEdLj64ELj3ELj100EEvPKT0_PS4_S4_,"axG",@progbits,_Z6kernelI14exclusive_scanILN6hipcub18BlockScanAlgorithmE0EEdLj64ELj3ELj100EEvPKT0_PS4_S4_,comdat
.Lfunc_end175:
	.size	_Z6kernelI14exclusive_scanILN6hipcub18BlockScanAlgorithmE0EEdLj64ELj3ELj100EEvPKT0_PS4_S4_, .Lfunc_end175-_Z6kernelI14exclusive_scanILN6hipcub18BlockScanAlgorithmE0EEdLj64ELj3ELj100EEvPKT0_PS4_S4_
                                        ; -- End function
	.set _Z6kernelI14exclusive_scanILN6hipcub18BlockScanAlgorithmE0EEdLj64ELj3ELj100EEvPKT0_PS4_S4_.num_vgpr, 21
	.set _Z6kernelI14exclusive_scanILN6hipcub18BlockScanAlgorithmE0EEdLj64ELj3ELj100EEvPKT0_PS4_S4_.num_agpr, 0
	.set _Z6kernelI14exclusive_scanILN6hipcub18BlockScanAlgorithmE0EEdLj64ELj3ELj100EEvPKT0_PS4_S4_.numbered_sgpr, 22
	.set _Z6kernelI14exclusive_scanILN6hipcub18BlockScanAlgorithmE0EEdLj64ELj3ELj100EEvPKT0_PS4_S4_.num_named_barrier, 0
	.set _Z6kernelI14exclusive_scanILN6hipcub18BlockScanAlgorithmE0EEdLj64ELj3ELj100EEvPKT0_PS4_S4_.private_seg_size, 0
	.set _Z6kernelI14exclusive_scanILN6hipcub18BlockScanAlgorithmE0EEdLj64ELj3ELj100EEvPKT0_PS4_S4_.uses_vcc, 1
	.set _Z6kernelI14exclusive_scanILN6hipcub18BlockScanAlgorithmE0EEdLj64ELj3ELj100EEvPKT0_PS4_S4_.uses_flat_scratch, 0
	.set _Z6kernelI14exclusive_scanILN6hipcub18BlockScanAlgorithmE0EEdLj64ELj3ELj100EEvPKT0_PS4_S4_.has_dyn_sized_stack, 0
	.set _Z6kernelI14exclusive_scanILN6hipcub18BlockScanAlgorithmE0EEdLj64ELj3ELj100EEvPKT0_PS4_S4_.has_recursion, 0
	.set _Z6kernelI14exclusive_scanILN6hipcub18BlockScanAlgorithmE0EEdLj64ELj3ELj100EEvPKT0_PS4_S4_.has_indirect_call, 0
	.section	.AMDGPU.csdata,"",@progbits
; Kernel info:
; codeLenInByte = 712
; TotalNumSgprs: 26
; NumVgprs: 21
; ScratchSize: 0
; MemoryBound: 0
; FloatMode: 240
; IeeeMode: 1
; LDSByteSize: 8 bytes/workgroup (compile time only)
; SGPRBlocks: 3
; VGPRBlocks: 5
; NumSGPRsForWavesPerEU: 26
; NumVGPRsForWavesPerEU: 21
; Occupancy: 10
; WaveLimiterHint : 0
; COMPUTE_PGM_RSRC2:SCRATCH_EN: 0
; COMPUTE_PGM_RSRC2:USER_SGPR: 6
; COMPUTE_PGM_RSRC2:TRAP_HANDLER: 0
; COMPUTE_PGM_RSRC2:TGID_X_EN: 1
; COMPUTE_PGM_RSRC2:TGID_Y_EN: 0
; COMPUTE_PGM_RSRC2:TGID_Z_EN: 0
; COMPUTE_PGM_RSRC2:TIDIG_COMP_CNT: 0
	.section	.text._Z6kernelI14exclusive_scanILN6hipcub18BlockScanAlgorithmE0EEdLj64ELj4ELj100EEvPKT0_PS4_S4_,"axG",@progbits,_Z6kernelI14exclusive_scanILN6hipcub18BlockScanAlgorithmE0EEdLj64ELj4ELj100EEvPKT0_PS4_S4_,comdat
	.protected	_Z6kernelI14exclusive_scanILN6hipcub18BlockScanAlgorithmE0EEdLj64ELj4ELj100EEvPKT0_PS4_S4_ ; -- Begin function _Z6kernelI14exclusive_scanILN6hipcub18BlockScanAlgorithmE0EEdLj64ELj4ELj100EEvPKT0_PS4_S4_
	.globl	_Z6kernelI14exclusive_scanILN6hipcub18BlockScanAlgorithmE0EEdLj64ELj4ELj100EEvPKT0_PS4_S4_
	.p2align	8
	.type	_Z6kernelI14exclusive_scanILN6hipcub18BlockScanAlgorithmE0EEdLj64ELj4ELj100EEvPKT0_PS4_S4_,@function
_Z6kernelI14exclusive_scanILN6hipcub18BlockScanAlgorithmE0EEdLj64ELj4ELj100EEvPKT0_PS4_S4_: ; @_Z6kernelI14exclusive_scanILN6hipcub18BlockScanAlgorithmE0EEdLj64ELj4ELj100EEvPKT0_PS4_S4_
; %bb.0:
	s_load_dword s0, s[4:5], 0x24
	s_load_dwordx4 s[16:19], s[4:5], 0x0
	s_load_dwordx2 s[20:21], s[4:5], 0x10
	v_mov_b32_e32 v17, 0
	v_cmp_eq_u32_e64 s[10:11], 63, v0
	s_waitcnt lgkmcnt(0)
	s_and_b32 s0, s0, 0xffff
	s_mul_i32 s6, s6, s0
	v_add_lshl_u32 v16, s6, v0, 2
	v_lshlrev_b64 v[15:16], 3, v[16:17]
	v_mov_b32_e32 v1, s17
	v_add_co_u32_e32 v9, vcc, s16, v15
	v_addc_co_u32_e32 v10, vcc, v1, v16, vcc
	global_load_dwordx4 v[1:4], v[9:10], off offset:16
	global_load_dwordx4 v[5:8], v[9:10], off
	v_mbcnt_lo_u32_b32 v9, -1, 0
	v_mbcnt_hi_u32_b32 v9, -1, v9
	v_and_b32_e32 v10, 15, v9
	v_cmp_ne_u32_e32 vcc, 0, v10
	v_cmp_lt_u32_e64 s[0:1], 1, v10
	v_cmp_lt_u32_e64 s[2:3], 3, v10
	;; [unrolled: 1-line block ×3, first 2 shown]
	v_and_b32_e32 v10, 16, v9
	v_cmp_ne_u32_e64 s[6:7], 0, v10
	v_subrev_co_u32_e64 v10, s[12:13], 1, v9
	v_and_b32_e32 v11, 64, v9
	v_cmp_lt_i32_e64 s[14:15], v10, v11
	v_cmp_lt_u32_e64 s[8:9], 31, v9
	v_cndmask_b32_e64 v9, v10, v9, s[14:15]
	v_cmp_eq_u32_e64 s[14:15], 0, v0
	v_lshlrev_b32_e32 v18, 2, v9
	s_or_b64 s[12:13], s[14:15], s[12:13]
	s_movk_i32 s16, 0x64
.LBB176_1:                              ; =>This Inner Loop Header: Depth=1
	s_waitcnt vmcnt(0)
	v_add_f64 v[9:10], v[5:6], v[7:8]
	v_add_f64 v[9:10], v[1:2], v[9:10]
	v_add_f64 v[3:4], v[3:4], v[9:10]
	s_nop 1
	v_mov_b32_dpp v9, v3 row_shr:1 row_mask:0xf bank_mask:0xf
	v_mov_b32_dpp v10, v4 row_shr:1 row_mask:0xf bank_mask:0xf
	s_and_saveexec_b64 s[14:15], vcc
; %bb.2:                                ;   in Loop: Header=BB176_1 Depth=1
	v_add_f64 v[3:4], v[3:4], v[9:10]
; %bb.3:                                ;   in Loop: Header=BB176_1 Depth=1
	s_or_b64 exec, exec, s[14:15]
	s_nop 0
	v_mov_b32_dpp v9, v3 row_shr:2 row_mask:0xf bank_mask:0xf
	v_mov_b32_dpp v10, v4 row_shr:2 row_mask:0xf bank_mask:0xf
	s_and_saveexec_b64 s[14:15], s[0:1]
; %bb.4:                                ;   in Loop: Header=BB176_1 Depth=1
	v_add_f64 v[3:4], v[3:4], v[9:10]
; %bb.5:                                ;   in Loop: Header=BB176_1 Depth=1
	s_or_b64 exec, exec, s[14:15]
	s_nop 0
	v_mov_b32_dpp v9, v3 row_shr:4 row_mask:0xf bank_mask:0xf
	v_mov_b32_dpp v10, v4 row_shr:4 row_mask:0xf bank_mask:0xf
	s_and_saveexec_b64 s[14:15], s[2:3]
	;; [unrolled: 8-line block ×3, first 2 shown]
; %bb.8:                                ;   in Loop: Header=BB176_1 Depth=1
	v_add_f64 v[3:4], v[3:4], v[9:10]
; %bb.9:                                ;   in Loop: Header=BB176_1 Depth=1
	s_or_b64 exec, exec, s[14:15]
	s_nop 0
	v_mov_b32_dpp v9, v3 row_bcast:15 row_mask:0xf bank_mask:0xf
	v_mov_b32_dpp v10, v4 row_bcast:15 row_mask:0xf bank_mask:0xf
	s_and_saveexec_b64 s[14:15], s[6:7]
; %bb.10:                               ;   in Loop: Header=BB176_1 Depth=1
	v_add_f64 v[3:4], v[3:4], v[9:10]
; %bb.11:                               ;   in Loop: Header=BB176_1 Depth=1
	s_or_b64 exec, exec, s[14:15]
	s_nop 0
	v_mov_b32_dpp v9, v3 row_bcast:31 row_mask:0xf bank_mask:0xf
	v_mov_b32_dpp v10, v4 row_bcast:31 row_mask:0xf bank_mask:0xf
	v_add_f64 v[9:10], v[3:4], v[9:10]
	v_cndmask_b32_e64 v4, v4, v10, s[8:9]
	v_cndmask_b32_e64 v3, v3, v9, s[8:9]
	s_and_saveexec_b64 s[14:15], s[10:11]
; %bb.12:                               ;   in Loop: Header=BB176_1 Depth=1
	ds_write_b64 v17, v[3:4]
; %bb.13:                               ;   in Loop: Header=BB176_1 Depth=1
	s_or_b64 exec, exec, s[14:15]
	v_add_f64 v[3:4], s[20:21], v[3:4]
	v_mov_b32_e32 v9, s20
	s_add_i32 s16, s16, -1
	s_cmp_lg_u32 s16, 0
	s_waitcnt lgkmcnt(0)
	; wave barrier
	ds_bpermute_b32 v0, v18, v4
	ds_bpermute_b32 v3, v18, v3
	v_mov_b32_e32 v4, s21
	s_waitcnt lgkmcnt(1)
	v_cndmask_b32_e64 v12, v0, v4, s[12:13]
	s_waitcnt lgkmcnt(0)
	v_cndmask_b32_e64 v11, v3, v9, s[12:13]
	v_add_f64 v[13:14], v[5:6], v[11:12]
	v_add_f64 v[9:10], v[7:8], v[13:14]
	;; [unrolled: 1-line block ×3, first 2 shown]
	s_cbranch_scc0 .LBB176_15
; %bb.14:                               ;   in Loop: Header=BB176_1 Depth=1
	v_mov_b32_e32 v5, v11
	v_mov_b32_e32 v7, v13
	;; [unrolled: 1-line block ×6, first 2 shown]
	s_branch .LBB176_1
.LBB176_15:
	v_mov_b32_e32 v1, s19
	v_add_co_u32_e32 v0, vcc, s18, v15
	v_addc_co_u32_e32 v1, vcc, v1, v16, vcc
	global_store_dwordx4 v[0:1], v[11:14], off
	s_nop 0
	v_mov_b32_e32 v11, v3
	v_mov_b32_e32 v12, v4
	global_store_dwordx4 v[0:1], v[9:12], off offset:16
	s_endpgm
	.section	.rodata,"a",@progbits
	.p2align	6, 0x0
	.amdhsa_kernel _Z6kernelI14exclusive_scanILN6hipcub18BlockScanAlgorithmE0EEdLj64ELj4ELj100EEvPKT0_PS4_S4_
		.amdhsa_group_segment_fixed_size 8
		.amdhsa_private_segment_fixed_size 0
		.amdhsa_kernarg_size 280
		.amdhsa_user_sgpr_count 6
		.amdhsa_user_sgpr_private_segment_buffer 1
		.amdhsa_user_sgpr_dispatch_ptr 0
		.amdhsa_user_sgpr_queue_ptr 0
		.amdhsa_user_sgpr_kernarg_segment_ptr 1
		.amdhsa_user_sgpr_dispatch_id 0
		.amdhsa_user_sgpr_flat_scratch_init 0
		.amdhsa_user_sgpr_private_segment_size 0
		.amdhsa_uses_dynamic_stack 0
		.amdhsa_system_sgpr_private_segment_wavefront_offset 0
		.amdhsa_system_sgpr_workgroup_id_x 1
		.amdhsa_system_sgpr_workgroup_id_y 0
		.amdhsa_system_sgpr_workgroup_id_z 0
		.amdhsa_system_sgpr_workgroup_info 0
		.amdhsa_system_vgpr_workitem_id 0
		.amdhsa_next_free_vgpr 19
		.amdhsa_next_free_sgpr 22
		.amdhsa_reserve_vcc 1
		.amdhsa_reserve_flat_scratch 0
		.amdhsa_float_round_mode_32 0
		.amdhsa_float_round_mode_16_64 0
		.amdhsa_float_denorm_mode_32 3
		.amdhsa_float_denorm_mode_16_64 3
		.amdhsa_dx10_clamp 1
		.amdhsa_ieee_mode 1
		.amdhsa_fp16_overflow 0
		.amdhsa_exception_fp_ieee_invalid_op 0
		.amdhsa_exception_fp_denorm_src 0
		.amdhsa_exception_fp_ieee_div_zero 0
		.amdhsa_exception_fp_ieee_overflow 0
		.amdhsa_exception_fp_ieee_underflow 0
		.amdhsa_exception_fp_ieee_inexact 0
		.amdhsa_exception_int_div_zero 0
	.end_amdhsa_kernel
	.section	.text._Z6kernelI14exclusive_scanILN6hipcub18BlockScanAlgorithmE0EEdLj64ELj4ELj100EEvPKT0_PS4_S4_,"axG",@progbits,_Z6kernelI14exclusive_scanILN6hipcub18BlockScanAlgorithmE0EEdLj64ELj4ELj100EEvPKT0_PS4_S4_,comdat
.Lfunc_end176:
	.size	_Z6kernelI14exclusive_scanILN6hipcub18BlockScanAlgorithmE0EEdLj64ELj4ELj100EEvPKT0_PS4_S4_, .Lfunc_end176-_Z6kernelI14exclusive_scanILN6hipcub18BlockScanAlgorithmE0EEdLj64ELj4ELj100EEvPKT0_PS4_S4_
                                        ; -- End function
	.set _Z6kernelI14exclusive_scanILN6hipcub18BlockScanAlgorithmE0EEdLj64ELj4ELj100EEvPKT0_PS4_S4_.num_vgpr, 19
	.set _Z6kernelI14exclusive_scanILN6hipcub18BlockScanAlgorithmE0EEdLj64ELj4ELj100EEvPKT0_PS4_S4_.num_agpr, 0
	.set _Z6kernelI14exclusive_scanILN6hipcub18BlockScanAlgorithmE0EEdLj64ELj4ELj100EEvPKT0_PS4_S4_.numbered_sgpr, 22
	.set _Z6kernelI14exclusive_scanILN6hipcub18BlockScanAlgorithmE0EEdLj64ELj4ELj100EEvPKT0_PS4_S4_.num_named_barrier, 0
	.set _Z6kernelI14exclusive_scanILN6hipcub18BlockScanAlgorithmE0EEdLj64ELj4ELj100EEvPKT0_PS4_S4_.private_seg_size, 0
	.set _Z6kernelI14exclusive_scanILN6hipcub18BlockScanAlgorithmE0EEdLj64ELj4ELj100EEvPKT0_PS4_S4_.uses_vcc, 1
	.set _Z6kernelI14exclusive_scanILN6hipcub18BlockScanAlgorithmE0EEdLj64ELj4ELj100EEvPKT0_PS4_S4_.uses_flat_scratch, 0
	.set _Z6kernelI14exclusive_scanILN6hipcub18BlockScanAlgorithmE0EEdLj64ELj4ELj100EEvPKT0_PS4_S4_.has_dyn_sized_stack, 0
	.set _Z6kernelI14exclusive_scanILN6hipcub18BlockScanAlgorithmE0EEdLj64ELj4ELj100EEvPKT0_PS4_S4_.has_recursion, 0
	.set _Z6kernelI14exclusive_scanILN6hipcub18BlockScanAlgorithmE0EEdLj64ELj4ELj100EEvPKT0_PS4_S4_.has_indirect_call, 0
	.section	.AMDGPU.csdata,"",@progbits
; Kernel info:
; codeLenInByte = 648
; TotalNumSgprs: 26
; NumVgprs: 19
; ScratchSize: 0
; MemoryBound: 0
; FloatMode: 240
; IeeeMode: 1
; LDSByteSize: 8 bytes/workgroup (compile time only)
; SGPRBlocks: 3
; VGPRBlocks: 4
; NumSGPRsForWavesPerEU: 26
; NumVGPRsForWavesPerEU: 19
; Occupancy: 10
; WaveLimiterHint : 0
; COMPUTE_PGM_RSRC2:SCRATCH_EN: 0
; COMPUTE_PGM_RSRC2:USER_SGPR: 6
; COMPUTE_PGM_RSRC2:TRAP_HANDLER: 0
; COMPUTE_PGM_RSRC2:TGID_X_EN: 1
; COMPUTE_PGM_RSRC2:TGID_Y_EN: 0
; COMPUTE_PGM_RSRC2:TGID_Z_EN: 0
; COMPUTE_PGM_RSRC2:TIDIG_COMP_CNT: 0
	.section	.text._Z6kernelI14exclusive_scanILN6hipcub18BlockScanAlgorithmE0EEdLj64ELj8ELj100EEvPKT0_PS4_S4_,"axG",@progbits,_Z6kernelI14exclusive_scanILN6hipcub18BlockScanAlgorithmE0EEdLj64ELj8ELj100EEvPKT0_PS4_S4_,comdat
	.protected	_Z6kernelI14exclusive_scanILN6hipcub18BlockScanAlgorithmE0EEdLj64ELj8ELj100EEvPKT0_PS4_S4_ ; -- Begin function _Z6kernelI14exclusive_scanILN6hipcub18BlockScanAlgorithmE0EEdLj64ELj8ELj100EEvPKT0_PS4_S4_
	.globl	_Z6kernelI14exclusive_scanILN6hipcub18BlockScanAlgorithmE0EEdLj64ELj8ELj100EEvPKT0_PS4_S4_
	.p2align	8
	.type	_Z6kernelI14exclusive_scanILN6hipcub18BlockScanAlgorithmE0EEdLj64ELj8ELj100EEvPKT0_PS4_S4_,@function
_Z6kernelI14exclusive_scanILN6hipcub18BlockScanAlgorithmE0EEdLj64ELj8ELj100EEvPKT0_PS4_S4_: ; @_Z6kernelI14exclusive_scanILN6hipcub18BlockScanAlgorithmE0EEdLj64ELj8ELj100EEvPKT0_PS4_S4_
; %bb.0:
	s_load_dword s0, s[4:5], 0x24
	s_load_dwordx4 s[16:19], s[4:5], 0x0
	s_load_dwordx2 s[20:21], s[4:5], 0x10
	v_mov_b32_e32 v23, 0
	v_mbcnt_lo_u32_b32 v9, -1, 0
	s_waitcnt lgkmcnt(0)
	s_and_b32 s0, s0, 0xffff
	s_mul_i32 s6, s6, s0
	v_add_lshl_u32 v22, s6, v0, 3
	v_lshlrev_b64 v[21:22], 3, v[22:23]
	v_mov_b32_e32 v1, s17
	v_add_co_u32_e32 v17, vcc, s16, v21
	v_mbcnt_hi_u32_b32 v9, -1, v9
	v_addc_co_u32_e32 v18, vcc, v1, v22, vcc
	v_and_b32_e32 v10, 15, v9
	v_cmp_ne_u32_e32 vcc, 0, v10
	v_cmp_lt_u32_e64 s[0:1], 1, v10
	v_cmp_lt_u32_e64 s[2:3], 3, v10
	;; [unrolled: 1-line block ×3, first 2 shown]
	v_and_b32_e32 v10, 16, v9
	v_cmp_ne_u32_e64 s[6:7], 0, v10
	v_subrev_co_u32_e64 v10, s[12:13], 1, v9
	v_and_b32_e32 v11, 64, v9
	v_cmp_lt_i32_e64 s[14:15], v10, v11
	v_cmp_lt_u32_e64 s[8:9], 31, v9
	v_cndmask_b32_e64 v9, v10, v9, s[14:15]
	global_load_dwordx4 v[1:4], v[17:18], off offset:48
	global_load_dwordx4 v[5:8], v[17:18], off offset:32
	v_lshlrev_b32_e32 v24, 2, v9
	global_load_dwordx4 v[9:12], v[17:18], off offset:16
	global_load_dwordx4 v[13:16], v[17:18], off
	v_cmp_eq_u32_e64 s[14:15], 0, v0
	v_cmp_eq_u32_e64 s[10:11], 63, v0
	s_or_b64 s[12:13], s[14:15], s[12:13]
	s_movk_i32 s16, 0x64
.LBB177_1:                              ; =>This Inner Loop Header: Depth=1
	s_waitcnt vmcnt(0)
	v_add_f64 v[17:18], v[15:16], v[13:14]
	v_add_f64 v[17:18], v[9:10], v[17:18]
	;; [unrolled: 1-line block ×7, first 2 shown]
	s_nop 1
	v_mov_b32_dpp v17, v3 row_shr:1 row_mask:0xf bank_mask:0xf
	v_mov_b32_dpp v18, v4 row_shr:1 row_mask:0xf bank_mask:0xf
	s_and_saveexec_b64 s[14:15], vcc
; %bb.2:                                ;   in Loop: Header=BB177_1 Depth=1
	v_add_f64 v[3:4], v[3:4], v[17:18]
; %bb.3:                                ;   in Loop: Header=BB177_1 Depth=1
	s_or_b64 exec, exec, s[14:15]
	s_nop 0
	v_mov_b32_dpp v17, v3 row_shr:2 row_mask:0xf bank_mask:0xf
	v_mov_b32_dpp v18, v4 row_shr:2 row_mask:0xf bank_mask:0xf
	s_and_saveexec_b64 s[14:15], s[0:1]
; %bb.4:                                ;   in Loop: Header=BB177_1 Depth=1
	v_add_f64 v[3:4], v[3:4], v[17:18]
; %bb.5:                                ;   in Loop: Header=BB177_1 Depth=1
	s_or_b64 exec, exec, s[14:15]
	s_nop 0
	v_mov_b32_dpp v17, v3 row_shr:4 row_mask:0xf bank_mask:0xf
	v_mov_b32_dpp v18, v4 row_shr:4 row_mask:0xf bank_mask:0xf
	s_and_saveexec_b64 s[14:15], s[2:3]
	;; [unrolled: 8-line block ×3, first 2 shown]
; %bb.8:                                ;   in Loop: Header=BB177_1 Depth=1
	v_add_f64 v[3:4], v[3:4], v[17:18]
; %bb.9:                                ;   in Loop: Header=BB177_1 Depth=1
	s_or_b64 exec, exec, s[14:15]
	s_nop 0
	v_mov_b32_dpp v17, v3 row_bcast:15 row_mask:0xf bank_mask:0xf
	v_mov_b32_dpp v18, v4 row_bcast:15 row_mask:0xf bank_mask:0xf
	s_and_saveexec_b64 s[14:15], s[6:7]
; %bb.10:                               ;   in Loop: Header=BB177_1 Depth=1
	v_add_f64 v[3:4], v[3:4], v[17:18]
; %bb.11:                               ;   in Loop: Header=BB177_1 Depth=1
	s_or_b64 exec, exec, s[14:15]
	s_nop 0
	v_mov_b32_dpp v17, v3 row_bcast:31 row_mask:0xf bank_mask:0xf
	v_mov_b32_dpp v18, v4 row_bcast:31 row_mask:0xf bank_mask:0xf
	v_add_f64 v[17:18], v[3:4], v[17:18]
	v_cndmask_b32_e64 v4, v4, v18, s[8:9]
	v_cndmask_b32_e64 v3, v3, v17, s[8:9]
	s_and_saveexec_b64 s[14:15], s[10:11]
; %bb.12:                               ;   in Loop: Header=BB177_1 Depth=1
	ds_write_b64 v23, v[3:4]
; %bb.13:                               ;   in Loop: Header=BB177_1 Depth=1
	s_or_b64 exec, exec, s[14:15]
	v_add_f64 v[3:4], s[20:21], v[3:4]
	v_mov_b32_e32 v17, s20
	s_add_i32 s16, s16, -1
	s_cmp_lg_u32 s16, 0
	s_waitcnt lgkmcnt(0)
	; wave barrier
	ds_bpermute_b32 v0, v24, v4
	ds_bpermute_b32 v3, v24, v3
	v_mov_b32_e32 v4, s21
	s_waitcnt lgkmcnt(1)
	v_cndmask_b32_e64 v18, v0, v4, s[12:13]
	s_waitcnt lgkmcnt(0)
	v_cndmask_b32_e64 v17, v3, v17, s[12:13]
	v_add_f64 v[19:20], v[13:14], v[17:18]
	v_add_f64 v[13:14], v[15:16], v[19:20]
	;; [unrolled: 1-line block ×7, first 2 shown]
	s_cbranch_scc0 .LBB177_15
; %bb.14:                               ;   in Loop: Header=BB177_1 Depth=1
	v_mov_b32_e32 v1, v5
	v_mov_b32_e32 v2, v6
	;; [unrolled: 1-line block ×14, first 2 shown]
	s_branch .LBB177_1
.LBB177_15:
	v_mov_b32_e32 v1, s19
	v_add_co_u32_e32 v0, vcc, s18, v21
	v_addc_co_u32_e32 v1, vcc, v1, v22, vcc
	v_mov_b32_e32 v7, v3
	v_mov_b32_e32 v8, v4
	global_store_dwordx4 v[0:1], v[17:20], off
	global_store_dwordx4 v[0:1], v[13:16], off offset:16
	global_store_dwordx4 v[0:1], v[9:12], off offset:32
	;; [unrolled: 1-line block ×3, first 2 shown]
	s_endpgm
	.section	.rodata,"a",@progbits
	.p2align	6, 0x0
	.amdhsa_kernel _Z6kernelI14exclusive_scanILN6hipcub18BlockScanAlgorithmE0EEdLj64ELj8ELj100EEvPKT0_PS4_S4_
		.amdhsa_group_segment_fixed_size 8
		.amdhsa_private_segment_fixed_size 0
		.amdhsa_kernarg_size 280
		.amdhsa_user_sgpr_count 6
		.amdhsa_user_sgpr_private_segment_buffer 1
		.amdhsa_user_sgpr_dispatch_ptr 0
		.amdhsa_user_sgpr_queue_ptr 0
		.amdhsa_user_sgpr_kernarg_segment_ptr 1
		.amdhsa_user_sgpr_dispatch_id 0
		.amdhsa_user_sgpr_flat_scratch_init 0
		.amdhsa_user_sgpr_private_segment_size 0
		.amdhsa_uses_dynamic_stack 0
		.amdhsa_system_sgpr_private_segment_wavefront_offset 0
		.amdhsa_system_sgpr_workgroup_id_x 1
		.amdhsa_system_sgpr_workgroup_id_y 0
		.amdhsa_system_sgpr_workgroup_id_z 0
		.amdhsa_system_sgpr_workgroup_info 0
		.amdhsa_system_vgpr_workitem_id 0
		.amdhsa_next_free_vgpr 25
		.amdhsa_next_free_sgpr 22
		.amdhsa_reserve_vcc 1
		.amdhsa_reserve_flat_scratch 0
		.amdhsa_float_round_mode_32 0
		.amdhsa_float_round_mode_16_64 0
		.amdhsa_float_denorm_mode_32 3
		.amdhsa_float_denorm_mode_16_64 3
		.amdhsa_dx10_clamp 1
		.amdhsa_ieee_mode 1
		.amdhsa_fp16_overflow 0
		.amdhsa_exception_fp_ieee_invalid_op 0
		.amdhsa_exception_fp_denorm_src 0
		.amdhsa_exception_fp_ieee_div_zero 0
		.amdhsa_exception_fp_ieee_overflow 0
		.amdhsa_exception_fp_ieee_underflow 0
		.amdhsa_exception_fp_ieee_inexact 0
		.amdhsa_exception_int_div_zero 0
	.end_amdhsa_kernel
	.section	.text._Z6kernelI14exclusive_scanILN6hipcub18BlockScanAlgorithmE0EEdLj64ELj8ELj100EEvPKT0_PS4_S4_,"axG",@progbits,_Z6kernelI14exclusive_scanILN6hipcub18BlockScanAlgorithmE0EEdLj64ELj8ELj100EEvPKT0_PS4_S4_,comdat
.Lfunc_end177:
	.size	_Z6kernelI14exclusive_scanILN6hipcub18BlockScanAlgorithmE0EEdLj64ELj8ELj100EEvPKT0_PS4_S4_, .Lfunc_end177-_Z6kernelI14exclusive_scanILN6hipcub18BlockScanAlgorithmE0EEdLj64ELj8ELj100EEvPKT0_PS4_S4_
                                        ; -- End function
	.set _Z6kernelI14exclusive_scanILN6hipcub18BlockScanAlgorithmE0EEdLj64ELj8ELj100EEvPKT0_PS4_S4_.num_vgpr, 25
	.set _Z6kernelI14exclusive_scanILN6hipcub18BlockScanAlgorithmE0EEdLj64ELj8ELj100EEvPKT0_PS4_S4_.num_agpr, 0
	.set _Z6kernelI14exclusive_scanILN6hipcub18BlockScanAlgorithmE0EEdLj64ELj8ELj100EEvPKT0_PS4_S4_.numbered_sgpr, 22
	.set _Z6kernelI14exclusive_scanILN6hipcub18BlockScanAlgorithmE0EEdLj64ELj8ELj100EEvPKT0_PS4_S4_.num_named_barrier, 0
	.set _Z6kernelI14exclusive_scanILN6hipcub18BlockScanAlgorithmE0EEdLj64ELj8ELj100EEvPKT0_PS4_S4_.private_seg_size, 0
	.set _Z6kernelI14exclusive_scanILN6hipcub18BlockScanAlgorithmE0EEdLj64ELj8ELj100EEvPKT0_PS4_S4_.uses_vcc, 1
	.set _Z6kernelI14exclusive_scanILN6hipcub18BlockScanAlgorithmE0EEdLj64ELj8ELj100EEvPKT0_PS4_S4_.uses_flat_scratch, 0
	.set _Z6kernelI14exclusive_scanILN6hipcub18BlockScanAlgorithmE0EEdLj64ELj8ELj100EEvPKT0_PS4_S4_.has_dyn_sized_stack, 0
	.set _Z6kernelI14exclusive_scanILN6hipcub18BlockScanAlgorithmE0EEdLj64ELj8ELj100EEvPKT0_PS4_S4_.has_recursion, 0
	.set _Z6kernelI14exclusive_scanILN6hipcub18BlockScanAlgorithmE0EEdLj64ELj8ELj100EEvPKT0_PS4_S4_.has_indirect_call, 0
	.section	.AMDGPU.csdata,"",@progbits
; Kernel info:
; codeLenInByte = 772
; TotalNumSgprs: 26
; NumVgprs: 25
; ScratchSize: 0
; MemoryBound: 0
; FloatMode: 240
; IeeeMode: 1
; LDSByteSize: 8 bytes/workgroup (compile time only)
; SGPRBlocks: 3
; VGPRBlocks: 6
; NumSGPRsForWavesPerEU: 26
; NumVGPRsForWavesPerEU: 25
; Occupancy: 9
; WaveLimiterHint : 0
; COMPUTE_PGM_RSRC2:SCRATCH_EN: 0
; COMPUTE_PGM_RSRC2:USER_SGPR: 6
; COMPUTE_PGM_RSRC2:TRAP_HANDLER: 0
; COMPUTE_PGM_RSRC2:TGID_X_EN: 1
; COMPUTE_PGM_RSRC2:TGID_Y_EN: 0
; COMPUTE_PGM_RSRC2:TGID_Z_EN: 0
; COMPUTE_PGM_RSRC2:TIDIG_COMP_CNT: 0
	.section	.text._Z6kernelI14exclusive_scanILN6hipcub18BlockScanAlgorithmE0EEdLj64ELj11ELj100EEvPKT0_PS4_S4_,"axG",@progbits,_Z6kernelI14exclusive_scanILN6hipcub18BlockScanAlgorithmE0EEdLj64ELj11ELj100EEvPKT0_PS4_S4_,comdat
	.protected	_Z6kernelI14exclusive_scanILN6hipcub18BlockScanAlgorithmE0EEdLj64ELj11ELj100EEvPKT0_PS4_S4_ ; -- Begin function _Z6kernelI14exclusive_scanILN6hipcub18BlockScanAlgorithmE0EEdLj64ELj11ELj100EEvPKT0_PS4_S4_
	.globl	_Z6kernelI14exclusive_scanILN6hipcub18BlockScanAlgorithmE0EEdLj64ELj11ELj100EEvPKT0_PS4_S4_
	.p2align	8
	.type	_Z6kernelI14exclusive_scanILN6hipcub18BlockScanAlgorithmE0EEdLj64ELj11ELj100EEvPKT0_PS4_S4_,@function
_Z6kernelI14exclusive_scanILN6hipcub18BlockScanAlgorithmE0EEdLj64ELj11ELj100EEvPKT0_PS4_S4_: ; @_Z6kernelI14exclusive_scanILN6hipcub18BlockScanAlgorithmE0EEdLj64ELj11ELj100EEvPKT0_PS4_S4_
; %bb.0:
	s_load_dword s0, s[4:5], 0x24
	s_load_dwordx4 s[16:19], s[4:5], 0x0
	v_mov_b32_e32 v2, 0
	s_load_dwordx2 s[20:21], s[4:5], 0x10
	v_cmp_eq_u32_e64 s[14:15], 0, v0
	s_waitcnt lgkmcnt(0)
	s_and_b32 s0, s0, 0xffff
	s_mul_i32 s6, s6, s0
	v_add_u32_e32 v1, s6, v0
	v_mul_lo_u32 v1, v1, 11
	v_mov_b32_e32 v4, s17
	v_mov_b32_e32 v25, s17
	v_lshlrev_b64 v[23:24], 3, v[1:2]
	v_add_u32_e32 v3, 1, v1
	v_add_co_u32_e32 v41, vcc, s16, v23
	v_addc_co_u32_e32 v42, vcc, v4, v24, vcc
	v_mov_b32_e32 v4, v2
	v_lshlrev_b64 v[21:22], 3, v[3:4]
	v_mov_b32_e32 v3, s17
	v_add_co_u32_e32 v45, vcc, s16, v21
	v_addc_co_u32_e32 v46, vcc, v3, v22, vcc
	v_add_u32_e32 v3, 2, v1
	v_lshlrev_b64 v[19:20], 3, v[3:4]
	v_mov_b32_e32 v3, s17
	v_add_co_u32_e32 v47, vcc, s16, v19
	v_addc_co_u32_e32 v48, vcc, v3, v20, vcc
	v_add_u32_e32 v3, 3, v1
	;; [unrolled: 5-line block ×8, first 2 shown]
	v_lshlrev_b64 v[5:6], 3, v[3:4]
	v_mov_b32_e32 v3, s17
	v_add_co_u32_e32 v61, vcc, s16, v5
	v_add_u32_e32 v1, 10, v1
	v_addc_co_u32_e32 v62, vcc, v3, v6, vcc
	v_lshlrev_b64 v[3:4], 3, v[1:2]
	v_mbcnt_lo_u32_b32 v1, -1, 0
	v_add_co_u32_e32 v63, vcc, s16, v3
	v_addc_co_u32_e32 v64, vcc, v25, v4, vcc
	global_load_dwordx2 v[43:44], v[41:42], off
	global_load_dwordx2 v[39:40], v[45:46], off
	;; [unrolled: 1-line block ×9, first 2 shown]
                                        ; kill: killed $vgpr41 killed $vgpr42
                                        ; kill: killed $vgpr47 killed $vgpr48
                                        ; kill: killed $vgpr49 killed $vgpr50
                                        ; kill: killed $vgpr53 killed $vgpr54
                                        ; kill: killed $vgpr57 killed $vgpr58
                                        ; kill: killed $vgpr45 killed $vgpr46
                                        ; kill: killed $vgpr51 killed $vgpr52
                                        ; kill: killed $vgpr55 killed $vgpr56
                                        ; kill: killed $vgpr59 killed $vgpr60
	global_load_dwordx2 v[41:42], v[61:62], off
	global_load_dwordx2 v[45:46], v[63:64], off
	v_mbcnt_hi_u32_b32 v1, -1, v1
	v_and_b32_e32 v47, 15, v1
	v_cmp_ne_u32_e32 vcc, 0, v47
	v_cmp_lt_u32_e64 s[0:1], 1, v47
	v_cmp_lt_u32_e64 s[2:3], 3, v47
	;; [unrolled: 1-line block ×3, first 2 shown]
	v_and_b32_e32 v47, 16, v1
	v_cmp_ne_u32_e64 s[6:7], 0, v47
	v_subrev_co_u32_e64 v47, s[12:13], 1, v1
	v_and_b32_e32 v48, 64, v1
	v_cmp_lt_i32_e64 s[10:11], v47, v48
	v_cmp_lt_u32_e64 s[8:9], 31, v1
	v_cndmask_b32_e64 v1, v47, v1, s[10:11]
	v_cmp_eq_u32_e64 s[10:11], 63, v0
	v_lshlrev_b32_e32 v49, 2, v1
	s_or_b64 s[12:13], s[14:15], s[12:13]
	s_movk_i32 s16, 0x64
.LBB178_1:                              ; =>This Inner Loop Header: Depth=1
	s_waitcnt vmcnt(9)
	v_add_f64 v[0:1], v[39:40], v[43:44]
	s_waitcnt vmcnt(8)
	v_add_f64 v[0:1], v[37:38], v[0:1]
	;; [unrolled: 2-line block ×10, first 2 shown]
	s_nop 1
	v_mov_b32_dpp v45, v0 row_shr:1 row_mask:0xf bank_mask:0xf
	v_mov_b32_dpp v46, v1 row_shr:1 row_mask:0xf bank_mask:0xf
	s_and_saveexec_b64 s[14:15], vcc
; %bb.2:                                ;   in Loop: Header=BB178_1 Depth=1
	v_add_f64 v[0:1], v[0:1], v[45:46]
; %bb.3:                                ;   in Loop: Header=BB178_1 Depth=1
	s_or_b64 exec, exec, s[14:15]
	s_nop 0
	v_mov_b32_dpp v45, v0 row_shr:2 row_mask:0xf bank_mask:0xf
	v_mov_b32_dpp v46, v1 row_shr:2 row_mask:0xf bank_mask:0xf
	s_and_saveexec_b64 s[14:15], s[0:1]
; %bb.4:                                ;   in Loop: Header=BB178_1 Depth=1
	v_add_f64 v[0:1], v[0:1], v[45:46]
; %bb.5:                                ;   in Loop: Header=BB178_1 Depth=1
	s_or_b64 exec, exec, s[14:15]
	s_nop 0
	v_mov_b32_dpp v45, v0 row_shr:4 row_mask:0xf bank_mask:0xf
	v_mov_b32_dpp v46, v1 row_shr:4 row_mask:0xf bank_mask:0xf
	s_and_saveexec_b64 s[14:15], s[2:3]
	;; [unrolled: 8-line block ×3, first 2 shown]
; %bb.8:                                ;   in Loop: Header=BB178_1 Depth=1
	v_add_f64 v[0:1], v[0:1], v[45:46]
; %bb.9:                                ;   in Loop: Header=BB178_1 Depth=1
	s_or_b64 exec, exec, s[14:15]
	s_nop 0
	v_mov_b32_dpp v45, v0 row_bcast:15 row_mask:0xf bank_mask:0xf
	v_mov_b32_dpp v46, v1 row_bcast:15 row_mask:0xf bank_mask:0xf
	s_and_saveexec_b64 s[14:15], s[6:7]
; %bb.10:                               ;   in Loop: Header=BB178_1 Depth=1
	v_add_f64 v[0:1], v[0:1], v[45:46]
; %bb.11:                               ;   in Loop: Header=BB178_1 Depth=1
	s_or_b64 exec, exec, s[14:15]
	s_nop 0
	v_mov_b32_dpp v45, v0 row_bcast:31 row_mask:0xf bank_mask:0xf
	v_mov_b32_dpp v46, v1 row_bcast:31 row_mask:0xf bank_mask:0xf
	v_add_f64 v[45:46], v[0:1], v[45:46]
	v_cndmask_b32_e64 v1, v1, v46, s[8:9]
	v_cndmask_b32_e64 v0, v0, v45, s[8:9]
	s_and_saveexec_b64 s[14:15], s[10:11]
; %bb.12:                               ;   in Loop: Header=BB178_1 Depth=1
	ds_write_b64 v2, v[0:1]
; %bb.13:                               ;   in Loop: Header=BB178_1 Depth=1
	s_or_b64 exec, exec, s[14:15]
	v_add_f64 v[0:1], s[20:21], v[0:1]
	v_mov_b32_e32 v45, s21
	v_mov_b32_e32 v46, s20
	s_add_i32 s16, s16, -1
	s_cmp_lg_u32 s16, 0
	s_waitcnt lgkmcnt(0)
	; wave barrier
	ds_bpermute_b32 v1, v49, v1
	ds_bpermute_b32 v0, v49, v0
	s_waitcnt lgkmcnt(1)
	v_cndmask_b32_e64 v48, v1, v45, s[12:13]
	s_waitcnt lgkmcnt(0)
	v_cndmask_b32_e64 v47, v0, v46, s[12:13]
	v_add_f64 v[43:44], v[43:44], v[47:48]
	v_add_f64 v[39:40], v[39:40], v[43:44]
	;; [unrolled: 1-line block ×10, first 2 shown]
	s_cbranch_scc0 .LBB178_15
; %bb.14:                               ;   in Loop: Header=BB178_1 Depth=1
	v_mov_b32_e32 v25, v27
	v_mov_b32_e32 v26, v28
	v_mov_b32_e32 v27, v29
	v_mov_b32_e32 v28, v30
	v_mov_b32_e32 v29, v31
	v_mov_b32_e32 v30, v32
	v_mov_b32_e32 v31, v33
	v_mov_b32_e32 v32, v34
	v_mov_b32_e32 v33, v35
	v_mov_b32_e32 v34, v36
	v_mov_b32_e32 v35, v37
	v_mov_b32_e32 v36, v38
	v_mov_b32_e32 v37, v39
	v_mov_b32_e32 v38, v40
	v_mov_b32_e32 v39, v43
	v_mov_b32_e32 v42, v1
	v_mov_b32_e32 v40, v44
	v_mov_b32_e32 v43, v47
	v_mov_b32_e32 v41, v0
	v_mov_b32_e32 v44, v48
	s_branch .LBB178_1
.LBB178_15:
	v_mov_b32_e32 v2, s19
	v_add_co_u32_e32 v23, vcc, s18, v23
	v_addc_co_u32_e32 v24, vcc, v2, v24, vcc
	v_add_co_u32_e32 v21, vcc, s18, v21
	v_addc_co_u32_e32 v22, vcc, v2, v22, vcc
	;; [unrolled: 2-line block ×10, first 2 shown]
	global_store_dwordx2 v[5:6], v[0:1], off
	v_mov_b32_e32 v1, s19
	v_add_co_u32_e32 v0, vcc, s18, v3
	v_addc_co_u32_e32 v1, vcc, v1, v4, vcc
	global_store_dwordx2 v[23:24], v[47:48], off
	global_store_dwordx2 v[21:22], v[43:44], off
	;; [unrolled: 1-line block ×10, first 2 shown]
	s_endpgm
	.section	.rodata,"a",@progbits
	.p2align	6, 0x0
	.amdhsa_kernel _Z6kernelI14exclusive_scanILN6hipcub18BlockScanAlgorithmE0EEdLj64ELj11ELj100EEvPKT0_PS4_S4_
		.amdhsa_group_segment_fixed_size 8
		.amdhsa_private_segment_fixed_size 0
		.amdhsa_kernarg_size 280
		.amdhsa_user_sgpr_count 6
		.amdhsa_user_sgpr_private_segment_buffer 1
		.amdhsa_user_sgpr_dispatch_ptr 0
		.amdhsa_user_sgpr_queue_ptr 0
		.amdhsa_user_sgpr_kernarg_segment_ptr 1
		.amdhsa_user_sgpr_dispatch_id 0
		.amdhsa_user_sgpr_flat_scratch_init 0
		.amdhsa_user_sgpr_private_segment_size 0
		.amdhsa_uses_dynamic_stack 0
		.amdhsa_system_sgpr_private_segment_wavefront_offset 0
		.amdhsa_system_sgpr_workgroup_id_x 1
		.amdhsa_system_sgpr_workgroup_id_y 0
		.amdhsa_system_sgpr_workgroup_id_z 0
		.amdhsa_system_sgpr_workgroup_info 0
		.amdhsa_system_vgpr_workitem_id 0
		.amdhsa_next_free_vgpr 65
		.amdhsa_next_free_sgpr 22
		.amdhsa_reserve_vcc 1
		.amdhsa_reserve_flat_scratch 0
		.amdhsa_float_round_mode_32 0
		.amdhsa_float_round_mode_16_64 0
		.amdhsa_float_denorm_mode_32 3
		.amdhsa_float_denorm_mode_16_64 3
		.amdhsa_dx10_clamp 1
		.amdhsa_ieee_mode 1
		.amdhsa_fp16_overflow 0
		.amdhsa_exception_fp_ieee_invalid_op 0
		.amdhsa_exception_fp_denorm_src 0
		.amdhsa_exception_fp_ieee_div_zero 0
		.amdhsa_exception_fp_ieee_overflow 0
		.amdhsa_exception_fp_ieee_underflow 0
		.amdhsa_exception_fp_ieee_inexact 0
		.amdhsa_exception_int_div_zero 0
	.end_amdhsa_kernel
	.section	.text._Z6kernelI14exclusive_scanILN6hipcub18BlockScanAlgorithmE0EEdLj64ELj11ELj100EEvPKT0_PS4_S4_,"axG",@progbits,_Z6kernelI14exclusive_scanILN6hipcub18BlockScanAlgorithmE0EEdLj64ELj11ELj100EEvPKT0_PS4_S4_,comdat
.Lfunc_end178:
	.size	_Z6kernelI14exclusive_scanILN6hipcub18BlockScanAlgorithmE0EEdLj64ELj11ELj100EEvPKT0_PS4_S4_, .Lfunc_end178-_Z6kernelI14exclusive_scanILN6hipcub18BlockScanAlgorithmE0EEdLj64ELj11ELj100EEvPKT0_PS4_S4_
                                        ; -- End function
	.set _Z6kernelI14exclusive_scanILN6hipcub18BlockScanAlgorithmE0EEdLj64ELj11ELj100EEvPKT0_PS4_S4_.num_vgpr, 65
	.set _Z6kernelI14exclusive_scanILN6hipcub18BlockScanAlgorithmE0EEdLj64ELj11ELj100EEvPKT0_PS4_S4_.num_agpr, 0
	.set _Z6kernelI14exclusive_scanILN6hipcub18BlockScanAlgorithmE0EEdLj64ELj11ELj100EEvPKT0_PS4_S4_.numbered_sgpr, 22
	.set _Z6kernelI14exclusive_scanILN6hipcub18BlockScanAlgorithmE0EEdLj64ELj11ELj100EEvPKT0_PS4_S4_.num_named_barrier, 0
	.set _Z6kernelI14exclusive_scanILN6hipcub18BlockScanAlgorithmE0EEdLj64ELj11ELj100EEvPKT0_PS4_S4_.private_seg_size, 0
	.set _Z6kernelI14exclusive_scanILN6hipcub18BlockScanAlgorithmE0EEdLj64ELj11ELj100EEvPKT0_PS4_S4_.uses_vcc, 1
	.set _Z6kernelI14exclusive_scanILN6hipcub18BlockScanAlgorithmE0EEdLj64ELj11ELj100EEvPKT0_PS4_S4_.uses_flat_scratch, 0
	.set _Z6kernelI14exclusive_scanILN6hipcub18BlockScanAlgorithmE0EEdLj64ELj11ELj100EEvPKT0_PS4_S4_.has_dyn_sized_stack, 0
	.set _Z6kernelI14exclusive_scanILN6hipcub18BlockScanAlgorithmE0EEdLj64ELj11ELj100EEvPKT0_PS4_S4_.has_recursion, 0
	.set _Z6kernelI14exclusive_scanILN6hipcub18BlockScanAlgorithmE0EEdLj64ELj11ELj100EEvPKT0_PS4_S4_.has_indirect_call, 0
	.section	.AMDGPU.csdata,"",@progbits
; Kernel info:
; codeLenInByte = 1316
; TotalNumSgprs: 26
; NumVgprs: 65
; ScratchSize: 0
; MemoryBound: 0
; FloatMode: 240
; IeeeMode: 1
; LDSByteSize: 8 bytes/workgroup (compile time only)
; SGPRBlocks: 3
; VGPRBlocks: 16
; NumSGPRsForWavesPerEU: 26
; NumVGPRsForWavesPerEU: 65
; Occupancy: 3
; WaveLimiterHint : 0
; COMPUTE_PGM_RSRC2:SCRATCH_EN: 0
; COMPUTE_PGM_RSRC2:USER_SGPR: 6
; COMPUTE_PGM_RSRC2:TRAP_HANDLER: 0
; COMPUTE_PGM_RSRC2:TGID_X_EN: 1
; COMPUTE_PGM_RSRC2:TGID_Y_EN: 0
; COMPUTE_PGM_RSRC2:TGID_Z_EN: 0
; COMPUTE_PGM_RSRC2:TIDIG_COMP_CNT: 0
	.section	.text._Z6kernelI14exclusive_scanILN6hipcub18BlockScanAlgorithmE0EEdLj64ELj16ELj100EEvPKT0_PS4_S4_,"axG",@progbits,_Z6kernelI14exclusive_scanILN6hipcub18BlockScanAlgorithmE0EEdLj64ELj16ELj100EEvPKT0_PS4_S4_,comdat
	.protected	_Z6kernelI14exclusive_scanILN6hipcub18BlockScanAlgorithmE0EEdLj64ELj16ELj100EEvPKT0_PS4_S4_ ; -- Begin function _Z6kernelI14exclusive_scanILN6hipcub18BlockScanAlgorithmE0EEdLj64ELj16ELj100EEvPKT0_PS4_S4_
	.globl	_Z6kernelI14exclusive_scanILN6hipcub18BlockScanAlgorithmE0EEdLj64ELj16ELj100EEvPKT0_PS4_S4_
	.p2align	8
	.type	_Z6kernelI14exclusive_scanILN6hipcub18BlockScanAlgorithmE0EEdLj64ELj16ELj100EEvPKT0_PS4_S4_,@function
_Z6kernelI14exclusive_scanILN6hipcub18BlockScanAlgorithmE0EEdLj64ELj16ELj100EEvPKT0_PS4_S4_: ; @_Z6kernelI14exclusive_scanILN6hipcub18BlockScanAlgorithmE0EEdLj64ELj16ELj100EEvPKT0_PS4_S4_
; %bb.0:
	s_load_dword s0, s[4:5], 0x24
	s_load_dwordx4 s[16:19], s[4:5], 0x0
	s_load_dwordx2 s[20:21], s[4:5], 0x10
	v_mov_b32_e32 v47, 0
	v_mbcnt_lo_u32_b32 v9, -1, 0
	s_waitcnt lgkmcnt(0)
	s_and_b32 s0, s0, 0xffff
	s_mul_i32 s6, s6, s0
	v_add_lshl_u32 v46, s6, v0, 4
	v_lshlrev_b64 v[45:46], 3, v[46:47]
	v_mov_b32_e32 v1, s17
	v_add_co_u32_e32 v33, vcc, s16, v45
	v_mbcnt_hi_u32_b32 v9, -1, v9
	v_addc_co_u32_e32 v34, vcc, v1, v46, vcc
	v_and_b32_e32 v10, 15, v9
	v_cmp_ne_u32_e32 vcc, 0, v10
	v_cmp_lt_u32_e64 s[0:1], 1, v10
	v_cmp_lt_u32_e64 s[2:3], 3, v10
	;; [unrolled: 1-line block ×3, first 2 shown]
	v_and_b32_e32 v10, 16, v9
	v_cmp_ne_u32_e64 s[6:7], 0, v10
	v_subrev_co_u32_e64 v10, s[12:13], 1, v9
	v_and_b32_e32 v11, 64, v9
	v_cmp_lt_i32_e64 s[14:15], v10, v11
	v_cmp_lt_u32_e64 s[8:9], 31, v9
	v_cndmask_b32_e64 v9, v10, v9, s[14:15]
	global_load_dwordx4 v[1:4], v[33:34], off offset:48
	global_load_dwordx4 v[5:8], v[33:34], off offset:32
	v_lshlrev_b32_e32 v48, 2, v9
	global_load_dwordx4 v[25:28], v[33:34], off offset:16
	global_load_dwordx4 v[29:32], v[33:34], off
	global_load_dwordx4 v[9:12], v[33:34], off offset:112
	global_load_dwordx4 v[13:16], v[33:34], off offset:96
	;; [unrolled: 1-line block ×4, first 2 shown]
	v_cmp_eq_u32_e64 s[14:15], 0, v0
	v_cmp_eq_u32_e64 s[10:11], 63, v0
	s_or_b64 s[12:13], s[14:15], s[12:13]
	s_movk_i32 s16, 0x64
.LBB179_1:                              ; =>This Inner Loop Header: Depth=1
	s_waitcnt vmcnt(4)
	v_add_f64 v[33:34], v[31:32], v[29:30]
	v_add_f64 v[33:34], v[25:26], v[33:34]
	;; [unrolled: 1-line block ×7, first 2 shown]
	s_waitcnt vmcnt(0)
	v_add_f64 v[33:34], v[21:22], v[33:34]
	v_add_f64 v[33:34], v[23:24], v[33:34]
	;; [unrolled: 1-line block ×8, first 2 shown]
	s_nop 1
	v_mov_b32_dpp v33, v11 row_shr:1 row_mask:0xf bank_mask:0xf
	v_mov_b32_dpp v34, v12 row_shr:1 row_mask:0xf bank_mask:0xf
	s_and_saveexec_b64 s[14:15], vcc
; %bb.2:                                ;   in Loop: Header=BB179_1 Depth=1
	v_add_f64 v[11:12], v[11:12], v[33:34]
; %bb.3:                                ;   in Loop: Header=BB179_1 Depth=1
	s_or_b64 exec, exec, s[14:15]
	s_nop 0
	v_mov_b32_dpp v33, v11 row_shr:2 row_mask:0xf bank_mask:0xf
	v_mov_b32_dpp v34, v12 row_shr:2 row_mask:0xf bank_mask:0xf
	s_and_saveexec_b64 s[14:15], s[0:1]
; %bb.4:                                ;   in Loop: Header=BB179_1 Depth=1
	v_add_f64 v[11:12], v[11:12], v[33:34]
; %bb.5:                                ;   in Loop: Header=BB179_1 Depth=1
	s_or_b64 exec, exec, s[14:15]
	s_nop 0
	v_mov_b32_dpp v33, v11 row_shr:4 row_mask:0xf bank_mask:0xf
	v_mov_b32_dpp v34, v12 row_shr:4 row_mask:0xf bank_mask:0xf
	s_and_saveexec_b64 s[14:15], s[2:3]
	;; [unrolled: 8-line block ×3, first 2 shown]
; %bb.8:                                ;   in Loop: Header=BB179_1 Depth=1
	v_add_f64 v[11:12], v[11:12], v[33:34]
; %bb.9:                                ;   in Loop: Header=BB179_1 Depth=1
	s_or_b64 exec, exec, s[14:15]
	s_nop 0
	v_mov_b32_dpp v33, v11 row_bcast:15 row_mask:0xf bank_mask:0xf
	v_mov_b32_dpp v34, v12 row_bcast:15 row_mask:0xf bank_mask:0xf
	s_and_saveexec_b64 s[14:15], s[6:7]
; %bb.10:                               ;   in Loop: Header=BB179_1 Depth=1
	v_add_f64 v[11:12], v[11:12], v[33:34]
; %bb.11:                               ;   in Loop: Header=BB179_1 Depth=1
	s_or_b64 exec, exec, s[14:15]
	s_nop 0
	v_mov_b32_dpp v33, v11 row_bcast:31 row_mask:0xf bank_mask:0xf
	v_mov_b32_dpp v34, v12 row_bcast:31 row_mask:0xf bank_mask:0xf
	v_add_f64 v[33:34], v[11:12], v[33:34]
	v_cndmask_b32_e64 v12, v12, v34, s[8:9]
	v_cndmask_b32_e64 v11, v11, v33, s[8:9]
	s_and_saveexec_b64 s[14:15], s[10:11]
; %bb.12:                               ;   in Loop: Header=BB179_1 Depth=1
	ds_write_b64 v47, v[11:12]
; %bb.13:                               ;   in Loop: Header=BB179_1 Depth=1
	s_or_b64 exec, exec, s[14:15]
	v_add_f64 v[11:12], s[20:21], v[11:12]
	v_mov_b32_e32 v33, s20
	s_add_i32 s16, s16, -1
	s_cmp_lg_u32 s16, 0
	s_waitcnt lgkmcnt(0)
	; wave barrier
	ds_bpermute_b32 v0, v48, v12
	ds_bpermute_b32 v11, v48, v11
	v_mov_b32_e32 v12, s21
	s_waitcnt lgkmcnt(1)
	v_cndmask_b32_e64 v34, v0, v12, s[12:13]
	s_waitcnt lgkmcnt(0)
	v_cndmask_b32_e64 v33, v11, v33, s[12:13]
	v_add_f64 v[35:36], v[29:30], v[33:34]
	v_add_f64 v[41:42], v[31:32], v[35:36]
	;; [unrolled: 1-line block ×15, first 2 shown]
	s_cbranch_scc0 .LBB179_15
; %bb.14:                               ;   in Loop: Header=BB179_1 Depth=1
	v_mov_b32_e32 v10, v1
	v_mov_b32_e32 v16, v5
	v_mov_b32_e32 v14, v3
	v_mov_b32_e32 v19, v23
	v_mov_b32_e32 v17, v21
	v_mov_b32_e32 v9, v0
	v_mov_b32_e32 v15, v4
	v_mov_b32_e32 v13, v2
	v_mov_b32_e32 v20, v24
	v_mov_b32_e32 v18, v22
	v_mov_b32_e32 v23, v27
	v_mov_b32_e32 v21, v25
	v_mov_b32_e32 v3, v31
	v_mov_b32_e32 v1, v29
	v_mov_b32_e32 v24, v28
	v_mov_b32_e32 v22, v26
	v_mov_b32_e32 v4, v32
	v_mov_b32_e32 v2, v30
	v_mov_b32_e32 v7, v39
	v_mov_b32_e32 v5, v37
	v_mov_b32_e32 v27, v43
	v_mov_b32_e32 v25, v41
	v_mov_b32_e32 v31, v35
	v_mov_b32_e32 v29, v33
	v_mov_b32_e32 v8, v40
	v_mov_b32_e32 v6, v38
	v_mov_b32_e32 v28, v44
	v_mov_b32_e32 v26, v42
	v_mov_b32_e32 v32, v36
	v_mov_b32_e32 v30, v34
	s_branch .LBB179_1
.LBB179_15:
	v_mov_b32_e32 v7, s19
	v_add_co_u32_e32 v6, vcc, s18, v45
	v_addc_co_u32_e32 v7, vcc, v7, v46, vcc
	global_store_dwordx4 v[6:7], v[33:36], off
	global_store_dwordx4 v[6:7], v[41:44], off offset:16
	global_store_dwordx4 v[6:7], v[37:40], off offset:32
	;; [unrolled: 1-line block ×6, first 2 shown]
	s_nop 0
	v_mov_b32_e32 v2, v11
	v_mov_b32_e32 v3, v12
	global_store_dwordx4 v[6:7], v[0:3], off offset:112
	s_endpgm
	.section	.rodata,"a",@progbits
	.p2align	6, 0x0
	.amdhsa_kernel _Z6kernelI14exclusive_scanILN6hipcub18BlockScanAlgorithmE0EEdLj64ELj16ELj100EEvPKT0_PS4_S4_
		.amdhsa_group_segment_fixed_size 8
		.amdhsa_private_segment_fixed_size 0
		.amdhsa_kernarg_size 280
		.amdhsa_user_sgpr_count 6
		.amdhsa_user_sgpr_private_segment_buffer 1
		.amdhsa_user_sgpr_dispatch_ptr 0
		.amdhsa_user_sgpr_queue_ptr 0
		.amdhsa_user_sgpr_kernarg_segment_ptr 1
		.amdhsa_user_sgpr_dispatch_id 0
		.amdhsa_user_sgpr_flat_scratch_init 0
		.amdhsa_user_sgpr_private_segment_size 0
		.amdhsa_uses_dynamic_stack 0
		.amdhsa_system_sgpr_private_segment_wavefront_offset 0
		.amdhsa_system_sgpr_workgroup_id_x 1
		.amdhsa_system_sgpr_workgroup_id_y 0
		.amdhsa_system_sgpr_workgroup_id_z 0
		.amdhsa_system_sgpr_workgroup_info 0
		.amdhsa_system_vgpr_workitem_id 0
		.amdhsa_next_free_vgpr 49
		.amdhsa_next_free_sgpr 22
		.amdhsa_reserve_vcc 1
		.amdhsa_reserve_flat_scratch 0
		.amdhsa_float_round_mode_32 0
		.amdhsa_float_round_mode_16_64 0
		.amdhsa_float_denorm_mode_32 3
		.amdhsa_float_denorm_mode_16_64 3
		.amdhsa_dx10_clamp 1
		.amdhsa_ieee_mode 1
		.amdhsa_fp16_overflow 0
		.amdhsa_exception_fp_ieee_invalid_op 0
		.amdhsa_exception_fp_denorm_src 0
		.amdhsa_exception_fp_ieee_div_zero 0
		.amdhsa_exception_fp_ieee_overflow 0
		.amdhsa_exception_fp_ieee_underflow 0
		.amdhsa_exception_fp_ieee_inexact 0
		.amdhsa_exception_int_div_zero 0
	.end_amdhsa_kernel
	.section	.text._Z6kernelI14exclusive_scanILN6hipcub18BlockScanAlgorithmE0EEdLj64ELj16ELj100EEvPKT0_PS4_S4_,"axG",@progbits,_Z6kernelI14exclusive_scanILN6hipcub18BlockScanAlgorithmE0EEdLj64ELj16ELj100EEvPKT0_PS4_S4_,comdat
.Lfunc_end179:
	.size	_Z6kernelI14exclusive_scanILN6hipcub18BlockScanAlgorithmE0EEdLj64ELj16ELj100EEvPKT0_PS4_S4_, .Lfunc_end179-_Z6kernelI14exclusive_scanILN6hipcub18BlockScanAlgorithmE0EEdLj64ELj16ELj100EEvPKT0_PS4_S4_
                                        ; -- End function
	.set _Z6kernelI14exclusive_scanILN6hipcub18BlockScanAlgorithmE0EEdLj64ELj16ELj100EEvPKT0_PS4_S4_.num_vgpr, 49
	.set _Z6kernelI14exclusive_scanILN6hipcub18BlockScanAlgorithmE0EEdLj64ELj16ELj100EEvPKT0_PS4_S4_.num_agpr, 0
	.set _Z6kernelI14exclusive_scanILN6hipcub18BlockScanAlgorithmE0EEdLj64ELj16ELj100EEvPKT0_PS4_S4_.numbered_sgpr, 22
	.set _Z6kernelI14exclusive_scanILN6hipcub18BlockScanAlgorithmE0EEdLj64ELj16ELj100EEvPKT0_PS4_S4_.num_named_barrier, 0
	.set _Z6kernelI14exclusive_scanILN6hipcub18BlockScanAlgorithmE0EEdLj64ELj16ELj100EEvPKT0_PS4_S4_.private_seg_size, 0
	.set _Z6kernelI14exclusive_scanILN6hipcub18BlockScanAlgorithmE0EEdLj64ELj16ELj100EEvPKT0_PS4_S4_.uses_vcc, 1
	.set _Z6kernelI14exclusive_scanILN6hipcub18BlockScanAlgorithmE0EEdLj64ELj16ELj100EEvPKT0_PS4_S4_.uses_flat_scratch, 0
	.set _Z6kernelI14exclusive_scanILN6hipcub18BlockScanAlgorithmE0EEdLj64ELj16ELj100EEvPKT0_PS4_S4_.has_dyn_sized_stack, 0
	.set _Z6kernelI14exclusive_scanILN6hipcub18BlockScanAlgorithmE0EEdLj64ELj16ELj100EEvPKT0_PS4_S4_.has_recursion, 0
	.set _Z6kernelI14exclusive_scanILN6hipcub18BlockScanAlgorithmE0EEdLj64ELj16ELj100EEvPKT0_PS4_S4_.has_indirect_call, 0
	.section	.AMDGPU.csdata,"",@progbits
; Kernel info:
; codeLenInByte = 1036
; TotalNumSgprs: 26
; NumVgprs: 49
; ScratchSize: 0
; MemoryBound: 1
; FloatMode: 240
; IeeeMode: 1
; LDSByteSize: 8 bytes/workgroup (compile time only)
; SGPRBlocks: 3
; VGPRBlocks: 12
; NumSGPRsForWavesPerEU: 26
; NumVGPRsForWavesPerEU: 49
; Occupancy: 4
; WaveLimiterHint : 0
; COMPUTE_PGM_RSRC2:SCRATCH_EN: 0
; COMPUTE_PGM_RSRC2:USER_SGPR: 6
; COMPUTE_PGM_RSRC2:TRAP_HANDLER: 0
; COMPUTE_PGM_RSRC2:TGID_X_EN: 1
; COMPUTE_PGM_RSRC2:TGID_Y_EN: 0
; COMPUTE_PGM_RSRC2:TGID_Z_EN: 0
; COMPUTE_PGM_RSRC2:TIDIG_COMP_CNT: 0
	.section	.text._Z6kernelI14exclusive_scanILN6hipcub18BlockScanAlgorithmE0EEhLj64ELj1ELj100EEvPKT0_PS4_S4_,"axG",@progbits,_Z6kernelI14exclusive_scanILN6hipcub18BlockScanAlgorithmE0EEhLj64ELj1ELj100EEvPKT0_PS4_S4_,comdat
	.protected	_Z6kernelI14exclusive_scanILN6hipcub18BlockScanAlgorithmE0EEhLj64ELj1ELj100EEvPKT0_PS4_S4_ ; -- Begin function _Z6kernelI14exclusive_scanILN6hipcub18BlockScanAlgorithmE0EEhLj64ELj1ELj100EEvPKT0_PS4_S4_
	.globl	_Z6kernelI14exclusive_scanILN6hipcub18BlockScanAlgorithmE0EEhLj64ELj1ELj100EEvPKT0_PS4_S4_
	.p2align	8
	.type	_Z6kernelI14exclusive_scanILN6hipcub18BlockScanAlgorithmE0EEhLj64ELj1ELj100EEvPKT0_PS4_S4_,@function
_Z6kernelI14exclusive_scanILN6hipcub18BlockScanAlgorithmE0EEhLj64ELj1ELj100EEvPKT0_PS4_S4_: ; @_Z6kernelI14exclusive_scanILN6hipcub18BlockScanAlgorithmE0EEhLj64ELj1ELj100EEvPKT0_PS4_S4_
; %bb.0:
	s_load_dword s0, s[4:5], 0x24
	s_load_dwordx4 s[16:19], s[4:5], 0x0
	s_load_dword s20, s[4:5], 0x10
	v_mbcnt_lo_u32_b32 v3, -1, 0
	v_mbcnt_hi_u32_b32 v3, -1, v3
	s_waitcnt lgkmcnt(0)
	s_and_b32 s0, s0, 0xffff
	s_mul_i32 s6, s6, s0
	v_add_u32_e32 v1, s6, v0
	global_load_ubyte v4, v1, s[16:17]
	v_and_b32_e32 v5, 15, v3
	v_cmp_eq_u32_e32 vcc, 0, v5
	v_cmp_lt_u32_e64 s[0:1], 1, v5
	v_cmp_lt_u32_e64 s[2:3], 3, v5
	;; [unrolled: 1-line block ×3, first 2 shown]
	v_and_b32_e32 v5, 16, v3
	v_cmp_eq_u32_e64 s[6:7], 0, v5
	v_cmp_eq_u32_e64 s[10:11], 63, v0
	v_subrev_co_u32_e64 v0, s[12:13], 1, v3
	v_and_b32_e32 v5, 64, v3
	v_cmp_lt_i32_e64 s[14:15], v0, v5
	v_cndmask_b32_e64 v0, v0, v3, s[14:15]
	v_mov_b32_e32 v2, 0
	v_cmp_lt_u32_e64 s[8:9], 31, v3
	v_lshlrev_b32_e32 v0, 2, v0
	s_movk_i32 s16, 0x64
	v_mov_b32_e32 v3, s20
	s_branch .LBB180_2
.LBB180_1:                              ;   in Loop: Header=BB180_2 Depth=1
	s_or_b64 exec, exec, s[14:15]
	v_add_u16_e32 v4, s20, v4
	v_and_b32_e32 v4, 0xff, v4
	ds_bpermute_b32 v4, v0, v4
	s_add_i32 s16, s16, -1
	s_cmp_lg_u32 s16, 0
	s_waitcnt lgkmcnt(0)
	; wave barrier
	v_cndmask_b32_e64 v4, v4, v3, s[12:13]
	s_cbranch_scc0 .LBB180_4
.LBB180_2:                              ; =>This Inner Loop Header: Depth=1
	s_waitcnt vmcnt(0)
	v_and_b32_e32 v5, 0xff, v4
	s_nop 1
	v_mov_b32_dpp v5, v5 row_shr:1 row_mask:0xf bank_mask:0xf
	v_cndmask_b32_e64 v5, v5, 0, vcc
	v_add_u16_e32 v4, v5, v4
	v_and_b32_e32 v5, 0xff, v4
	s_nop 1
	v_mov_b32_dpp v5, v5 row_shr:2 row_mask:0xf bank_mask:0xf
	v_cndmask_b32_e64 v5, 0, v5, s[0:1]
	v_add_u16_e32 v4, v4, v5
	v_and_b32_e32 v5, 0xff, v4
	s_nop 1
	v_mov_b32_dpp v5, v5 row_shr:4 row_mask:0xf bank_mask:0xf
	v_cndmask_b32_e64 v5, 0, v5, s[2:3]
	;; [unrolled: 5-line block ×3, first 2 shown]
	v_add_u16_e32 v4, v4, v5
	v_and_b32_e32 v5, 0xff, v4
	s_nop 1
	v_mov_b32_dpp v5, v5 row_bcast:15 row_mask:0xf bank_mask:0xf
	v_cndmask_b32_e64 v5, v5, 0, s[6:7]
	v_add_u16_e32 v4, v4, v5
	v_and_b32_e32 v5, 0xff, v4
	s_nop 1
	v_mov_b32_dpp v5, v5 row_bcast:31 row_mask:0xf bank_mask:0xf
	v_cndmask_b32_e64 v5, 0, v5, s[8:9]
	v_add_u16_e32 v4, v4, v5
	s_and_saveexec_b64 s[14:15], s[10:11]
	s_cbranch_execz .LBB180_1
; %bb.3:                                ;   in Loop: Header=BB180_2 Depth=1
	ds_write_b8 v2, v4
	s_branch .LBB180_1
.LBB180_4:
	v_mov_b32_e32 v2, s19
	v_add_co_u32_e32 v0, vcc, s18, v1
	v_addc_co_u32_e32 v1, vcc, 0, v2, vcc
	global_store_byte v[0:1], v4, off
	s_endpgm
	.section	.rodata,"a",@progbits
	.p2align	6, 0x0
	.amdhsa_kernel _Z6kernelI14exclusive_scanILN6hipcub18BlockScanAlgorithmE0EEhLj64ELj1ELj100EEvPKT0_PS4_S4_
		.amdhsa_group_segment_fixed_size 1
		.amdhsa_private_segment_fixed_size 0
		.amdhsa_kernarg_size 280
		.amdhsa_user_sgpr_count 6
		.amdhsa_user_sgpr_private_segment_buffer 1
		.amdhsa_user_sgpr_dispatch_ptr 0
		.amdhsa_user_sgpr_queue_ptr 0
		.amdhsa_user_sgpr_kernarg_segment_ptr 1
		.amdhsa_user_sgpr_dispatch_id 0
		.amdhsa_user_sgpr_flat_scratch_init 0
		.amdhsa_user_sgpr_private_segment_size 0
		.amdhsa_uses_dynamic_stack 0
		.amdhsa_system_sgpr_private_segment_wavefront_offset 0
		.amdhsa_system_sgpr_workgroup_id_x 1
		.amdhsa_system_sgpr_workgroup_id_y 0
		.amdhsa_system_sgpr_workgroup_id_z 0
		.amdhsa_system_sgpr_workgroup_info 0
		.amdhsa_system_vgpr_workitem_id 0
		.amdhsa_next_free_vgpr 6
		.amdhsa_next_free_sgpr 21
		.amdhsa_reserve_vcc 1
		.amdhsa_reserve_flat_scratch 0
		.amdhsa_float_round_mode_32 0
		.amdhsa_float_round_mode_16_64 0
		.amdhsa_float_denorm_mode_32 3
		.amdhsa_float_denorm_mode_16_64 3
		.amdhsa_dx10_clamp 1
		.amdhsa_ieee_mode 1
		.amdhsa_fp16_overflow 0
		.amdhsa_exception_fp_ieee_invalid_op 0
		.amdhsa_exception_fp_denorm_src 0
		.amdhsa_exception_fp_ieee_div_zero 0
		.amdhsa_exception_fp_ieee_overflow 0
		.amdhsa_exception_fp_ieee_underflow 0
		.amdhsa_exception_fp_ieee_inexact 0
		.amdhsa_exception_int_div_zero 0
	.end_amdhsa_kernel
	.section	.text._Z6kernelI14exclusive_scanILN6hipcub18BlockScanAlgorithmE0EEhLj64ELj1ELj100EEvPKT0_PS4_S4_,"axG",@progbits,_Z6kernelI14exclusive_scanILN6hipcub18BlockScanAlgorithmE0EEhLj64ELj1ELj100EEvPKT0_PS4_S4_,comdat
.Lfunc_end180:
	.size	_Z6kernelI14exclusive_scanILN6hipcub18BlockScanAlgorithmE0EEhLj64ELj1ELj100EEvPKT0_PS4_S4_, .Lfunc_end180-_Z6kernelI14exclusive_scanILN6hipcub18BlockScanAlgorithmE0EEhLj64ELj1ELj100EEvPKT0_PS4_S4_
                                        ; -- End function
	.set _Z6kernelI14exclusive_scanILN6hipcub18BlockScanAlgorithmE0EEhLj64ELj1ELj100EEvPKT0_PS4_S4_.num_vgpr, 6
	.set _Z6kernelI14exclusive_scanILN6hipcub18BlockScanAlgorithmE0EEhLj64ELj1ELj100EEvPKT0_PS4_S4_.num_agpr, 0
	.set _Z6kernelI14exclusive_scanILN6hipcub18BlockScanAlgorithmE0EEhLj64ELj1ELj100EEvPKT0_PS4_S4_.numbered_sgpr, 21
	.set _Z6kernelI14exclusive_scanILN6hipcub18BlockScanAlgorithmE0EEhLj64ELj1ELj100EEvPKT0_PS4_S4_.num_named_barrier, 0
	.set _Z6kernelI14exclusive_scanILN6hipcub18BlockScanAlgorithmE0EEhLj64ELj1ELj100EEvPKT0_PS4_S4_.private_seg_size, 0
	.set _Z6kernelI14exclusive_scanILN6hipcub18BlockScanAlgorithmE0EEhLj64ELj1ELj100EEvPKT0_PS4_S4_.uses_vcc, 1
	.set _Z6kernelI14exclusive_scanILN6hipcub18BlockScanAlgorithmE0EEhLj64ELj1ELj100EEvPKT0_PS4_S4_.uses_flat_scratch, 0
	.set _Z6kernelI14exclusive_scanILN6hipcub18BlockScanAlgorithmE0EEhLj64ELj1ELj100EEvPKT0_PS4_S4_.has_dyn_sized_stack, 0
	.set _Z6kernelI14exclusive_scanILN6hipcub18BlockScanAlgorithmE0EEhLj64ELj1ELj100EEvPKT0_PS4_S4_.has_recursion, 0
	.set _Z6kernelI14exclusive_scanILN6hipcub18BlockScanAlgorithmE0EEhLj64ELj1ELj100EEvPKT0_PS4_S4_.has_indirect_call, 0
	.section	.AMDGPU.csdata,"",@progbits
; Kernel info:
; codeLenInByte = 464
; TotalNumSgprs: 25
; NumVgprs: 6
; ScratchSize: 0
; MemoryBound: 0
; FloatMode: 240
; IeeeMode: 1
; LDSByteSize: 1 bytes/workgroup (compile time only)
; SGPRBlocks: 3
; VGPRBlocks: 1
; NumSGPRsForWavesPerEU: 25
; NumVGPRsForWavesPerEU: 6
; Occupancy: 10
; WaveLimiterHint : 0
; COMPUTE_PGM_RSRC2:SCRATCH_EN: 0
; COMPUTE_PGM_RSRC2:USER_SGPR: 6
; COMPUTE_PGM_RSRC2:TRAP_HANDLER: 0
; COMPUTE_PGM_RSRC2:TGID_X_EN: 1
; COMPUTE_PGM_RSRC2:TGID_Y_EN: 0
; COMPUTE_PGM_RSRC2:TGID_Z_EN: 0
; COMPUTE_PGM_RSRC2:TIDIG_COMP_CNT: 0
	.section	.text._Z6kernelI14exclusive_scanILN6hipcub18BlockScanAlgorithmE0EEhLj64ELj3ELj100EEvPKT0_PS4_S4_,"axG",@progbits,_Z6kernelI14exclusive_scanILN6hipcub18BlockScanAlgorithmE0EEhLj64ELj3ELj100EEvPKT0_PS4_S4_,comdat
	.protected	_Z6kernelI14exclusive_scanILN6hipcub18BlockScanAlgorithmE0EEhLj64ELj3ELj100EEvPKT0_PS4_S4_ ; -- Begin function _Z6kernelI14exclusive_scanILN6hipcub18BlockScanAlgorithmE0EEhLj64ELj3ELj100EEvPKT0_PS4_S4_
	.globl	_Z6kernelI14exclusive_scanILN6hipcub18BlockScanAlgorithmE0EEhLj64ELj3ELj100EEvPKT0_PS4_S4_
	.p2align	8
	.type	_Z6kernelI14exclusive_scanILN6hipcub18BlockScanAlgorithmE0EEhLj64ELj3ELj100EEvPKT0_PS4_S4_,@function
_Z6kernelI14exclusive_scanILN6hipcub18BlockScanAlgorithmE0EEhLj64ELj3ELj100EEvPKT0_PS4_S4_: ; @_Z6kernelI14exclusive_scanILN6hipcub18BlockScanAlgorithmE0EEhLj64ELj3ELj100EEvPKT0_PS4_S4_
; %bb.0:
	s_load_dword s0, s[4:5], 0x24
	s_load_dwordx4 s[16:19], s[4:5], 0x0
	s_load_dword s20, s[4:5], 0x10
	v_mbcnt_lo_u32_b32 v7, -1, 0
	v_mbcnt_hi_u32_b32 v7, -1, v7
	s_waitcnt lgkmcnt(0)
	s_and_b32 s0, s0, 0xffff
	s_mul_i32 s6, s6, s0
	v_add_u32_e32 v1, s6, v0
	v_lshl_add_u32 v3, v1, 1, v1
	v_add_u32_e32 v2, 1, v3
	v_add_u32_e32 v1, 2, v3
	global_load_ubyte v5, v3, s[16:17]
	global_load_ubyte v8, v1, s[16:17]
	;; [unrolled: 1-line block ×3, first 2 shown]
	v_and_b32_e32 v9, 15, v7
	v_cmp_eq_u32_e32 vcc, 0, v9
	v_cmp_lt_u32_e64 s[0:1], 1, v9
	v_cmp_lt_u32_e64 s[2:3], 3, v9
	;; [unrolled: 1-line block ×3, first 2 shown]
	v_and_b32_e32 v9, 16, v7
	v_cmp_eq_u32_e64 s[6:7], 0, v9
	v_subrev_co_u32_e64 v9, s[12:13], 1, v7
	v_and_b32_e32 v10, 64, v7
	v_cmp_lt_i32_e64 s[14:15], v9, v10
	v_cmp_lt_u32_e64 s[8:9], 31, v7
	v_cndmask_b32_e64 v7, v9, v7, s[14:15]
	v_cmp_eq_u32_e64 s[14:15], 0, v0
	v_mov_b32_e32 v4, 0
	v_cmp_eq_u32_e64 s[10:11], 63, v0
	v_lshlrev_b32_e32 v7, 2, v7
	s_or_b64 s[12:13], s[14:15], s[12:13]
	s_movk_i32 s16, 0x64
	s_branch .LBB181_2
.LBB181_1:                              ;   in Loop: Header=BB181_2 Depth=1
	s_or_b64 exec, exec, s[14:15]
	v_add_u16_e32 v0, s20, v0
	v_and_b32_e32 v0, 0xff, v0
	ds_bpermute_b32 v0, v7, v0
	v_mov_b32_e32 v8, s20
	s_add_i32 s16, s16, -1
	s_cmp_lg_u32 s16, 0
	s_waitcnt lgkmcnt(0)
	v_cndmask_b32_e64 v9, v0, v8, s[12:13]
	v_add_u16_e32 v0, v9, v5
	v_add_u16_e32 v8, v0, v6
	v_mov_b32_e32 v5, v9
	v_mov_b32_e32 v6, v0
	; wave barrier
	s_cbranch_scc0 .LBB181_4
.LBB181_2:                              ; =>This Inner Loop Header: Depth=1
	s_waitcnt vmcnt(0)
	v_add_u16_e32 v0, v6, v5
	v_add_u16_e32 v0, v0, v8
	v_and_b32_e32 v8, 0xff, v0
	s_nop 1
	v_mov_b32_dpp v8, v8 row_shr:1 row_mask:0xf bank_mask:0xf
	v_cndmask_b32_e64 v8, v8, 0, vcc
	v_add_u16_e32 v0, v8, v0
	v_and_b32_e32 v8, 0xff, v0
	s_nop 1
	v_mov_b32_dpp v8, v8 row_shr:2 row_mask:0xf bank_mask:0xf
	v_cndmask_b32_e64 v8, 0, v8, s[0:1]
	v_add_u16_e32 v0, v0, v8
	v_and_b32_e32 v8, 0xff, v0
	s_nop 1
	v_mov_b32_dpp v8, v8 row_shr:4 row_mask:0xf bank_mask:0xf
	v_cndmask_b32_e64 v8, 0, v8, s[2:3]
	;; [unrolled: 5-line block ×3, first 2 shown]
	v_add_u16_e32 v0, v0, v8
	v_and_b32_e32 v8, 0xff, v0
	s_nop 1
	v_mov_b32_dpp v8, v8 row_bcast:15 row_mask:0xf bank_mask:0xf
	v_cndmask_b32_e64 v8, v8, 0, s[6:7]
	v_add_u16_e32 v0, v0, v8
	v_and_b32_e32 v8, 0xff, v0
	s_nop 1
	v_mov_b32_dpp v8, v8 row_bcast:31 row_mask:0xf bank_mask:0xf
	v_cndmask_b32_e64 v8, 0, v8, s[8:9]
	v_add_u16_e32 v0, v0, v8
	s_and_saveexec_b64 s[14:15], s[10:11]
	s_cbranch_execz .LBB181_1
; %bb.3:                                ;   in Loop: Header=BB181_2 Depth=1
	ds_write_b8 v4, v0
	s_branch .LBB181_1
.LBB181_4:
	v_mov_b32_e32 v4, s19
	v_add_co_u32_e32 v3, vcc, s18, v3
	v_addc_co_u32_e32 v4, vcc, 0, v4, vcc
	global_store_byte v[3:4], v9, off
	v_mov_b32_e32 v3, s19
	v_add_co_u32_e32 v2, vcc, s18, v2
	v_addc_co_u32_e32 v3, vcc, 0, v3, vcc
	global_store_byte v[2:3], v0, off
	;; [unrolled: 4-line block ×3, first 2 shown]
	s_endpgm
	.section	.rodata,"a",@progbits
	.p2align	6, 0x0
	.amdhsa_kernel _Z6kernelI14exclusive_scanILN6hipcub18BlockScanAlgorithmE0EEhLj64ELj3ELj100EEvPKT0_PS4_S4_
		.amdhsa_group_segment_fixed_size 1
		.amdhsa_private_segment_fixed_size 0
		.amdhsa_kernarg_size 280
		.amdhsa_user_sgpr_count 6
		.amdhsa_user_sgpr_private_segment_buffer 1
		.amdhsa_user_sgpr_dispatch_ptr 0
		.amdhsa_user_sgpr_queue_ptr 0
		.amdhsa_user_sgpr_kernarg_segment_ptr 1
		.amdhsa_user_sgpr_dispatch_id 0
		.amdhsa_user_sgpr_flat_scratch_init 0
		.amdhsa_user_sgpr_private_segment_size 0
		.amdhsa_uses_dynamic_stack 0
		.amdhsa_system_sgpr_private_segment_wavefront_offset 0
		.amdhsa_system_sgpr_workgroup_id_x 1
		.amdhsa_system_sgpr_workgroup_id_y 0
		.amdhsa_system_sgpr_workgroup_id_z 0
		.amdhsa_system_sgpr_workgroup_info 0
		.amdhsa_system_vgpr_workitem_id 0
		.amdhsa_next_free_vgpr 11
		.amdhsa_next_free_sgpr 21
		.amdhsa_reserve_vcc 1
		.amdhsa_reserve_flat_scratch 0
		.amdhsa_float_round_mode_32 0
		.amdhsa_float_round_mode_16_64 0
		.amdhsa_float_denorm_mode_32 3
		.amdhsa_float_denorm_mode_16_64 3
		.amdhsa_dx10_clamp 1
		.amdhsa_ieee_mode 1
		.amdhsa_fp16_overflow 0
		.amdhsa_exception_fp_ieee_invalid_op 0
		.amdhsa_exception_fp_denorm_src 0
		.amdhsa_exception_fp_ieee_div_zero 0
		.amdhsa_exception_fp_ieee_overflow 0
		.amdhsa_exception_fp_ieee_underflow 0
		.amdhsa_exception_fp_ieee_inexact 0
		.amdhsa_exception_int_div_zero 0
	.end_amdhsa_kernel
	.section	.text._Z6kernelI14exclusive_scanILN6hipcub18BlockScanAlgorithmE0EEhLj64ELj3ELj100EEvPKT0_PS4_S4_,"axG",@progbits,_Z6kernelI14exclusive_scanILN6hipcub18BlockScanAlgorithmE0EEhLj64ELj3ELj100EEvPKT0_PS4_S4_,comdat
.Lfunc_end181:
	.size	_Z6kernelI14exclusive_scanILN6hipcub18BlockScanAlgorithmE0EEhLj64ELj3ELj100EEvPKT0_PS4_S4_, .Lfunc_end181-_Z6kernelI14exclusive_scanILN6hipcub18BlockScanAlgorithmE0EEhLj64ELj3ELj100EEvPKT0_PS4_S4_
                                        ; -- End function
	.set _Z6kernelI14exclusive_scanILN6hipcub18BlockScanAlgorithmE0EEhLj64ELj3ELj100EEvPKT0_PS4_S4_.num_vgpr, 11
	.set _Z6kernelI14exclusive_scanILN6hipcub18BlockScanAlgorithmE0EEhLj64ELj3ELj100EEvPKT0_PS4_S4_.num_agpr, 0
	.set _Z6kernelI14exclusive_scanILN6hipcub18BlockScanAlgorithmE0EEhLj64ELj3ELj100EEvPKT0_PS4_S4_.numbered_sgpr, 21
	.set _Z6kernelI14exclusive_scanILN6hipcub18BlockScanAlgorithmE0EEhLj64ELj3ELj100EEvPKT0_PS4_S4_.num_named_barrier, 0
	.set _Z6kernelI14exclusive_scanILN6hipcub18BlockScanAlgorithmE0EEhLj64ELj3ELj100EEvPKT0_PS4_S4_.private_seg_size, 0
	.set _Z6kernelI14exclusive_scanILN6hipcub18BlockScanAlgorithmE0EEhLj64ELj3ELj100EEvPKT0_PS4_S4_.uses_vcc, 1
	.set _Z6kernelI14exclusive_scanILN6hipcub18BlockScanAlgorithmE0EEhLj64ELj3ELj100EEvPKT0_PS4_S4_.uses_flat_scratch, 0
	.set _Z6kernelI14exclusive_scanILN6hipcub18BlockScanAlgorithmE0EEhLj64ELj3ELj100EEvPKT0_PS4_S4_.has_dyn_sized_stack, 0
	.set _Z6kernelI14exclusive_scanILN6hipcub18BlockScanAlgorithmE0EEhLj64ELj3ELj100EEvPKT0_PS4_S4_.has_recursion, 0
	.set _Z6kernelI14exclusive_scanILN6hipcub18BlockScanAlgorithmE0EEhLj64ELj3ELj100EEvPKT0_PS4_S4_.has_indirect_call, 0
	.section	.AMDGPU.csdata,"",@progbits
; Kernel info:
; codeLenInByte = 572
; TotalNumSgprs: 25
; NumVgprs: 11
; ScratchSize: 0
; MemoryBound: 0
; FloatMode: 240
; IeeeMode: 1
; LDSByteSize: 1 bytes/workgroup (compile time only)
; SGPRBlocks: 3
; VGPRBlocks: 2
; NumSGPRsForWavesPerEU: 25
; NumVGPRsForWavesPerEU: 11
; Occupancy: 10
; WaveLimiterHint : 0
; COMPUTE_PGM_RSRC2:SCRATCH_EN: 0
; COMPUTE_PGM_RSRC2:USER_SGPR: 6
; COMPUTE_PGM_RSRC2:TRAP_HANDLER: 0
; COMPUTE_PGM_RSRC2:TGID_X_EN: 1
; COMPUTE_PGM_RSRC2:TGID_Y_EN: 0
; COMPUTE_PGM_RSRC2:TGID_Z_EN: 0
; COMPUTE_PGM_RSRC2:TIDIG_COMP_CNT: 0
	.section	.text._Z6kernelI14exclusive_scanILN6hipcub18BlockScanAlgorithmE0EEhLj64ELj4ELj100EEvPKT0_PS4_S4_,"axG",@progbits,_Z6kernelI14exclusive_scanILN6hipcub18BlockScanAlgorithmE0EEhLj64ELj4ELj100EEvPKT0_PS4_S4_,comdat
	.protected	_Z6kernelI14exclusive_scanILN6hipcub18BlockScanAlgorithmE0EEhLj64ELj4ELj100EEvPKT0_PS4_S4_ ; -- Begin function _Z6kernelI14exclusive_scanILN6hipcub18BlockScanAlgorithmE0EEhLj64ELj4ELj100EEvPKT0_PS4_S4_
	.globl	_Z6kernelI14exclusive_scanILN6hipcub18BlockScanAlgorithmE0EEhLj64ELj4ELj100EEvPKT0_PS4_S4_
	.p2align	8
	.type	_Z6kernelI14exclusive_scanILN6hipcub18BlockScanAlgorithmE0EEhLj64ELj4ELj100EEvPKT0_PS4_S4_,@function
_Z6kernelI14exclusive_scanILN6hipcub18BlockScanAlgorithmE0EEhLj64ELj4ELj100EEvPKT0_PS4_S4_: ; @_Z6kernelI14exclusive_scanILN6hipcub18BlockScanAlgorithmE0EEhLj64ELj4ELj100EEvPKT0_PS4_S4_
; %bb.0:
	s_load_dword s0, s[4:5], 0x24
	s_load_dwordx4 s[16:19], s[4:5], 0x0
	s_load_dword s20, s[4:5], 0x10
	v_mbcnt_lo_u32_b32 v4, -1, 0
	v_mbcnt_hi_u32_b32 v4, -1, v4
	s_waitcnt lgkmcnt(0)
	s_and_b32 s0, s0, 0xffff
	s_mul_i32 s6, s6, s0
	v_add_lshl_u32 v1, s6, v0, 2
	global_load_dword v3, v1, s[16:17]
	v_subrev_co_u32_e64 v6, s[14:15], 1, v4
	v_and_b32_e32 v7, 64, v4
	v_cmp_eq_u32_e32 vcc, 63, v0
	v_cmp_eq_u32_e64 s[12:13], 0, v0
	v_and_b32_e32 v0, 15, v4
	v_cmp_lt_i32_e64 s[16:17], v6, v7
	v_and_b32_e32 v5, 16, v4
	v_cmp_eq_u32_e64 s[2:3], 0, v0
	v_cmp_lt_u32_e64 s[4:5], 1, v0
	v_cmp_lt_u32_e64 s[6:7], 3, v0
	;; [unrolled: 1-line block ×3, first 2 shown]
	v_cndmask_b32_e64 v0, v6, v4, s[16:17]
	v_mov_b32_e32 v2, 0
	v_cmp_lt_u32_e64 s[0:1], 31, v4
	v_cmp_eq_u32_e64 s[10:11], 0, v5
	s_or_b64 s[12:13], s[12:13], s[14:15]
	v_lshlrev_b32_e32 v0, 2, v0
	s_movk_i32 s16, 0x64
	s_waitcnt vmcnt(0)
	v_lshrrev_b32_e32 v6, 24, v3
	v_lshrrev_b32_e32 v4, 16, v3
	;; [unrolled: 1-line block ×3, first 2 shown]
.LBB182_1:                              ; =>This Inner Loop Header: Depth=1
	v_add_u16_e32 v7, v5, v3
	v_add_u16_e32 v7, v7, v4
	;; [unrolled: 1-line block ×3, first 2 shown]
	v_and_b32_e32 v7, 0xff, v6
	s_nop 1
	v_mov_b32_dpp v7, v7 row_shr:1 row_mask:0xf bank_mask:0xf
	v_cndmask_b32_e64 v7, v7, 0, s[2:3]
	v_add_u16_e32 v6, v6, v7
	v_and_b32_e32 v7, 0xff, v6
	s_nop 1
	v_mov_b32_dpp v7, v7 row_shr:2 row_mask:0xf bank_mask:0xf
	v_cndmask_b32_e64 v7, 0, v7, s[4:5]
	v_add_u16_e32 v6, v6, v7
	;; [unrolled: 5-line block ×4, first 2 shown]
	v_and_b32_e32 v7, 0xff, v6
	s_nop 1
	v_mov_b32_dpp v7, v7 row_bcast:15 row_mask:0xf bank_mask:0xf
	v_cndmask_b32_e64 v7, v7, 0, s[10:11]
	v_add_u16_e32 v6, v6, v7
	v_and_b32_e32 v7, 0xff, v6
	s_nop 1
	v_mov_b32_dpp v7, v7 row_bcast:31 row_mask:0xf bank_mask:0xf
	v_cndmask_b32_e64 v7, 0, v7, s[0:1]
	v_add_u16_e32 v6, v6, v7
	s_and_saveexec_b64 s[14:15], vcc
; %bb.2:                                ;   in Loop: Header=BB182_1 Depth=1
	ds_write_b8 v2, v6
; %bb.3:                                ;   in Loop: Header=BB182_1 Depth=1
	s_or_b64 exec, exec, s[14:15]
	v_add_u16_e32 v6, s20, v6
	v_and_b32_e32 v6, 0xff, v6
	ds_bpermute_b32 v6, v0, v6
	v_mov_b32_e32 v7, s20
	s_add_i32 s16, s16, -1
	s_cmp_lg_u32 s16, 0
	s_waitcnt lgkmcnt(0)
	v_cndmask_b32_e64 v8, v6, v7, s[12:13]
	v_add_u16_e32 v9, v8, v3
	v_add_u16_e32 v7, v9, v5
	;; [unrolled: 1-line block ×3, first 2 shown]
	; wave barrier
	s_cbranch_scc0 .LBB182_5
; %bb.4:                                ;   in Loop: Header=BB182_1 Depth=1
	v_mov_b32_e32 v3, v8
	v_mov_b32_e32 v5, v9
	;; [unrolled: 1-line block ×3, first 2 shown]
	s_branch .LBB182_1
.LBB182_5:
	v_lshlrev_b16_e32 v0, 8, v9
	v_lshlrev_b16_e32 v2, 8, v6
	v_or_b32_sdwa v0, v8, v0 dst_sel:DWORD dst_unused:UNUSED_PAD src0_sel:BYTE_0 src1_sel:DWORD
	v_or_b32_sdwa v2, v7, v2 dst_sel:WORD_1 dst_unused:UNUSED_PAD src0_sel:BYTE_0 src1_sel:DWORD
	v_or_b32_sdwa v2, v0, v2 dst_sel:DWORD dst_unused:UNUSED_PAD src0_sel:WORD_0 src1_sel:DWORD
	v_mov_b32_e32 v3, s19
	v_add_co_u32_e32 v0, vcc, s18, v1
	v_addc_co_u32_e32 v1, vcc, 0, v3, vcc
	global_store_dword v[0:1], v2, off
	s_endpgm
	.section	.rodata,"a",@progbits
	.p2align	6, 0x0
	.amdhsa_kernel _Z6kernelI14exclusive_scanILN6hipcub18BlockScanAlgorithmE0EEhLj64ELj4ELj100EEvPKT0_PS4_S4_
		.amdhsa_group_segment_fixed_size 1
		.amdhsa_private_segment_fixed_size 0
		.amdhsa_kernarg_size 280
		.amdhsa_user_sgpr_count 6
		.amdhsa_user_sgpr_private_segment_buffer 1
		.amdhsa_user_sgpr_dispatch_ptr 0
		.amdhsa_user_sgpr_queue_ptr 0
		.amdhsa_user_sgpr_kernarg_segment_ptr 1
		.amdhsa_user_sgpr_dispatch_id 0
		.amdhsa_user_sgpr_flat_scratch_init 0
		.amdhsa_user_sgpr_private_segment_size 0
		.amdhsa_uses_dynamic_stack 0
		.amdhsa_system_sgpr_private_segment_wavefront_offset 0
		.amdhsa_system_sgpr_workgroup_id_x 1
		.amdhsa_system_sgpr_workgroup_id_y 0
		.amdhsa_system_sgpr_workgroup_id_z 0
		.amdhsa_system_sgpr_workgroup_info 0
		.amdhsa_system_vgpr_workitem_id 0
		.amdhsa_next_free_vgpr 10
		.amdhsa_next_free_sgpr 21
		.amdhsa_reserve_vcc 1
		.amdhsa_reserve_flat_scratch 0
		.amdhsa_float_round_mode_32 0
		.amdhsa_float_round_mode_16_64 0
		.amdhsa_float_denorm_mode_32 3
		.amdhsa_float_denorm_mode_16_64 3
		.amdhsa_dx10_clamp 1
		.amdhsa_ieee_mode 1
		.amdhsa_fp16_overflow 0
		.amdhsa_exception_fp_ieee_invalid_op 0
		.amdhsa_exception_fp_denorm_src 0
		.amdhsa_exception_fp_ieee_div_zero 0
		.amdhsa_exception_fp_ieee_overflow 0
		.amdhsa_exception_fp_ieee_underflow 0
		.amdhsa_exception_fp_ieee_inexact 0
		.amdhsa_exception_int_div_zero 0
	.end_amdhsa_kernel
	.section	.text._Z6kernelI14exclusive_scanILN6hipcub18BlockScanAlgorithmE0EEhLj64ELj4ELj100EEvPKT0_PS4_S4_,"axG",@progbits,_Z6kernelI14exclusive_scanILN6hipcub18BlockScanAlgorithmE0EEhLj64ELj4ELj100EEvPKT0_PS4_S4_,comdat
.Lfunc_end182:
	.size	_Z6kernelI14exclusive_scanILN6hipcub18BlockScanAlgorithmE0EEhLj64ELj4ELj100EEvPKT0_PS4_S4_, .Lfunc_end182-_Z6kernelI14exclusive_scanILN6hipcub18BlockScanAlgorithmE0EEhLj64ELj4ELj100EEvPKT0_PS4_S4_
                                        ; -- End function
	.set _Z6kernelI14exclusive_scanILN6hipcub18BlockScanAlgorithmE0EEhLj64ELj4ELj100EEvPKT0_PS4_S4_.num_vgpr, 10
	.set _Z6kernelI14exclusive_scanILN6hipcub18BlockScanAlgorithmE0EEhLj64ELj4ELj100EEvPKT0_PS4_S4_.num_agpr, 0
	.set _Z6kernelI14exclusive_scanILN6hipcub18BlockScanAlgorithmE0EEhLj64ELj4ELj100EEvPKT0_PS4_S4_.numbered_sgpr, 21
	.set _Z6kernelI14exclusive_scanILN6hipcub18BlockScanAlgorithmE0EEhLj64ELj4ELj100EEvPKT0_PS4_S4_.num_named_barrier, 0
	.set _Z6kernelI14exclusive_scanILN6hipcub18BlockScanAlgorithmE0EEhLj64ELj4ELj100EEvPKT0_PS4_S4_.private_seg_size, 0
	.set _Z6kernelI14exclusive_scanILN6hipcub18BlockScanAlgorithmE0EEhLj64ELj4ELj100EEvPKT0_PS4_S4_.uses_vcc, 1
	.set _Z6kernelI14exclusive_scanILN6hipcub18BlockScanAlgorithmE0EEhLj64ELj4ELj100EEvPKT0_PS4_S4_.uses_flat_scratch, 0
	.set _Z6kernelI14exclusive_scanILN6hipcub18BlockScanAlgorithmE0EEhLj64ELj4ELj100EEvPKT0_PS4_S4_.has_dyn_sized_stack, 0
	.set _Z6kernelI14exclusive_scanILN6hipcub18BlockScanAlgorithmE0EEhLj64ELj4ELj100EEvPKT0_PS4_S4_.has_recursion, 0
	.set _Z6kernelI14exclusive_scanILN6hipcub18BlockScanAlgorithmE0EEhLj64ELj4ELj100EEvPKT0_PS4_S4_.has_indirect_call, 0
	.section	.AMDGPU.csdata,"",@progbits
; Kernel info:
; codeLenInByte = 552
; TotalNumSgprs: 25
; NumVgprs: 10
; ScratchSize: 0
; MemoryBound: 0
; FloatMode: 240
; IeeeMode: 1
; LDSByteSize: 1 bytes/workgroup (compile time only)
; SGPRBlocks: 3
; VGPRBlocks: 2
; NumSGPRsForWavesPerEU: 25
; NumVGPRsForWavesPerEU: 10
; Occupancy: 10
; WaveLimiterHint : 0
; COMPUTE_PGM_RSRC2:SCRATCH_EN: 0
; COMPUTE_PGM_RSRC2:USER_SGPR: 6
; COMPUTE_PGM_RSRC2:TRAP_HANDLER: 0
; COMPUTE_PGM_RSRC2:TGID_X_EN: 1
; COMPUTE_PGM_RSRC2:TGID_Y_EN: 0
; COMPUTE_PGM_RSRC2:TGID_Z_EN: 0
; COMPUTE_PGM_RSRC2:TIDIG_COMP_CNT: 0
	.section	.text._Z6kernelI14exclusive_scanILN6hipcub18BlockScanAlgorithmE0EEhLj64ELj8ELj100EEvPKT0_PS4_S4_,"axG",@progbits,_Z6kernelI14exclusive_scanILN6hipcub18BlockScanAlgorithmE0EEhLj64ELj8ELj100EEvPKT0_PS4_S4_,comdat
	.protected	_Z6kernelI14exclusive_scanILN6hipcub18BlockScanAlgorithmE0EEhLj64ELj8ELj100EEvPKT0_PS4_S4_ ; -- Begin function _Z6kernelI14exclusive_scanILN6hipcub18BlockScanAlgorithmE0EEhLj64ELj8ELj100EEvPKT0_PS4_S4_
	.globl	_Z6kernelI14exclusive_scanILN6hipcub18BlockScanAlgorithmE0EEhLj64ELj8ELj100EEvPKT0_PS4_S4_
	.p2align	8
	.type	_Z6kernelI14exclusive_scanILN6hipcub18BlockScanAlgorithmE0EEhLj64ELj8ELj100EEvPKT0_PS4_S4_,@function
_Z6kernelI14exclusive_scanILN6hipcub18BlockScanAlgorithmE0EEhLj64ELj8ELj100EEvPKT0_PS4_S4_: ; @_Z6kernelI14exclusive_scanILN6hipcub18BlockScanAlgorithmE0EEhLj64ELj8ELj100EEvPKT0_PS4_S4_
; %bb.0:
	s_load_dword s0, s[4:5], 0x24
	s_load_dwordx4 s[16:19], s[4:5], 0x0
	s_load_dword s20, s[4:5], 0x10
	v_mbcnt_lo_u32_b32 v5, -1, 0
	v_mbcnt_hi_u32_b32 v5, -1, v5
	s_waitcnt lgkmcnt(0)
	s_and_b32 s0, s0, 0xffff
	s_mul_i32 s6, s6, s0
	v_add_lshl_u32 v3, s6, v0, 3
	global_load_dwordx2 v[1:2], v3, s[16:17]
	v_and_b32_e32 v6, 15, v5
	v_cmp_eq_u32_e32 vcc, 0, v6
	v_cmp_lt_u32_e64 s[0:1], 1, v6
	v_cmp_lt_u32_e64 s[2:3], 3, v6
	;; [unrolled: 1-line block ×3, first 2 shown]
	v_and_b32_e32 v6, 16, v5
	v_cmp_eq_u32_e64 s[6:7], 0, v6
	v_subrev_co_u32_e64 v6, s[12:13], 1, v5
	v_and_b32_e32 v7, 64, v5
	v_cmp_lt_i32_e64 s[14:15], v6, v7
	v_cmp_lt_u32_e64 s[8:9], 31, v5
	v_cndmask_b32_e64 v5, v6, v5, s[14:15]
	v_cmp_eq_u32_e64 s[14:15], 0, v0
	v_mov_b32_e32 v4, 0
	v_cmp_eq_u32_e64 s[10:11], 63, v0
	v_lshlrev_b32_e32 v5, 2, v5
	s_or_b64 s[12:13], s[14:15], s[12:13]
	s_movk_i32 s16, 0x64
	s_branch .LBB183_2
.LBB183_1:                              ;   in Loop: Header=BB183_2 Depth=1
	s_or_b64 exec, exec, s[14:15]
	v_add_u16_e32 v7, s20, v7
	v_and_b32_e32 v7, 0xff, v7
	ds_bpermute_b32 v7, v5, v7
	v_mov_b32_e32 v8, s20
	s_add_i32 s16, s16, -1
	s_cmp_lg_u32 s16, 0
	s_waitcnt lgkmcnt(0)
	v_cndmask_b32_e64 v7, v7, v8, s[12:13]
	v_add_u16_e32 v8, v7, v1
	v_add_u16_e32 v6, v8, v6
	v_add_u16_sdwa v9, v6, v1 dst_sel:DWORD dst_unused:UNUSED_PAD src0_sel:DWORD src1_sel:WORD_1
	v_add_u16_sdwa v10, v9, v1 dst_sel:DWORD dst_unused:UNUSED_PAD src0_sel:DWORD src1_sel:BYTE_3
	v_add_u16_e32 v11, v10, v2
	v_add_u16_e32 v0, v11, v0
	v_lshlrev_b16_e32 v13, 8, v8
	v_add_u16_sdwa v12, v0, v2 dst_sel:DWORD dst_unused:UNUSED_PAD src0_sel:DWORD src1_sel:WORD_1
	v_lshlrev_b16_e32 v2, 8, v9
	v_or_b32_sdwa v1, v7, v13 dst_sel:DWORD dst_unused:UNUSED_PAD src0_sel:BYTE_0 src1_sel:DWORD
	v_or_b32_sdwa v2, v6, v2 dst_sel:WORD_1 dst_unused:UNUSED_PAD src0_sel:BYTE_0 src1_sel:DWORD
	v_or_b32_sdwa v1, v1, v2 dst_sel:DWORD dst_unused:UNUSED_PAD src0_sel:WORD_0 src1_sel:DWORD
	v_lshlrev_b16_e32 v2, 8, v11
	v_lshlrev_b16_e32 v13, 8, v12
	v_or_b32_sdwa v2, v10, v2 dst_sel:DWORD dst_unused:UNUSED_PAD src0_sel:BYTE_0 src1_sel:DWORD
	v_or_b32_sdwa v13, v0, v13 dst_sel:WORD_1 dst_unused:UNUSED_PAD src0_sel:BYTE_0 src1_sel:DWORD
	v_or_b32_sdwa v2, v2, v13 dst_sel:DWORD dst_unused:UNUSED_PAD src0_sel:WORD_0 src1_sel:DWORD
	; wave barrier
	s_cbranch_scc0 .LBB183_4
.LBB183_2:                              ; =>This Inner Loop Header: Depth=1
	s_waitcnt vmcnt(0)
	v_lshrrev_b32_e32 v6, 8, v1
	v_add_u16_e32 v7, v6, v1
	v_add_u16_sdwa v7, v7, v1 dst_sel:DWORD dst_unused:UNUSED_PAD src0_sel:DWORD src1_sel:WORD_1
	v_add_u16_sdwa v7, v7, v1 dst_sel:DWORD dst_unused:UNUSED_PAD src0_sel:DWORD src1_sel:BYTE_3
	v_lshrrev_b32_e32 v0, 8, v2
	v_add_u16_e32 v7, v7, v2
	v_add_u16_e32 v7, v7, v0
	v_add_u16_sdwa v7, v7, v2 dst_sel:DWORD dst_unused:UNUSED_PAD src0_sel:DWORD src1_sel:WORD_1
	v_add_u16_sdwa v7, v7, v2 dst_sel:DWORD dst_unused:UNUSED_PAD src0_sel:DWORD src1_sel:BYTE_3
	v_and_b32_e32 v8, 0xff, v7
	s_nop 1
	v_mov_b32_dpp v8, v8 row_shr:1 row_mask:0xf bank_mask:0xf
	v_cndmask_b32_e64 v8, v8, 0, vcc
	v_add_u16_e32 v7, v7, v8
	v_and_b32_e32 v8, 0xff, v7
	s_nop 1
	v_mov_b32_dpp v8, v8 row_shr:2 row_mask:0xf bank_mask:0xf
	v_cndmask_b32_e64 v8, 0, v8, s[0:1]
	v_add_u16_e32 v7, v7, v8
	v_and_b32_e32 v8, 0xff, v7
	s_nop 1
	v_mov_b32_dpp v8, v8 row_shr:4 row_mask:0xf bank_mask:0xf
	v_cndmask_b32_e64 v8, 0, v8, s[2:3]
	v_add_u16_e32 v7, v7, v8
	v_and_b32_e32 v8, 0xff, v7
	s_nop 1
	v_mov_b32_dpp v8, v8 row_shr:8 row_mask:0xf bank_mask:0xf
	v_cndmask_b32_e64 v8, 0, v8, s[4:5]
	v_add_u16_e32 v7, v7, v8
	v_and_b32_e32 v8, 0xff, v7
	s_nop 1
	v_mov_b32_dpp v8, v8 row_bcast:15 row_mask:0xf bank_mask:0xf
	v_cndmask_b32_e64 v8, v8, 0, s[6:7]
	v_add_u16_e32 v7, v7, v8
	v_and_b32_e32 v8, 0xff, v7
	s_nop 1
	v_mov_b32_dpp v8, v8 row_bcast:31 row_mask:0xf bank_mask:0xf
	v_cndmask_b32_e64 v8, 0, v8, s[8:9]
	v_add_u16_e32 v7, v7, v8
	s_and_saveexec_b64 s[14:15], s[10:11]
	s_cbranch_execz .LBB183_1
; %bb.3:                                ;   in Loop: Header=BB183_2 Depth=1
	ds_write_b8 v4, v7
	s_branch .LBB183_1
.LBB183_4:
	s_mov_b32 s0, 0xc0c0004
	v_add_co_u32_e32 v1, vcc, s18, v3
	v_perm_b32 v3, v10, v11, s0
	v_perm_b32 v0, v0, v12, s0
	v_mov_b32_e32 v2, s19
	v_lshl_or_b32 v4, v0, 16, v3
	v_perm_b32 v0, v7, v8, s0
	v_perm_b32 v3, v6, v9, s0
	v_addc_co_u32_e32 v2, vcc, 0, v2, vcc
	v_lshl_or_b32 v3, v3, 16, v0
	global_store_dwordx2 v[1:2], v[3:4], off
	s_endpgm
	.section	.rodata,"a",@progbits
	.p2align	6, 0x0
	.amdhsa_kernel _Z6kernelI14exclusive_scanILN6hipcub18BlockScanAlgorithmE0EEhLj64ELj8ELj100EEvPKT0_PS4_S4_
		.amdhsa_group_segment_fixed_size 1
		.amdhsa_private_segment_fixed_size 0
		.amdhsa_kernarg_size 280
		.amdhsa_user_sgpr_count 6
		.amdhsa_user_sgpr_private_segment_buffer 1
		.amdhsa_user_sgpr_dispatch_ptr 0
		.amdhsa_user_sgpr_queue_ptr 0
		.amdhsa_user_sgpr_kernarg_segment_ptr 1
		.amdhsa_user_sgpr_dispatch_id 0
		.amdhsa_user_sgpr_flat_scratch_init 0
		.amdhsa_user_sgpr_private_segment_size 0
		.amdhsa_uses_dynamic_stack 0
		.amdhsa_system_sgpr_private_segment_wavefront_offset 0
		.amdhsa_system_sgpr_workgroup_id_x 1
		.amdhsa_system_sgpr_workgroup_id_y 0
		.amdhsa_system_sgpr_workgroup_id_z 0
		.amdhsa_system_sgpr_workgroup_info 0
		.amdhsa_system_vgpr_workitem_id 0
		.amdhsa_next_free_vgpr 14
		.amdhsa_next_free_sgpr 21
		.amdhsa_reserve_vcc 1
		.amdhsa_reserve_flat_scratch 0
		.amdhsa_float_round_mode_32 0
		.amdhsa_float_round_mode_16_64 0
		.amdhsa_float_denorm_mode_32 3
		.amdhsa_float_denorm_mode_16_64 3
		.amdhsa_dx10_clamp 1
		.amdhsa_ieee_mode 1
		.amdhsa_fp16_overflow 0
		.amdhsa_exception_fp_ieee_invalid_op 0
		.amdhsa_exception_fp_denorm_src 0
		.amdhsa_exception_fp_ieee_div_zero 0
		.amdhsa_exception_fp_ieee_overflow 0
		.amdhsa_exception_fp_ieee_underflow 0
		.amdhsa_exception_fp_ieee_inexact 0
		.amdhsa_exception_int_div_zero 0
	.end_amdhsa_kernel
	.section	.text._Z6kernelI14exclusive_scanILN6hipcub18BlockScanAlgorithmE0EEhLj64ELj8ELj100EEvPKT0_PS4_S4_,"axG",@progbits,_Z6kernelI14exclusive_scanILN6hipcub18BlockScanAlgorithmE0EEhLj64ELj8ELj100EEvPKT0_PS4_S4_,comdat
.Lfunc_end183:
	.size	_Z6kernelI14exclusive_scanILN6hipcub18BlockScanAlgorithmE0EEhLj64ELj8ELj100EEvPKT0_PS4_S4_, .Lfunc_end183-_Z6kernelI14exclusive_scanILN6hipcub18BlockScanAlgorithmE0EEhLj64ELj8ELj100EEvPKT0_PS4_S4_
                                        ; -- End function
	.set _Z6kernelI14exclusive_scanILN6hipcub18BlockScanAlgorithmE0EEhLj64ELj8ELj100EEvPKT0_PS4_S4_.num_vgpr, 14
	.set _Z6kernelI14exclusive_scanILN6hipcub18BlockScanAlgorithmE0EEhLj64ELj8ELj100EEvPKT0_PS4_S4_.num_agpr, 0
	.set _Z6kernelI14exclusive_scanILN6hipcub18BlockScanAlgorithmE0EEhLj64ELj8ELj100EEvPKT0_PS4_S4_.numbered_sgpr, 21
	.set _Z6kernelI14exclusive_scanILN6hipcub18BlockScanAlgorithmE0EEhLj64ELj8ELj100EEvPKT0_PS4_S4_.num_named_barrier, 0
	.set _Z6kernelI14exclusive_scanILN6hipcub18BlockScanAlgorithmE0EEhLj64ELj8ELj100EEvPKT0_PS4_S4_.private_seg_size, 0
	.set _Z6kernelI14exclusive_scanILN6hipcub18BlockScanAlgorithmE0EEhLj64ELj8ELj100EEvPKT0_PS4_S4_.uses_vcc, 1
	.set _Z6kernelI14exclusive_scanILN6hipcub18BlockScanAlgorithmE0EEhLj64ELj8ELj100EEvPKT0_PS4_S4_.uses_flat_scratch, 0
	.set _Z6kernelI14exclusive_scanILN6hipcub18BlockScanAlgorithmE0EEhLj64ELj8ELj100EEvPKT0_PS4_S4_.has_dyn_sized_stack, 0
	.set _Z6kernelI14exclusive_scanILN6hipcub18BlockScanAlgorithmE0EEhLj64ELj8ELj100EEvPKT0_PS4_S4_.has_recursion, 0
	.set _Z6kernelI14exclusive_scanILN6hipcub18BlockScanAlgorithmE0EEhLj64ELj8ELj100EEvPKT0_PS4_S4_.has_indirect_call, 0
	.section	.AMDGPU.csdata,"",@progbits
; Kernel info:
; codeLenInByte = 692
; TotalNumSgprs: 25
; NumVgprs: 14
; ScratchSize: 0
; MemoryBound: 0
; FloatMode: 240
; IeeeMode: 1
; LDSByteSize: 1 bytes/workgroup (compile time only)
; SGPRBlocks: 3
; VGPRBlocks: 3
; NumSGPRsForWavesPerEU: 25
; NumVGPRsForWavesPerEU: 14
; Occupancy: 10
; WaveLimiterHint : 0
; COMPUTE_PGM_RSRC2:SCRATCH_EN: 0
; COMPUTE_PGM_RSRC2:USER_SGPR: 6
; COMPUTE_PGM_RSRC2:TRAP_HANDLER: 0
; COMPUTE_PGM_RSRC2:TGID_X_EN: 1
; COMPUTE_PGM_RSRC2:TGID_Y_EN: 0
; COMPUTE_PGM_RSRC2:TGID_Z_EN: 0
; COMPUTE_PGM_RSRC2:TIDIG_COMP_CNT: 0
	.section	.text._Z6kernelI14exclusive_scanILN6hipcub18BlockScanAlgorithmE0EEhLj64ELj11ELj100EEvPKT0_PS4_S4_,"axG",@progbits,_Z6kernelI14exclusive_scanILN6hipcub18BlockScanAlgorithmE0EEhLj64ELj11ELj100EEvPKT0_PS4_S4_,comdat
	.protected	_Z6kernelI14exclusive_scanILN6hipcub18BlockScanAlgorithmE0EEhLj64ELj11ELj100EEvPKT0_PS4_S4_ ; -- Begin function _Z6kernelI14exclusive_scanILN6hipcub18BlockScanAlgorithmE0EEhLj64ELj11ELj100EEvPKT0_PS4_S4_
	.globl	_Z6kernelI14exclusive_scanILN6hipcub18BlockScanAlgorithmE0EEhLj64ELj11ELj100EEvPKT0_PS4_S4_
	.p2align	8
	.type	_Z6kernelI14exclusive_scanILN6hipcub18BlockScanAlgorithmE0EEhLj64ELj11ELj100EEvPKT0_PS4_S4_,@function
_Z6kernelI14exclusive_scanILN6hipcub18BlockScanAlgorithmE0EEhLj64ELj11ELj100EEvPKT0_PS4_S4_: ; @_Z6kernelI14exclusive_scanILN6hipcub18BlockScanAlgorithmE0EEhLj64ELj11ELj100EEvPKT0_PS4_S4_
; %bb.0:
	s_load_dword s0, s[4:5], 0x24
	s_load_dword s18, s[4:5], 0x10
	s_load_dwordx4 s[20:23], s[4:5], 0x0
	v_mbcnt_lo_u32_b32 v7, -1, 0
	v_mbcnt_hi_u32_b32 v11, -1, v7
	s_waitcnt lgkmcnt(0)
	s_and_b32 s0, s0, 0xffff
	s_mul_i32 s6, s6, s0
	v_add_u32_e32 v1, s6, v0
	v_mul_lo_u32 v6, v1, 11
	v_subrev_co_u32_e64 v14, s[14:15], 1, v11
	v_and_b32_e32 v8, 64, v11
	v_add_u32_e32 v3, 3, v6
	v_add_u32_e32 v5, 1, v6
	;; [unrolled: 1-line block ×5, first 2 shown]
	global_load_ubyte v16, v6, s[20:21]
	global_load_ubyte v17, v5, s[20:21]
	global_load_ubyte v18, v4, s[20:21]
	v_cmp_eq_u32_e32 vcc, 63, v0
	v_cmp_eq_u32_e64 s[12:13], 0, v0
	v_and_b32_e32 v0, 15, v11
	v_and_b32_e32 v7, 16, v11
	v_cmp_lt_i32_e64 s[16:17], v14, v8
	v_add_u32_e32 v10, 6, v6
	v_add_u32_e32 v9, 7, v6
	;; [unrolled: 1-line block ×3, first 2 shown]
	global_load_ubyte v19, v3, s[20:21]
	global_load_ubyte v20, v1, s[20:21]
	;; [unrolled: 1-line block ×5, first 2 shown]
	v_cmp_eq_u32_e64 s[0:1], 0, v0
	v_cmp_lt_u32_e64 s[2:3], 1, v0
	v_cmp_lt_u32_e64 s[4:5], 3, v0
	;; [unrolled: 1-line block ×3, first 2 shown]
	v_cmp_eq_u32_e64 s[8:9], 0, v7
	v_add_u32_e32 v7, 9, v6
	v_add_u32_e32 v0, 10, v6
	global_load_ubyte v13, v8, s[20:21]
	global_load_ubyte v12, v7, s[20:21]
	;; [unrolled: 1-line block ×3, first 2 shown]
	s_mov_b32 s19, 0xc0c0004
	v_cndmask_b32_e64 v14, v14, v11, s[16:17]
	v_cmp_lt_u32_e64 s[10:11], 31, v11
	v_mov_b32_e32 v11, 0
	s_or_b64 s[12:13], s[12:13], s[14:15]
	v_lshlrev_b32_e32 v14, 2, v14
	s_movk_i32 s16, 0x64
	s_waitcnt vmcnt(9)
	v_perm_b32 v16, v16, v17, s19
	s_waitcnt vmcnt(7)
	v_perm_b32 v17, v18, v19, s19
	v_lshl_or_b32 v16, v17, 16, v16
	s_waitcnt vmcnt(5)
	v_perm_b32 v18, v21, v20, s19
	s_waitcnt vmcnt(3)
	v_perm_b32 v19, v23, v22, s19
	v_lshl_or_b32 v17, v19, 16, v18
.LBB184_1:                              ; =>This Inner Loop Header: Depth=1
	v_lshrrev_b32_e32 v19, 8, v16
	v_add_u16_e32 v20, v19, v16
	v_add_u16_sdwa v20, v20, v16 dst_sel:DWORD dst_unused:UNUSED_PAD src0_sel:DWORD src1_sel:WORD_1
	v_add_u16_sdwa v20, v20, v16 dst_sel:DWORD dst_unused:UNUSED_PAD src0_sel:DWORD src1_sel:BYTE_3
	v_lshrrev_b32_e32 v18, 8, v17
	v_add_u16_e32 v20, v20, v17
	v_add_u16_e32 v20, v20, v18
	v_add_u16_sdwa v20, v20, v17 dst_sel:DWORD dst_unused:UNUSED_PAD src0_sel:DWORD src1_sel:WORD_1
	v_add_u16_sdwa v20, v20, v17 dst_sel:DWORD dst_unused:UNUSED_PAD src0_sel:DWORD src1_sel:BYTE_3
	s_waitcnt vmcnt(2)
	v_add_u16_e32 v20, v20, v13
	s_waitcnt vmcnt(1)
	v_add_u16_e32 v20, v20, v12
	;; [unrolled: 2-line block ×3, first 2 shown]
	v_and_b32_e32 v20, 0xff, v15
	s_nop 1
	v_mov_b32_dpp v20, v20 row_shr:1 row_mask:0xf bank_mask:0xf
	v_cndmask_b32_e64 v20, v20, 0, s[0:1]
	v_add_u16_e32 v15, v15, v20
	v_and_b32_e32 v20, 0xff, v15
	s_nop 1
	v_mov_b32_dpp v20, v20 row_shr:2 row_mask:0xf bank_mask:0xf
	v_cndmask_b32_e64 v20, 0, v20, s[2:3]
	v_add_u16_e32 v15, v15, v20
	;; [unrolled: 5-line block ×4, first 2 shown]
	v_and_b32_e32 v20, 0xff, v15
	s_nop 1
	v_mov_b32_dpp v20, v20 row_bcast:15 row_mask:0xf bank_mask:0xf
	v_cndmask_b32_e64 v20, v20, 0, s[8:9]
	v_add_u16_e32 v15, v15, v20
	v_and_b32_e32 v20, 0xff, v15
	s_nop 1
	v_mov_b32_dpp v20, v20 row_bcast:31 row_mask:0xf bank_mask:0xf
	v_cndmask_b32_e64 v20, 0, v20, s[10:11]
	v_add_u16_e32 v15, v15, v20
	s_and_saveexec_b64 s[14:15], vcc
; %bb.2:                                ;   in Loop: Header=BB184_1 Depth=1
	ds_write_b8 v11, v15
; %bb.3:                                ;   in Loop: Header=BB184_1 Depth=1
	s_or_b64 exec, exec, s[14:15]
	v_add_u16_e32 v15, s18, v15
	v_and_b32_e32 v15, 0xff, v15
	ds_bpermute_b32 v15, v14, v15
	v_mov_b32_e32 v20, s18
	s_add_i32 s16, s16, -1
	s_cmp_lg_u32 s16, 0
	s_waitcnt lgkmcnt(0)
	v_cndmask_b32_e64 v27, v15, v20, s[12:13]
	v_add_u16_e32 v26, v27, v16
	v_add_u16_e32 v22, v26, v19
	v_add_u16_sdwa v24, v22, v16 dst_sel:DWORD dst_unused:UNUSED_PAD src0_sel:DWORD src1_sel:WORD_1
	v_add_u16_sdwa v25, v24, v16 dst_sel:DWORD dst_unused:UNUSED_PAD src0_sel:DWORD src1_sel:BYTE_3
	v_add_u16_e32 v23, v25, v17
	v_lshlrev_b16_e32 v15, 8, v26
	v_lshlrev_b16_e32 v16, 8, v24
	v_add_u16_e32 v21, v23, v18
	v_or_b32_sdwa v15, v27, v15 dst_sel:DWORD dst_unused:UNUSED_PAD src0_sel:BYTE_0 src1_sel:DWORD
	v_or_b32_sdwa v16, v22, v16 dst_sel:WORD_1 dst_unused:UNUSED_PAD src0_sel:BYTE_0 src1_sel:DWORD
	v_add_u16_sdwa v20, v21, v17 dst_sel:DWORD dst_unused:UNUSED_PAD src0_sel:DWORD src1_sel:WORD_1
	v_or_b32_sdwa v16, v15, v16 dst_sel:DWORD dst_unused:UNUSED_PAD src0_sel:WORD_0 src1_sel:DWORD
	v_add_u16_sdwa v18, v20, v17 dst_sel:DWORD dst_unused:UNUSED_PAD src0_sel:DWORD src1_sel:BYTE_3
	v_lshlrev_b16_e32 v15, 8, v23
	v_lshlrev_b16_e32 v17, 8, v20
	v_or_b32_sdwa v15, v25, v15 dst_sel:DWORD dst_unused:UNUSED_PAD src0_sel:BYTE_0 src1_sel:DWORD
	v_or_b32_sdwa v17, v21, v17 dst_sel:WORD_1 dst_unused:UNUSED_PAD src0_sel:BYTE_0 src1_sel:DWORD
	v_add_u16_e32 v19, v18, v13
	v_or_b32_sdwa v17, v15, v17 dst_sel:DWORD dst_unused:UNUSED_PAD src0_sel:WORD_0 src1_sel:DWORD
	v_add_u16_e32 v15, v19, v12
	; wave barrier
	s_cbranch_scc0 .LBB184_5
; %bb.4:                                ;   in Loop: Header=BB184_1 Depth=1
	v_mov_b32_e32 v13, v18
	v_mov_b32_e32 v12, v19
	s_branch .LBB184_1
.LBB184_5:
	v_mov_b32_e32 v12, s23
	v_add_co_u32_e32 v11, vcc, s22, v6
	v_addc_co_u32_e32 v12, vcc, 0, v12, vcc
	v_mov_b32_e32 v6, s23
	v_add_co_u32_e32 v5, vcc, s22, v5
	v_addc_co_u32_e32 v6, vcc, 0, v6, vcc
	global_store_byte v[5:6], v26, off
	v_mov_b32_e32 v5, s23
	v_add_co_u32_e32 v4, vcc, s22, v4
	v_addc_co_u32_e32 v5, vcc, 0, v5, vcc
	global_store_byte v[4:5], v22, off
	;; [unrolled: 4-line block ×10, first 2 shown]
	global_store_byte v[0:1], v15, off
	s_endpgm
	.section	.rodata,"a",@progbits
	.p2align	6, 0x0
	.amdhsa_kernel _Z6kernelI14exclusive_scanILN6hipcub18BlockScanAlgorithmE0EEhLj64ELj11ELj100EEvPKT0_PS4_S4_
		.amdhsa_group_segment_fixed_size 1
		.amdhsa_private_segment_fixed_size 0
		.amdhsa_kernarg_size 280
		.amdhsa_user_sgpr_count 6
		.amdhsa_user_sgpr_private_segment_buffer 1
		.amdhsa_user_sgpr_dispatch_ptr 0
		.amdhsa_user_sgpr_queue_ptr 0
		.amdhsa_user_sgpr_kernarg_segment_ptr 1
		.amdhsa_user_sgpr_dispatch_id 0
		.amdhsa_user_sgpr_flat_scratch_init 0
		.amdhsa_user_sgpr_private_segment_size 0
		.amdhsa_uses_dynamic_stack 0
		.amdhsa_system_sgpr_private_segment_wavefront_offset 0
		.amdhsa_system_sgpr_workgroup_id_x 1
		.amdhsa_system_sgpr_workgroup_id_y 0
		.amdhsa_system_sgpr_workgroup_id_z 0
		.amdhsa_system_sgpr_workgroup_info 0
		.amdhsa_system_vgpr_workitem_id 0
		.amdhsa_next_free_vgpr 28
		.amdhsa_next_free_sgpr 24
		.amdhsa_reserve_vcc 1
		.amdhsa_reserve_flat_scratch 0
		.amdhsa_float_round_mode_32 0
		.amdhsa_float_round_mode_16_64 0
		.amdhsa_float_denorm_mode_32 3
		.amdhsa_float_denorm_mode_16_64 3
		.amdhsa_dx10_clamp 1
		.amdhsa_ieee_mode 1
		.amdhsa_fp16_overflow 0
		.amdhsa_exception_fp_ieee_invalid_op 0
		.amdhsa_exception_fp_denorm_src 0
		.amdhsa_exception_fp_ieee_div_zero 0
		.amdhsa_exception_fp_ieee_overflow 0
		.amdhsa_exception_fp_ieee_underflow 0
		.amdhsa_exception_fp_ieee_inexact 0
		.amdhsa_exception_int_div_zero 0
	.end_amdhsa_kernel
	.section	.text._Z6kernelI14exclusive_scanILN6hipcub18BlockScanAlgorithmE0EEhLj64ELj11ELj100EEvPKT0_PS4_S4_,"axG",@progbits,_Z6kernelI14exclusive_scanILN6hipcub18BlockScanAlgorithmE0EEhLj64ELj11ELj100EEvPKT0_PS4_S4_,comdat
.Lfunc_end184:
	.size	_Z6kernelI14exclusive_scanILN6hipcub18BlockScanAlgorithmE0EEhLj64ELj11ELj100EEvPKT0_PS4_S4_, .Lfunc_end184-_Z6kernelI14exclusive_scanILN6hipcub18BlockScanAlgorithmE0EEhLj64ELj11ELj100EEvPKT0_PS4_S4_
                                        ; -- End function
	.set _Z6kernelI14exclusive_scanILN6hipcub18BlockScanAlgorithmE0EEhLj64ELj11ELj100EEvPKT0_PS4_S4_.num_vgpr, 28
	.set _Z6kernelI14exclusive_scanILN6hipcub18BlockScanAlgorithmE0EEhLj64ELj11ELj100EEvPKT0_PS4_S4_.num_agpr, 0
	.set _Z6kernelI14exclusive_scanILN6hipcub18BlockScanAlgorithmE0EEhLj64ELj11ELj100EEvPKT0_PS4_S4_.numbered_sgpr, 24
	.set _Z6kernelI14exclusive_scanILN6hipcub18BlockScanAlgorithmE0EEhLj64ELj11ELj100EEvPKT0_PS4_S4_.num_named_barrier, 0
	.set _Z6kernelI14exclusive_scanILN6hipcub18BlockScanAlgorithmE0EEhLj64ELj11ELj100EEvPKT0_PS4_S4_.private_seg_size, 0
	.set _Z6kernelI14exclusive_scanILN6hipcub18BlockScanAlgorithmE0EEhLj64ELj11ELj100EEvPKT0_PS4_S4_.uses_vcc, 1
	.set _Z6kernelI14exclusive_scanILN6hipcub18BlockScanAlgorithmE0EEhLj64ELj11ELj100EEvPKT0_PS4_S4_.uses_flat_scratch, 0
	.set _Z6kernelI14exclusive_scanILN6hipcub18BlockScanAlgorithmE0EEhLj64ELj11ELj100EEvPKT0_PS4_S4_.has_dyn_sized_stack, 0
	.set _Z6kernelI14exclusive_scanILN6hipcub18BlockScanAlgorithmE0EEhLj64ELj11ELj100EEvPKT0_PS4_S4_.has_recursion, 0
	.set _Z6kernelI14exclusive_scanILN6hipcub18BlockScanAlgorithmE0EEhLj64ELj11ELj100EEvPKT0_PS4_S4_.has_indirect_call, 0
	.section	.AMDGPU.csdata,"",@progbits
; Kernel info:
; codeLenInByte = 1068
; TotalNumSgprs: 28
; NumVgprs: 28
; ScratchSize: 0
; MemoryBound: 0
; FloatMode: 240
; IeeeMode: 1
; LDSByteSize: 1 bytes/workgroup (compile time only)
; SGPRBlocks: 3
; VGPRBlocks: 6
; NumSGPRsForWavesPerEU: 28
; NumVGPRsForWavesPerEU: 28
; Occupancy: 9
; WaveLimiterHint : 0
; COMPUTE_PGM_RSRC2:SCRATCH_EN: 0
; COMPUTE_PGM_RSRC2:USER_SGPR: 6
; COMPUTE_PGM_RSRC2:TRAP_HANDLER: 0
; COMPUTE_PGM_RSRC2:TGID_X_EN: 1
; COMPUTE_PGM_RSRC2:TGID_Y_EN: 0
; COMPUTE_PGM_RSRC2:TGID_Z_EN: 0
; COMPUTE_PGM_RSRC2:TIDIG_COMP_CNT: 0
	.section	.text._Z6kernelI14exclusive_scanILN6hipcub18BlockScanAlgorithmE0EEhLj64ELj16ELj100EEvPKT0_PS4_S4_,"axG",@progbits,_Z6kernelI14exclusive_scanILN6hipcub18BlockScanAlgorithmE0EEhLj64ELj16ELj100EEvPKT0_PS4_S4_,comdat
	.protected	_Z6kernelI14exclusive_scanILN6hipcub18BlockScanAlgorithmE0EEhLj64ELj16ELj100EEvPKT0_PS4_S4_ ; -- Begin function _Z6kernelI14exclusive_scanILN6hipcub18BlockScanAlgorithmE0EEhLj64ELj16ELj100EEvPKT0_PS4_S4_
	.globl	_Z6kernelI14exclusive_scanILN6hipcub18BlockScanAlgorithmE0EEhLj64ELj16ELj100EEvPKT0_PS4_S4_
	.p2align	8
	.type	_Z6kernelI14exclusive_scanILN6hipcub18BlockScanAlgorithmE0EEhLj64ELj16ELj100EEvPKT0_PS4_S4_,@function
_Z6kernelI14exclusive_scanILN6hipcub18BlockScanAlgorithmE0EEhLj64ELj16ELj100EEvPKT0_PS4_S4_: ; @_Z6kernelI14exclusive_scanILN6hipcub18BlockScanAlgorithmE0EEhLj64ELj16ELj100EEvPKT0_PS4_S4_
; %bb.0:
	s_load_dword s0, s[4:5], 0x24
	s_load_dwordx4 s[16:19], s[4:5], 0x0
	s_load_dword s20, s[4:5], 0x10
	v_mbcnt_lo_u32_b32 v6, -1, 0
	v_mbcnt_hi_u32_b32 v6, -1, v6
	s_waitcnt lgkmcnt(0)
	s_and_b32 s0, s0, 0xffff
	s_mul_i32 s6, s6, s0
	v_add_lshl_u32 v5, s6, v0, 4
	global_load_dwordx4 v[1:4], v5, s[16:17]
	v_and_b32_e32 v7, 15, v6
	v_cmp_eq_u32_e32 vcc, 0, v7
	v_cmp_lt_u32_e64 s[0:1], 1, v7
	v_cmp_lt_u32_e64 s[2:3], 3, v7
	;; [unrolled: 1-line block ×3, first 2 shown]
	v_and_b32_e32 v7, 16, v6
	v_cmp_eq_u32_e64 s[6:7], 0, v7
	v_subrev_co_u32_e64 v7, s[12:13], 1, v6
	v_and_b32_e32 v8, 64, v6
	v_cmp_lt_i32_e64 s[14:15], v7, v8
	v_cmp_lt_u32_e64 s[8:9], 31, v6
	v_cndmask_b32_e64 v6, v7, v6, s[14:15]
	v_cmp_eq_u32_e64 s[14:15], 0, v0
	v_cmp_eq_u32_e64 s[10:11], 63, v0
	v_lshlrev_b32_e32 v6, 2, v6
	s_or_b64 s[12:13], s[14:15], s[12:13]
	s_movk_i32 s16, 0x64
	s_branch .LBB185_2
.LBB185_1:                              ;   in Loop: Header=BB185_2 Depth=1
	s_or_b64 exec, exec, s[14:15]
	v_add_u16_e32 v9, s20, v9
	v_and_b32_e32 v9, 0xff, v9
	ds_bpermute_b32 v9, v6, v9
	v_mov_b32_e32 v10, s20
	s_add_i32 s16, s16, -1
	s_cmp_lg_u32 s16, 0
	s_waitcnt lgkmcnt(0)
	v_cndmask_b32_e64 v9, v9, v10, s[12:13]
	v_add_u16_e32 v10, v9, v1
	v_add_u16_e32 v11, v10, v11
	v_add_u16_sdwa v12, v11, v1 dst_sel:DWORD dst_unused:UNUSED_PAD src0_sel:DWORD src1_sel:WORD_1
	v_lshlrev_b16_e32 v13, 8, v10
	v_lshlrev_b16_e32 v15, 8, v12
	v_or_b32_sdwa v14, v9, v13 dst_sel:DWORD dst_unused:UNUSED_PAD src0_sel:BYTE_0 src1_sel:DWORD
	v_add_u16_sdwa v13, v12, v1 dst_sel:DWORD dst_unused:UNUSED_PAD src0_sel:DWORD src1_sel:BYTE_3
	v_or_b32_sdwa v1, v11, v15 dst_sel:WORD_1 dst_unused:UNUSED_PAD src0_sel:BYTE_0 src1_sel:DWORD
	v_or_b32_sdwa v1, v14, v1 dst_sel:DWORD dst_unused:UNUSED_PAD src0_sel:WORD_0 src1_sel:DWORD
	v_add_u16_e32 v14, v13, v2
	v_add_u16_e32 v8, v14, v8
	v_lshlrev_b16_e32 v15, 8, v14
	v_or_b32_sdwa v17, v13, v15 dst_sel:DWORD dst_unused:UNUSED_PAD src0_sel:BYTE_0 src1_sel:DWORD
	v_add_u16_sdwa v15, v8, v2 dst_sel:DWORD dst_unused:UNUSED_PAD src0_sel:DWORD src1_sel:WORD_1
	v_lshlrev_b16_e32 v16, 8, v15
	v_or_b32_sdwa v18, v8, v16 dst_sel:WORD_1 dst_unused:UNUSED_PAD src0_sel:BYTE_0 src1_sel:DWORD
	v_add_u16_sdwa v16, v15, v2 dst_sel:DWORD dst_unused:UNUSED_PAD src0_sel:DWORD src1_sel:BYTE_3
	v_or_b32_sdwa v2, v17, v18 dst_sel:DWORD dst_unused:UNUSED_PAD src0_sel:WORD_0 src1_sel:DWORD
	v_add_u16_e32 v17, v16, v3
	v_add_u16_e32 v7, v17, v7
	v_lshlrev_b16_e32 v18, 8, v17
	v_or_b32_sdwa v20, v16, v18 dst_sel:DWORD dst_unused:UNUSED_PAD src0_sel:BYTE_0 src1_sel:DWORD
	v_add_u16_sdwa v18, v7, v3 dst_sel:DWORD dst_unused:UNUSED_PAD src0_sel:DWORD src1_sel:WORD_1
	v_lshlrev_b16_e32 v19, 8, v18
	v_or_b32_sdwa v21, v7, v19 dst_sel:WORD_1 dst_unused:UNUSED_PAD src0_sel:BYTE_0 src1_sel:DWORD
	v_add_u16_sdwa v19, v18, v3 dst_sel:DWORD dst_unused:UNUSED_PAD src0_sel:DWORD src1_sel:BYTE_3
	v_or_b32_sdwa v3, v20, v21 dst_sel:DWORD dst_unused:UNUSED_PAD src0_sel:WORD_0 src1_sel:DWORD
	v_add_u16_e32 v20, v19, v4
	v_add_u16_e32 v0, v20, v0
	v_lshlrev_b16_e32 v21, 8, v20
	v_or_b32_sdwa v22, v19, v21 dst_sel:DWORD dst_unused:UNUSED_PAD src0_sel:BYTE_0 src1_sel:DWORD
	v_add_u16_sdwa v21, v0, v4 dst_sel:DWORD dst_unused:UNUSED_PAD src0_sel:DWORD src1_sel:WORD_1
	v_lshlrev_b16_e32 v4, 8, v21
	v_or_b32_sdwa v4, v0, v4 dst_sel:WORD_1 dst_unused:UNUSED_PAD src0_sel:BYTE_0 src1_sel:DWORD
	v_or_b32_sdwa v4, v22, v4 dst_sel:DWORD dst_unused:UNUSED_PAD src0_sel:WORD_0 src1_sel:DWORD
	; wave barrier
	s_cbranch_scc0 .LBB185_4
.LBB185_2:                              ; =>This Inner Loop Header: Depth=1
	s_waitcnt vmcnt(0)
	v_lshrrev_b32_e32 v11, 8, v1
	v_add_u16_e32 v9, v11, v1
	v_add_u16_sdwa v9, v9, v1 dst_sel:DWORD dst_unused:UNUSED_PAD src0_sel:DWORD src1_sel:WORD_1
	v_add_u16_sdwa v9, v9, v1 dst_sel:DWORD dst_unused:UNUSED_PAD src0_sel:DWORD src1_sel:BYTE_3
	v_lshrrev_b32_e32 v8, 8, v2
	v_add_u16_e32 v9, v9, v2
	v_add_u16_e32 v9, v9, v8
	v_add_u16_sdwa v9, v9, v2 dst_sel:DWORD dst_unused:UNUSED_PAD src0_sel:DWORD src1_sel:WORD_1
	v_add_u16_sdwa v9, v9, v2 dst_sel:DWORD dst_unused:UNUSED_PAD src0_sel:DWORD src1_sel:BYTE_3
	v_lshrrev_b32_e32 v7, 8, v3
	v_add_u16_e32 v9, v9, v3
	;; [unrolled: 5-line block ×3, first 2 shown]
	v_add_u16_e32 v9, v9, v0
	v_add_u16_sdwa v9, v9, v4 dst_sel:DWORD dst_unused:UNUSED_PAD src0_sel:DWORD src1_sel:WORD_1
	v_add_u16_sdwa v9, v9, v4 dst_sel:DWORD dst_unused:UNUSED_PAD src0_sel:DWORD src1_sel:BYTE_3
	v_and_b32_e32 v10, 0xff, v9
	s_nop 1
	v_mov_b32_dpp v10, v10 row_shr:1 row_mask:0xf bank_mask:0xf
	v_cndmask_b32_e64 v10, v10, 0, vcc
	v_add_u16_e32 v9, v9, v10
	v_and_b32_e32 v10, 0xff, v9
	s_nop 1
	v_mov_b32_dpp v10, v10 row_shr:2 row_mask:0xf bank_mask:0xf
	v_cndmask_b32_e64 v10, 0, v10, s[0:1]
	v_add_u16_e32 v9, v9, v10
	v_and_b32_e32 v10, 0xff, v9
	s_nop 1
	v_mov_b32_dpp v10, v10 row_shr:4 row_mask:0xf bank_mask:0xf
	v_cndmask_b32_e64 v10, 0, v10, s[2:3]
	;; [unrolled: 5-line block ×3, first 2 shown]
	v_add_u16_e32 v9, v9, v10
	v_and_b32_e32 v10, 0xff, v9
	s_nop 1
	v_mov_b32_dpp v10, v10 row_bcast:15 row_mask:0xf bank_mask:0xf
	v_cndmask_b32_e64 v10, v10, 0, s[6:7]
	v_add_u16_e32 v9, v9, v10
	v_and_b32_e32 v10, 0xff, v9
	s_nop 1
	v_mov_b32_dpp v10, v10 row_bcast:31 row_mask:0xf bank_mask:0xf
	v_cndmask_b32_e64 v10, 0, v10, s[8:9]
	v_add_u16_e32 v9, v9, v10
	s_and_saveexec_b64 s[14:15], s[10:11]
	s_cbranch_execz .LBB185_1
; %bb.3:                                ;   in Loop: Header=BB185_2 Depth=1
	v_mov_b32_e32 v10, 0
	ds_write_b8 v10, v9
	s_branch .LBB185_1
.LBB185_4:
	v_mov_b32_e32 v1, s19
	v_add_co_u32_e32 v4, vcc, s18, v5
	s_mov_b32 s0, 0xc0c0004
	v_addc_co_u32_e32 v5, vcc, 0, v1, vcc
	v_perm_b32 v1, v19, v20, s0
	v_perm_b32 v0, v0, v21, s0
	v_lshl_or_b32 v3, v0, 16, v1
	v_perm_b32 v0, v16, v17, s0
	v_perm_b32 v1, v7, v18, s0
	v_lshl_or_b32 v2, v1, 16, v0
	;; [unrolled: 3-line block ×4, first 2 shown]
	global_store_dwordx4 v[4:5], v[0:3], off
	s_endpgm
	.section	.rodata,"a",@progbits
	.p2align	6, 0x0
	.amdhsa_kernel _Z6kernelI14exclusive_scanILN6hipcub18BlockScanAlgorithmE0EEhLj64ELj16ELj100EEvPKT0_PS4_S4_
		.amdhsa_group_segment_fixed_size 1
		.amdhsa_private_segment_fixed_size 0
		.amdhsa_kernarg_size 280
		.amdhsa_user_sgpr_count 6
		.amdhsa_user_sgpr_private_segment_buffer 1
		.amdhsa_user_sgpr_dispatch_ptr 0
		.amdhsa_user_sgpr_queue_ptr 0
		.amdhsa_user_sgpr_kernarg_segment_ptr 1
		.amdhsa_user_sgpr_dispatch_id 0
		.amdhsa_user_sgpr_flat_scratch_init 0
		.amdhsa_user_sgpr_private_segment_size 0
		.amdhsa_uses_dynamic_stack 0
		.amdhsa_system_sgpr_private_segment_wavefront_offset 0
		.amdhsa_system_sgpr_workgroup_id_x 1
		.amdhsa_system_sgpr_workgroup_id_y 0
		.amdhsa_system_sgpr_workgroup_id_z 0
		.amdhsa_system_sgpr_workgroup_info 0
		.amdhsa_system_vgpr_workitem_id 0
		.amdhsa_next_free_vgpr 23
		.amdhsa_next_free_sgpr 21
		.amdhsa_reserve_vcc 1
		.amdhsa_reserve_flat_scratch 0
		.amdhsa_float_round_mode_32 0
		.amdhsa_float_round_mode_16_64 0
		.amdhsa_float_denorm_mode_32 3
		.amdhsa_float_denorm_mode_16_64 3
		.amdhsa_dx10_clamp 1
		.amdhsa_ieee_mode 1
		.amdhsa_fp16_overflow 0
		.amdhsa_exception_fp_ieee_invalid_op 0
		.amdhsa_exception_fp_denorm_src 0
		.amdhsa_exception_fp_ieee_div_zero 0
		.amdhsa_exception_fp_ieee_overflow 0
		.amdhsa_exception_fp_ieee_underflow 0
		.amdhsa_exception_fp_ieee_inexact 0
		.amdhsa_exception_int_div_zero 0
	.end_amdhsa_kernel
	.section	.text._Z6kernelI14exclusive_scanILN6hipcub18BlockScanAlgorithmE0EEhLj64ELj16ELj100EEvPKT0_PS4_S4_,"axG",@progbits,_Z6kernelI14exclusive_scanILN6hipcub18BlockScanAlgorithmE0EEhLj64ELj16ELj100EEvPKT0_PS4_S4_,comdat
.Lfunc_end185:
	.size	_Z6kernelI14exclusive_scanILN6hipcub18BlockScanAlgorithmE0EEhLj64ELj16ELj100EEvPKT0_PS4_S4_, .Lfunc_end185-_Z6kernelI14exclusive_scanILN6hipcub18BlockScanAlgorithmE0EEhLj64ELj16ELj100EEvPKT0_PS4_S4_
                                        ; -- End function
	.set _Z6kernelI14exclusive_scanILN6hipcub18BlockScanAlgorithmE0EEhLj64ELj16ELj100EEvPKT0_PS4_S4_.num_vgpr, 23
	.set _Z6kernelI14exclusive_scanILN6hipcub18BlockScanAlgorithmE0EEhLj64ELj16ELj100EEvPKT0_PS4_S4_.num_agpr, 0
	.set _Z6kernelI14exclusive_scanILN6hipcub18BlockScanAlgorithmE0EEhLj64ELj16ELj100EEvPKT0_PS4_S4_.numbered_sgpr, 21
	.set _Z6kernelI14exclusive_scanILN6hipcub18BlockScanAlgorithmE0EEhLj64ELj16ELj100EEvPKT0_PS4_S4_.num_named_barrier, 0
	.set _Z6kernelI14exclusive_scanILN6hipcub18BlockScanAlgorithmE0EEhLj64ELj16ELj100EEvPKT0_PS4_S4_.private_seg_size, 0
	.set _Z6kernelI14exclusive_scanILN6hipcub18BlockScanAlgorithmE0EEhLj64ELj16ELj100EEvPKT0_PS4_S4_.uses_vcc, 1
	.set _Z6kernelI14exclusive_scanILN6hipcub18BlockScanAlgorithmE0EEhLj64ELj16ELj100EEvPKT0_PS4_S4_.uses_flat_scratch, 0
	.set _Z6kernelI14exclusive_scanILN6hipcub18BlockScanAlgorithmE0EEhLj64ELj16ELj100EEvPKT0_PS4_S4_.has_dyn_sized_stack, 0
	.set _Z6kernelI14exclusive_scanILN6hipcub18BlockScanAlgorithmE0EEhLj64ELj16ELj100EEvPKT0_PS4_S4_.has_recursion, 0
	.set _Z6kernelI14exclusive_scanILN6hipcub18BlockScanAlgorithmE0EEhLj64ELj16ELj100EEvPKT0_PS4_S4_.has_indirect_call, 0
	.section	.AMDGPU.csdata,"",@progbits
; Kernel info:
; codeLenInByte = 908
; TotalNumSgprs: 25
; NumVgprs: 23
; ScratchSize: 0
; MemoryBound: 0
; FloatMode: 240
; IeeeMode: 1
; LDSByteSize: 1 bytes/workgroup (compile time only)
; SGPRBlocks: 3
; VGPRBlocks: 5
; NumSGPRsForWavesPerEU: 25
; NumVGPRsForWavesPerEU: 23
; Occupancy: 10
; WaveLimiterHint : 0
; COMPUTE_PGM_RSRC2:SCRATCH_EN: 0
; COMPUTE_PGM_RSRC2:USER_SGPR: 6
; COMPUTE_PGM_RSRC2:TRAP_HANDLER: 0
; COMPUTE_PGM_RSRC2:TGID_X_EN: 1
; COMPUTE_PGM_RSRC2:TGID_Y_EN: 0
; COMPUTE_PGM_RSRC2:TGID_Z_EN: 0
; COMPUTE_PGM_RSRC2:TIDIG_COMP_CNT: 0
	.section	.text._Z6kernelI14exclusive_scanILN6hipcub18BlockScanAlgorithmE0EEiLj256ELj1ELj100EEvPKT0_PS4_S4_,"axG",@progbits,_Z6kernelI14exclusive_scanILN6hipcub18BlockScanAlgorithmE0EEiLj256ELj1ELj100EEvPKT0_PS4_S4_,comdat
	.protected	_Z6kernelI14exclusive_scanILN6hipcub18BlockScanAlgorithmE0EEiLj256ELj1ELj100EEvPKT0_PS4_S4_ ; -- Begin function _Z6kernelI14exclusive_scanILN6hipcub18BlockScanAlgorithmE0EEiLj256ELj1ELj100EEvPKT0_PS4_S4_
	.globl	_Z6kernelI14exclusive_scanILN6hipcub18BlockScanAlgorithmE0EEiLj256ELj1ELj100EEvPKT0_PS4_S4_
	.p2align	8
	.type	_Z6kernelI14exclusive_scanILN6hipcub18BlockScanAlgorithmE0EEiLj256ELj1ELj100EEvPKT0_PS4_S4_,@function
_Z6kernelI14exclusive_scanILN6hipcub18BlockScanAlgorithmE0EEiLj256ELj1ELj100EEvPKT0_PS4_S4_: ; @_Z6kernelI14exclusive_scanILN6hipcub18BlockScanAlgorithmE0EEiLj256ELj1ELj100EEvPKT0_PS4_S4_
; %bb.0:
	s_load_dword s0, s[4:5], 0x24
	s_load_dwordx4 s[20:23], s[4:5], 0x0
	s_load_dword s26, s[4:5], 0x10
	v_mov_b32_e32 v2, 0
	v_cmp_gt_u32_e64 s[12:13], 4, v0
	s_waitcnt lgkmcnt(0)
	s_and_b32 s0, s0, 0xffff
	s_mul_i32 s6, s6, s0
	v_add_u32_e32 v1, s6, v0
	v_lshlrev_b64 v[1:2], 2, v[1:2]
	v_mov_b32_e32 v4, s21
	v_add_co_u32_e32 v3, vcc, s20, v1
	v_addc_co_u32_e32 v4, vcc, v4, v2, vcc
	global_load_dword v6, v[3:4], off
	v_mbcnt_lo_u32_b32 v3, -1, 0
	v_mbcnt_hi_u32_b32 v5, -1, v3
	v_and_b32_e32 v3, 15, v5
	v_cmp_eq_u32_e32 vcc, 0, v3
	v_cmp_lt_u32_e64 s[0:1], 1, v3
	v_cmp_lt_u32_e64 s[2:3], 3, v3
	;; [unrolled: 1-line block ×3, first 2 shown]
	v_and_b32_e32 v3, 16, v5
	v_cmp_eq_u32_e64 s[6:7], 0, v3
	v_or_b32_e32 v3, 63, v0
	v_cmp_eq_u32_e64 s[10:11], v0, v3
	v_subrev_co_u32_e64 v3, s[16:17], 1, v5
	v_and_b32_e32 v4, 64, v5
	v_cmp_lt_i32_e64 s[18:19], v3, v4
	v_lshrrev_b32_e32 v4, 4, v0
	v_cmp_lt_u32_e64 s[8:9], 31, v5
	v_cndmask_b32_e64 v3, v3, v5, s[18:19]
	v_and_b32_e32 v4, 12, v4
	v_and_b32_e32 v5, 3, v5
	v_cmp_lt_u32_e64 s[14:15], 63, v0
	v_lshlrev_b32_e32 v3, 2, v3
	v_lshlrev_b32_e32 v0, 2, v0
	v_cmp_eq_u32_e64 s[18:19], 0, v5
	v_cmp_lt_u32_e64 s[20:21], 1, v5
	v_add_u32_e32 v5, -4, v4
	s_movk_i32 s27, 0x64
	s_branch .LBB186_2
.LBB186_1:                              ;   in Loop: Header=BB186_2 Depth=1
	s_or_b64 exec, exec, s[24:25]
	v_add_u32_e32 v6, v7, v6
	ds_bpermute_b32 v6, v3, v6
	s_add_i32 s27, s27, -1
	s_cmp_lg_u32 s27, 0
	s_waitcnt lgkmcnt(0)
	v_cndmask_b32_e64 v6, v6, v7, s[16:17]
	s_cbranch_scc0 .LBB186_8
.LBB186_2:                              ; =>This Inner Loop Header: Depth=1
	s_waitcnt vmcnt(0)
	v_mov_b32_dpp v7, v6 row_shr:1 row_mask:0xf bank_mask:0xf
	v_cndmask_b32_e64 v7, v7, 0, vcc
	v_add_u32_e32 v6, v7, v6
	s_nop 1
	v_mov_b32_dpp v7, v6 row_shr:2 row_mask:0xf bank_mask:0xf
	v_cndmask_b32_e64 v7, 0, v7, s[0:1]
	v_add_u32_e32 v6, v6, v7
	s_nop 1
	v_mov_b32_dpp v7, v6 row_shr:4 row_mask:0xf bank_mask:0xf
	v_cndmask_b32_e64 v7, 0, v7, s[2:3]
	;; [unrolled: 4-line block ×3, first 2 shown]
	v_add_u32_e32 v6, v6, v7
	s_nop 1
	v_mov_b32_dpp v7, v6 row_bcast:15 row_mask:0xf bank_mask:0xf
	v_cndmask_b32_e64 v7, v7, 0, s[6:7]
	v_add_u32_e32 v6, v6, v7
	s_nop 1
	v_mov_b32_dpp v7, v6 row_bcast:31 row_mask:0xf bank_mask:0xf
	v_cndmask_b32_e64 v7, 0, v7, s[8:9]
	v_add_u32_e32 v6, v6, v7
	s_and_saveexec_b64 s[24:25], s[10:11]
; %bb.3:                                ;   in Loop: Header=BB186_2 Depth=1
	ds_write_b32 v4, v6
; %bb.4:                                ;   in Loop: Header=BB186_2 Depth=1
	s_or_b64 exec, exec, s[24:25]
	s_waitcnt lgkmcnt(0)
	s_barrier
	s_and_saveexec_b64 s[24:25], s[12:13]
	s_cbranch_execz .LBB186_6
; %bb.5:                                ;   in Loop: Header=BB186_2 Depth=1
	ds_read_b32 v7, v0
	s_waitcnt lgkmcnt(0)
	s_nop 0
	v_mov_b32_dpp v8, v7 row_shr:1 row_mask:0xf bank_mask:0xf
	v_cndmask_b32_e64 v8, v8, 0, s[18:19]
	v_add_u32_e32 v7, v8, v7
	s_nop 1
	v_mov_b32_dpp v8, v7 row_shr:2 row_mask:0xf bank_mask:0xf
	v_cndmask_b32_e64 v8, 0, v8, s[20:21]
	v_add_u32_e32 v7, v7, v8
	ds_write_b32 v0, v7
.LBB186_6:                              ;   in Loop: Header=BB186_2 Depth=1
	s_or_b64 exec, exec, s[24:25]
	v_mov_b32_e32 v7, s26
	s_waitcnt lgkmcnt(0)
	s_barrier
	s_and_saveexec_b64 s[24:25], s[14:15]
	s_cbranch_execz .LBB186_1
; %bb.7:                                ;   in Loop: Header=BB186_2 Depth=1
	ds_read_b32 v7, v5
	s_waitcnt lgkmcnt(0)
	v_add_u32_e32 v7, s26, v7
	s_branch .LBB186_1
.LBB186_8:
	v_mov_b32_e32 v3, s23
	v_add_co_u32_e32 v0, vcc, s22, v1
	v_addc_co_u32_e32 v1, vcc, v3, v2, vcc
	global_store_dword v[0:1], v6, off
	s_endpgm
	.section	.rodata,"a",@progbits
	.p2align	6, 0x0
	.amdhsa_kernel _Z6kernelI14exclusive_scanILN6hipcub18BlockScanAlgorithmE0EEiLj256ELj1ELj100EEvPKT0_PS4_S4_
		.amdhsa_group_segment_fixed_size 16
		.amdhsa_private_segment_fixed_size 0
		.amdhsa_kernarg_size 280
		.amdhsa_user_sgpr_count 6
		.amdhsa_user_sgpr_private_segment_buffer 1
		.amdhsa_user_sgpr_dispatch_ptr 0
		.amdhsa_user_sgpr_queue_ptr 0
		.amdhsa_user_sgpr_kernarg_segment_ptr 1
		.amdhsa_user_sgpr_dispatch_id 0
		.amdhsa_user_sgpr_flat_scratch_init 0
		.amdhsa_user_sgpr_private_segment_size 0
		.amdhsa_uses_dynamic_stack 0
		.amdhsa_system_sgpr_private_segment_wavefront_offset 0
		.amdhsa_system_sgpr_workgroup_id_x 1
		.amdhsa_system_sgpr_workgroup_id_y 0
		.amdhsa_system_sgpr_workgroup_id_z 0
		.amdhsa_system_sgpr_workgroup_info 0
		.amdhsa_system_vgpr_workitem_id 0
		.amdhsa_next_free_vgpr 9
		.amdhsa_next_free_sgpr 28
		.amdhsa_reserve_vcc 1
		.amdhsa_reserve_flat_scratch 0
		.amdhsa_float_round_mode_32 0
		.amdhsa_float_round_mode_16_64 0
		.amdhsa_float_denorm_mode_32 3
		.amdhsa_float_denorm_mode_16_64 3
		.amdhsa_dx10_clamp 1
		.amdhsa_ieee_mode 1
		.amdhsa_fp16_overflow 0
		.amdhsa_exception_fp_ieee_invalid_op 0
		.amdhsa_exception_fp_denorm_src 0
		.amdhsa_exception_fp_ieee_div_zero 0
		.amdhsa_exception_fp_ieee_overflow 0
		.amdhsa_exception_fp_ieee_underflow 0
		.amdhsa_exception_fp_ieee_inexact 0
		.amdhsa_exception_int_div_zero 0
	.end_amdhsa_kernel
	.section	.text._Z6kernelI14exclusive_scanILN6hipcub18BlockScanAlgorithmE0EEiLj256ELj1ELj100EEvPKT0_PS4_S4_,"axG",@progbits,_Z6kernelI14exclusive_scanILN6hipcub18BlockScanAlgorithmE0EEiLj256ELj1ELj100EEvPKT0_PS4_S4_,comdat
.Lfunc_end186:
	.size	_Z6kernelI14exclusive_scanILN6hipcub18BlockScanAlgorithmE0EEiLj256ELj1ELj100EEvPKT0_PS4_S4_, .Lfunc_end186-_Z6kernelI14exclusive_scanILN6hipcub18BlockScanAlgorithmE0EEiLj256ELj1ELj100EEvPKT0_PS4_S4_
                                        ; -- End function
	.set _Z6kernelI14exclusive_scanILN6hipcub18BlockScanAlgorithmE0EEiLj256ELj1ELj100EEvPKT0_PS4_S4_.num_vgpr, 9
	.set _Z6kernelI14exclusive_scanILN6hipcub18BlockScanAlgorithmE0EEiLj256ELj1ELj100EEvPKT0_PS4_S4_.num_agpr, 0
	.set _Z6kernelI14exclusive_scanILN6hipcub18BlockScanAlgorithmE0EEiLj256ELj1ELj100EEvPKT0_PS4_S4_.numbered_sgpr, 28
	.set _Z6kernelI14exclusive_scanILN6hipcub18BlockScanAlgorithmE0EEiLj256ELj1ELj100EEvPKT0_PS4_S4_.num_named_barrier, 0
	.set _Z6kernelI14exclusive_scanILN6hipcub18BlockScanAlgorithmE0EEiLj256ELj1ELj100EEvPKT0_PS4_S4_.private_seg_size, 0
	.set _Z6kernelI14exclusive_scanILN6hipcub18BlockScanAlgorithmE0EEiLj256ELj1ELj100EEvPKT0_PS4_S4_.uses_vcc, 1
	.set _Z6kernelI14exclusive_scanILN6hipcub18BlockScanAlgorithmE0EEiLj256ELj1ELj100EEvPKT0_PS4_S4_.uses_flat_scratch, 0
	.set _Z6kernelI14exclusive_scanILN6hipcub18BlockScanAlgorithmE0EEiLj256ELj1ELj100EEvPKT0_PS4_S4_.has_dyn_sized_stack, 0
	.set _Z6kernelI14exclusive_scanILN6hipcub18BlockScanAlgorithmE0EEiLj256ELj1ELj100EEvPKT0_PS4_S4_.has_recursion, 0
	.set _Z6kernelI14exclusive_scanILN6hipcub18BlockScanAlgorithmE0EEiLj256ELj1ELj100EEvPKT0_PS4_S4_.has_indirect_call, 0
	.section	.AMDGPU.csdata,"",@progbits
; Kernel info:
; codeLenInByte = 600
; TotalNumSgprs: 32
; NumVgprs: 9
; ScratchSize: 0
; MemoryBound: 0
; FloatMode: 240
; IeeeMode: 1
; LDSByteSize: 16 bytes/workgroup (compile time only)
; SGPRBlocks: 3
; VGPRBlocks: 2
; NumSGPRsForWavesPerEU: 32
; NumVGPRsForWavesPerEU: 9
; Occupancy: 10
; WaveLimiterHint : 0
; COMPUTE_PGM_RSRC2:SCRATCH_EN: 0
; COMPUTE_PGM_RSRC2:USER_SGPR: 6
; COMPUTE_PGM_RSRC2:TRAP_HANDLER: 0
; COMPUTE_PGM_RSRC2:TGID_X_EN: 1
; COMPUTE_PGM_RSRC2:TGID_Y_EN: 0
; COMPUTE_PGM_RSRC2:TGID_Z_EN: 0
; COMPUTE_PGM_RSRC2:TIDIG_COMP_CNT: 0
	.section	.text._Z6kernelI14exclusive_scanILN6hipcub18BlockScanAlgorithmE0EEiLj256ELj3ELj100EEvPKT0_PS4_S4_,"axG",@progbits,_Z6kernelI14exclusive_scanILN6hipcub18BlockScanAlgorithmE0EEiLj256ELj3ELj100EEvPKT0_PS4_S4_,comdat
	.protected	_Z6kernelI14exclusive_scanILN6hipcub18BlockScanAlgorithmE0EEiLj256ELj3ELj100EEvPKT0_PS4_S4_ ; -- Begin function _Z6kernelI14exclusive_scanILN6hipcub18BlockScanAlgorithmE0EEiLj256ELj3ELj100EEvPKT0_PS4_S4_
	.globl	_Z6kernelI14exclusive_scanILN6hipcub18BlockScanAlgorithmE0EEiLj256ELj3ELj100EEvPKT0_PS4_S4_
	.p2align	8
	.type	_Z6kernelI14exclusive_scanILN6hipcub18BlockScanAlgorithmE0EEiLj256ELj3ELj100EEvPKT0_PS4_S4_,@function
_Z6kernelI14exclusive_scanILN6hipcub18BlockScanAlgorithmE0EEiLj256ELj3ELj100EEvPKT0_PS4_S4_: ; @_Z6kernelI14exclusive_scanILN6hipcub18BlockScanAlgorithmE0EEiLj256ELj3ELj100EEvPKT0_PS4_S4_
; %bb.0:
	s_load_dword s0, s[4:5], 0x24
	s_load_dwordx4 s[24:27], s[4:5], 0x0
	s_load_dword s28, s[4:5], 0x10
	v_mov_b32_e32 v6, 0
	v_mov_b32_e32 v4, v6
	s_waitcnt lgkmcnt(0)
	s_and_b32 s0, s0, 0xffff
	s_mul_i32 s6, s6, s0
	v_add_u32_e32 v1, s6, v0
	v_lshl_add_u32 v5, v1, 1, v1
	v_lshlrev_b64 v[1:2], 2, v[5:6]
	v_mov_b32_e32 v3, s25
	v_add_co_u32_e32 v9, vcc, s24, v1
	v_addc_co_u32_e32 v10, vcc, v3, v2, vcc
	v_add_u32_e32 v3, 1, v5
	v_lshlrev_b64 v[3:4], 2, v[3:4]
	v_add_u32_e32 v5, 2, v5
	v_mov_b32_e32 v7, s25
	v_add_co_u32_e32 v13, vcc, s24, v3
	v_lshlrev_b64 v[5:6], 2, v[5:6]
	v_addc_co_u32_e32 v14, vcc, v7, v4, vcc
	v_add_co_u32_e32 v15, vcc, s24, v5
	v_addc_co_u32_e32 v16, vcc, v7, v6, vcc
	global_load_dword v7, v[9:10], off
	global_load_dword v8, v[13:14], off
	;; [unrolled: 1-line block ×3, first 2 shown]
	v_mbcnt_lo_u32_b32 v9, -1, 0
	v_mbcnt_hi_u32_b32 v11, -1, v9
	v_and_b32_e32 v9, 15, v11
	v_cmp_eq_u32_e32 vcc, 0, v9
	v_cmp_lt_u32_e64 s[0:1], 1, v9
	v_cmp_lt_u32_e64 s[2:3], 3, v9
	;; [unrolled: 1-line block ×3, first 2 shown]
	v_and_b32_e32 v9, 16, v11
	v_cmp_eq_u32_e64 s[6:7], 0, v9
	v_or_b32_e32 v9, 63, v0
	v_cmp_eq_u32_e64 s[10:11], v0, v9
	v_subrev_co_u32_e64 v9, s[16:17], 1, v11
	v_and_b32_e32 v10, 64, v11
	v_cmp_lt_i32_e64 s[18:19], v9, v10
	v_lshrrev_b32_e32 v10, 4, v0
	v_cmp_lt_u32_e64 s[8:9], 31, v11
	v_cndmask_b32_e64 v9, v9, v11, s[18:19]
	v_and_b32_e32 v10, 12, v10
	v_and_b32_e32 v11, 3, v11
	v_cmp_gt_u32_e64 s[12:13], 4, v0
	v_cmp_lt_u32_e64 s[14:15], 63, v0
	v_lshlrev_b32_e32 v9, 2, v9
	v_cmp_eq_u32_e64 s[18:19], 0, v0
	v_lshlrev_b32_e32 v0, 2, v0
	v_cmp_eq_u32_e64 s[20:21], 0, v11
	v_cmp_lt_u32_e64 s[22:23], 1, v11
	v_add_u32_e32 v11, -4, v10
	s_movk_i32 s29, 0x64
.LBB187_1:                              ; =>This Inner Loop Header: Depth=1
	s_waitcnt vmcnt(0)
	v_add3_u32 v12, v8, v7, v12
	s_nop 1
	v_mov_b32_dpp v13, v12 row_shr:1 row_mask:0xf bank_mask:0xf
	v_cndmask_b32_e64 v13, v13, 0, vcc
	v_add_u32_e32 v12, v12, v13
	s_nop 1
	v_mov_b32_dpp v13, v12 row_shr:2 row_mask:0xf bank_mask:0xf
	v_cndmask_b32_e64 v13, 0, v13, s[0:1]
	v_add_u32_e32 v12, v12, v13
	s_nop 1
	v_mov_b32_dpp v13, v12 row_shr:4 row_mask:0xf bank_mask:0xf
	v_cndmask_b32_e64 v13, 0, v13, s[2:3]
	;; [unrolled: 4-line block ×3, first 2 shown]
	v_add_u32_e32 v12, v12, v13
	s_nop 1
	v_mov_b32_dpp v13, v12 row_bcast:15 row_mask:0xf bank_mask:0xf
	v_cndmask_b32_e64 v13, v13, 0, s[6:7]
	v_add_u32_e32 v12, v12, v13
	s_nop 1
	v_mov_b32_dpp v13, v12 row_bcast:31 row_mask:0xf bank_mask:0xf
	v_cndmask_b32_e64 v13, 0, v13, s[8:9]
	v_add_u32_e32 v12, v12, v13
	s_and_saveexec_b64 s[24:25], s[10:11]
; %bb.2:                                ;   in Loop: Header=BB187_1 Depth=1
	ds_write_b32 v10, v12
; %bb.3:                                ;   in Loop: Header=BB187_1 Depth=1
	s_or_b64 exec, exec, s[24:25]
	s_waitcnt lgkmcnt(0)
	s_barrier
	s_and_saveexec_b64 s[24:25], s[12:13]
	s_cbranch_execz .LBB187_5
; %bb.4:                                ;   in Loop: Header=BB187_1 Depth=1
	ds_read_b32 v13, v0
	s_waitcnt lgkmcnt(0)
	s_nop 0
	v_mov_b32_dpp v14, v13 row_shr:1 row_mask:0xf bank_mask:0xf
	v_cndmask_b32_e64 v14, v14, 0, s[20:21]
	v_add_u32_e32 v13, v14, v13
	s_nop 1
	v_mov_b32_dpp v14, v13 row_shr:2 row_mask:0xf bank_mask:0xf
	v_cndmask_b32_e64 v14, 0, v14, s[22:23]
	v_add_u32_e32 v13, v13, v14
	ds_write_b32 v0, v13
.LBB187_5:                              ;   in Loop: Header=BB187_1 Depth=1
	s_or_b64 exec, exec, s[24:25]
	v_mov_b32_e32 v13, s28
	s_waitcnt lgkmcnt(0)
	s_barrier
	s_and_saveexec_b64 s[24:25], s[14:15]
	s_cbranch_execz .LBB187_7
; %bb.6:                                ;   in Loop: Header=BB187_1 Depth=1
	ds_read_b32 v13, v11
	s_waitcnt lgkmcnt(0)
	v_add_u32_e32 v13, s28, v13
.LBB187_7:                              ;   in Loop: Header=BB187_1 Depth=1
	s_or_b64 exec, exec, s[24:25]
	v_add_u32_e32 v12, v13, v12
	ds_bpermute_b32 v12, v9, v12
	v_mov_b32_e32 v14, s28
	s_add_i32 s29, s29, -1
	s_cmp_lg_u32 s29, 0
	s_waitcnt lgkmcnt(0)
	v_cndmask_b32_e64 v12, v12, v13, s[16:17]
	v_cndmask_b32_e64 v14, v12, v14, s[18:19]
	v_add_u32_e32 v13, v14, v7
	v_add_u32_e32 v12, v13, v8
	s_cbranch_scc0 .LBB187_9
; %bb.8:                                ;   in Loop: Header=BB187_1 Depth=1
	v_mov_b32_e32 v7, v14
	v_mov_b32_e32 v8, v13
	s_branch .LBB187_1
.LBB187_9:
	v_mov_b32_e32 v7, s27
	v_add_co_u32_e32 v0, vcc, s26, v1
	v_addc_co_u32_e32 v1, vcc, v7, v2, vcc
	global_store_dword v[0:1], v14, off
	v_mov_b32_e32 v1, s27
	v_add_co_u32_e32 v0, vcc, s26, v3
	v_addc_co_u32_e32 v1, vcc, v1, v4, vcc
	global_store_dword v[0:1], v13, off
	;; [unrolled: 4-line block ×3, first 2 shown]
	s_endpgm
	.section	.rodata,"a",@progbits
	.p2align	6, 0x0
	.amdhsa_kernel _Z6kernelI14exclusive_scanILN6hipcub18BlockScanAlgorithmE0EEiLj256ELj3ELj100EEvPKT0_PS4_S4_
		.amdhsa_group_segment_fixed_size 16
		.amdhsa_private_segment_fixed_size 0
		.amdhsa_kernarg_size 280
		.amdhsa_user_sgpr_count 6
		.amdhsa_user_sgpr_private_segment_buffer 1
		.amdhsa_user_sgpr_dispatch_ptr 0
		.amdhsa_user_sgpr_queue_ptr 0
		.amdhsa_user_sgpr_kernarg_segment_ptr 1
		.amdhsa_user_sgpr_dispatch_id 0
		.amdhsa_user_sgpr_flat_scratch_init 0
		.amdhsa_user_sgpr_private_segment_size 0
		.amdhsa_uses_dynamic_stack 0
		.amdhsa_system_sgpr_private_segment_wavefront_offset 0
		.amdhsa_system_sgpr_workgroup_id_x 1
		.amdhsa_system_sgpr_workgroup_id_y 0
		.amdhsa_system_sgpr_workgroup_id_z 0
		.amdhsa_system_sgpr_workgroup_info 0
		.amdhsa_system_vgpr_workitem_id 0
		.amdhsa_next_free_vgpr 17
		.amdhsa_next_free_sgpr 30
		.amdhsa_reserve_vcc 1
		.amdhsa_reserve_flat_scratch 0
		.amdhsa_float_round_mode_32 0
		.amdhsa_float_round_mode_16_64 0
		.amdhsa_float_denorm_mode_32 3
		.amdhsa_float_denorm_mode_16_64 3
		.amdhsa_dx10_clamp 1
		.amdhsa_ieee_mode 1
		.amdhsa_fp16_overflow 0
		.amdhsa_exception_fp_ieee_invalid_op 0
		.amdhsa_exception_fp_denorm_src 0
		.amdhsa_exception_fp_ieee_div_zero 0
		.amdhsa_exception_fp_ieee_overflow 0
		.amdhsa_exception_fp_ieee_underflow 0
		.amdhsa_exception_fp_ieee_inexact 0
		.amdhsa_exception_int_div_zero 0
	.end_amdhsa_kernel
	.section	.text._Z6kernelI14exclusive_scanILN6hipcub18BlockScanAlgorithmE0EEiLj256ELj3ELj100EEvPKT0_PS4_S4_,"axG",@progbits,_Z6kernelI14exclusive_scanILN6hipcub18BlockScanAlgorithmE0EEiLj256ELj3ELj100EEvPKT0_PS4_S4_,comdat
.Lfunc_end187:
	.size	_Z6kernelI14exclusive_scanILN6hipcub18BlockScanAlgorithmE0EEiLj256ELj3ELj100EEvPKT0_PS4_S4_, .Lfunc_end187-_Z6kernelI14exclusive_scanILN6hipcub18BlockScanAlgorithmE0EEiLj256ELj3ELj100EEvPKT0_PS4_S4_
                                        ; -- End function
	.set _Z6kernelI14exclusive_scanILN6hipcub18BlockScanAlgorithmE0EEiLj256ELj3ELj100EEvPKT0_PS4_S4_.num_vgpr, 17
	.set _Z6kernelI14exclusive_scanILN6hipcub18BlockScanAlgorithmE0EEiLj256ELj3ELj100EEvPKT0_PS4_S4_.num_agpr, 0
	.set _Z6kernelI14exclusive_scanILN6hipcub18BlockScanAlgorithmE0EEiLj256ELj3ELj100EEvPKT0_PS4_S4_.numbered_sgpr, 30
	.set _Z6kernelI14exclusive_scanILN6hipcub18BlockScanAlgorithmE0EEiLj256ELj3ELj100EEvPKT0_PS4_S4_.num_named_barrier, 0
	.set _Z6kernelI14exclusive_scanILN6hipcub18BlockScanAlgorithmE0EEiLj256ELj3ELj100EEvPKT0_PS4_S4_.private_seg_size, 0
	.set _Z6kernelI14exclusive_scanILN6hipcub18BlockScanAlgorithmE0EEiLj256ELj3ELj100EEvPKT0_PS4_S4_.uses_vcc, 1
	.set _Z6kernelI14exclusive_scanILN6hipcub18BlockScanAlgorithmE0EEiLj256ELj3ELj100EEvPKT0_PS4_S4_.uses_flat_scratch, 0
	.set _Z6kernelI14exclusive_scanILN6hipcub18BlockScanAlgorithmE0EEiLj256ELj3ELj100EEvPKT0_PS4_S4_.has_dyn_sized_stack, 0
	.set _Z6kernelI14exclusive_scanILN6hipcub18BlockScanAlgorithmE0EEiLj256ELj3ELj100EEvPKT0_PS4_S4_.has_recursion, 0
	.set _Z6kernelI14exclusive_scanILN6hipcub18BlockScanAlgorithmE0EEiLj256ELj3ELj100EEvPKT0_PS4_S4_.has_indirect_call, 0
	.section	.AMDGPU.csdata,"",@progbits
; Kernel info:
; codeLenInByte = 756
; TotalNumSgprs: 34
; NumVgprs: 17
; ScratchSize: 0
; MemoryBound: 0
; FloatMode: 240
; IeeeMode: 1
; LDSByteSize: 16 bytes/workgroup (compile time only)
; SGPRBlocks: 4
; VGPRBlocks: 4
; NumSGPRsForWavesPerEU: 34
; NumVGPRsForWavesPerEU: 17
; Occupancy: 10
; WaveLimiterHint : 0
; COMPUTE_PGM_RSRC2:SCRATCH_EN: 0
; COMPUTE_PGM_RSRC2:USER_SGPR: 6
; COMPUTE_PGM_RSRC2:TRAP_HANDLER: 0
; COMPUTE_PGM_RSRC2:TGID_X_EN: 1
; COMPUTE_PGM_RSRC2:TGID_Y_EN: 0
; COMPUTE_PGM_RSRC2:TGID_Z_EN: 0
; COMPUTE_PGM_RSRC2:TIDIG_COMP_CNT: 0
	.section	.text._Z6kernelI14exclusive_scanILN6hipcub18BlockScanAlgorithmE0EEiLj256ELj4ELj100EEvPKT0_PS4_S4_,"axG",@progbits,_Z6kernelI14exclusive_scanILN6hipcub18BlockScanAlgorithmE0EEiLj256ELj4ELj100EEvPKT0_PS4_S4_,comdat
	.protected	_Z6kernelI14exclusive_scanILN6hipcub18BlockScanAlgorithmE0EEiLj256ELj4ELj100EEvPKT0_PS4_S4_ ; -- Begin function _Z6kernelI14exclusive_scanILN6hipcub18BlockScanAlgorithmE0EEiLj256ELj4ELj100EEvPKT0_PS4_S4_
	.globl	_Z6kernelI14exclusive_scanILN6hipcub18BlockScanAlgorithmE0EEiLj256ELj4ELj100EEvPKT0_PS4_S4_
	.p2align	8
	.type	_Z6kernelI14exclusive_scanILN6hipcub18BlockScanAlgorithmE0EEiLj256ELj4ELj100EEvPKT0_PS4_S4_,@function
_Z6kernelI14exclusive_scanILN6hipcub18BlockScanAlgorithmE0EEiLj256ELj4ELj100EEvPKT0_PS4_S4_: ; @_Z6kernelI14exclusive_scanILN6hipcub18BlockScanAlgorithmE0EEiLj256ELj4ELj100EEvPKT0_PS4_S4_
; %bb.0:
	s_load_dword s0, s[4:5], 0x24
	s_load_dwordx4 s[24:27], s[4:5], 0x0
	s_load_dword s28, s[4:5], 0x10
	v_mov_b32_e32 v2, 0
	v_mbcnt_lo_u32_b32 v5, -1, 0
	s_waitcnt lgkmcnt(0)
	s_and_b32 s0, s0, 0xffff
	s_mul_i32 s6, s6, s0
	v_add_lshl_u32 v1, s6, v0, 2
	v_lshlrev_b64 v[8:9], 2, v[1:2]
	v_mov_b32_e32 v2, s25
	v_add_co_u32_e32 v1, vcc, s24, v8
	v_addc_co_u32_e32 v2, vcc, v2, v9, vcc
	global_load_dwordx4 v[1:4], v[1:2], off
	v_mbcnt_hi_u32_b32 v5, -1, v5
	v_and_b32_e32 v6, 15, v5
	v_cmp_eq_u32_e32 vcc, 0, v6
	v_cmp_lt_u32_e64 s[0:1], 1, v6
	v_cmp_lt_u32_e64 s[2:3], 3, v6
	;; [unrolled: 1-line block ×3, first 2 shown]
	v_and_b32_e32 v6, 16, v5
	v_cmp_eq_u32_e64 s[6:7], 0, v6
	v_or_b32_e32 v6, 63, v0
	v_cmp_eq_u32_e64 s[10:11], v0, v6
	v_subrev_co_u32_e64 v6, s[16:17], 1, v5
	v_and_b32_e32 v7, 64, v5
	v_cmp_lt_i32_e64 s[18:19], v6, v7
	v_cndmask_b32_e64 v6, v6, v5, s[18:19]
	v_lshlrev_b32_e32 v10, 2, v6
	v_lshrrev_b32_e32 v6, 4, v0
	v_cmp_lt_u32_e64 s[8:9], 31, v5
	v_and_b32_e32 v11, 12, v6
	v_and_b32_e32 v5, 3, v5
	v_cmp_gt_u32_e64 s[12:13], 4, v0
	v_cmp_lt_u32_e64 s[14:15], 63, v0
	v_cmp_eq_u32_e64 s[18:19], 0, v0
	v_lshlrev_b32_e32 v0, 2, v0
	v_cmp_eq_u32_e64 s[20:21], 0, v5
	v_cmp_lt_u32_e64 s[22:23], 1, v5
	v_add_u32_e32 v12, -4, v11
	s_movk_i32 s29, 0x64
.LBB188_1:                              ; =>This Inner Loop Header: Depth=1
	s_waitcnt vmcnt(0)
	v_add_u32_e32 v5, v2, v1
	v_add3_u32 v4, v5, v3, v4
	s_nop 1
	v_mov_b32_dpp v5, v4 row_shr:1 row_mask:0xf bank_mask:0xf
	v_cndmask_b32_e64 v5, v5, 0, vcc
	v_add_u32_e32 v4, v4, v5
	s_nop 1
	v_mov_b32_dpp v5, v4 row_shr:2 row_mask:0xf bank_mask:0xf
	v_cndmask_b32_e64 v5, 0, v5, s[0:1]
	v_add_u32_e32 v4, v4, v5
	s_nop 1
	v_mov_b32_dpp v5, v4 row_shr:4 row_mask:0xf bank_mask:0xf
	v_cndmask_b32_e64 v5, 0, v5, s[2:3]
	;; [unrolled: 4-line block ×3, first 2 shown]
	v_add_u32_e32 v4, v4, v5
	s_nop 1
	v_mov_b32_dpp v5, v4 row_bcast:15 row_mask:0xf bank_mask:0xf
	v_cndmask_b32_e64 v5, v5, 0, s[6:7]
	v_add_u32_e32 v4, v4, v5
	s_nop 1
	v_mov_b32_dpp v5, v4 row_bcast:31 row_mask:0xf bank_mask:0xf
	v_cndmask_b32_e64 v5, 0, v5, s[8:9]
	v_add_u32_e32 v4, v4, v5
	s_and_saveexec_b64 s[24:25], s[10:11]
; %bb.2:                                ;   in Loop: Header=BB188_1 Depth=1
	ds_write_b32 v11, v4
; %bb.3:                                ;   in Loop: Header=BB188_1 Depth=1
	s_or_b64 exec, exec, s[24:25]
	s_waitcnt lgkmcnt(0)
	s_barrier
	s_and_saveexec_b64 s[24:25], s[12:13]
	s_cbranch_execz .LBB188_5
; %bb.4:                                ;   in Loop: Header=BB188_1 Depth=1
	ds_read_b32 v5, v0
	s_waitcnt lgkmcnt(0)
	s_nop 0
	v_mov_b32_dpp v6, v5 row_shr:1 row_mask:0xf bank_mask:0xf
	v_cndmask_b32_e64 v6, v6, 0, s[20:21]
	v_add_u32_e32 v5, v6, v5
	s_nop 1
	v_mov_b32_dpp v6, v5 row_shr:2 row_mask:0xf bank_mask:0xf
	v_cndmask_b32_e64 v6, 0, v6, s[22:23]
	v_add_u32_e32 v5, v5, v6
	ds_write_b32 v0, v5
.LBB188_5:                              ;   in Loop: Header=BB188_1 Depth=1
	s_or_b64 exec, exec, s[24:25]
	v_mov_b32_e32 v5, s28
	s_waitcnt lgkmcnt(0)
	s_barrier
	s_and_saveexec_b64 s[24:25], s[14:15]
	s_cbranch_execz .LBB188_7
; %bb.6:                                ;   in Loop: Header=BB188_1 Depth=1
	ds_read_b32 v5, v12
	s_waitcnt lgkmcnt(0)
	v_add_u32_e32 v5, s28, v5
.LBB188_7:                              ;   in Loop: Header=BB188_1 Depth=1
	s_or_b64 exec, exec, s[24:25]
	v_add_u32_e32 v4, v5, v4
	ds_bpermute_b32 v4, v10, v4
	v_mov_b32_e32 v6, s28
	s_add_i32 s29, s29, -1
	s_cmp_lg_u32 s29, 0
	s_waitcnt lgkmcnt(0)
	v_cndmask_b32_e64 v4, v4, v5, s[16:17]
	v_cndmask_b32_e64 v5, v4, v6, s[18:19]
	v_add_u32_e32 v6, v5, v1
	v_add_u32_e32 v7, v6, v2
	;; [unrolled: 1-line block ×3, first 2 shown]
	s_cbranch_scc0 .LBB188_9
; %bb.8:                                ;   in Loop: Header=BB188_1 Depth=1
	v_mov_b32_e32 v1, v5
	v_mov_b32_e32 v2, v6
	;; [unrolled: 1-line block ×3, first 2 shown]
	s_branch .LBB188_1
.LBB188_9:
	v_mov_b32_e32 v1, s27
	v_add_co_u32_e32 v0, vcc, s26, v8
	v_addc_co_u32_e32 v1, vcc, v1, v9, vcc
	v_mov_b32_e32 v8, v4
	global_store_dwordx4 v[0:1], v[5:8], off
	s_endpgm
	.section	.rodata,"a",@progbits
	.p2align	6, 0x0
	.amdhsa_kernel _Z6kernelI14exclusive_scanILN6hipcub18BlockScanAlgorithmE0EEiLj256ELj4ELj100EEvPKT0_PS4_S4_
		.amdhsa_group_segment_fixed_size 16
		.amdhsa_private_segment_fixed_size 0
		.amdhsa_kernarg_size 280
		.amdhsa_user_sgpr_count 6
		.amdhsa_user_sgpr_private_segment_buffer 1
		.amdhsa_user_sgpr_dispatch_ptr 0
		.amdhsa_user_sgpr_queue_ptr 0
		.amdhsa_user_sgpr_kernarg_segment_ptr 1
		.amdhsa_user_sgpr_dispatch_id 0
		.amdhsa_user_sgpr_flat_scratch_init 0
		.amdhsa_user_sgpr_private_segment_size 0
		.amdhsa_uses_dynamic_stack 0
		.amdhsa_system_sgpr_private_segment_wavefront_offset 0
		.amdhsa_system_sgpr_workgroup_id_x 1
		.amdhsa_system_sgpr_workgroup_id_y 0
		.amdhsa_system_sgpr_workgroup_id_z 0
		.amdhsa_system_sgpr_workgroup_info 0
		.amdhsa_system_vgpr_workitem_id 0
		.amdhsa_next_free_vgpr 13
		.amdhsa_next_free_sgpr 30
		.amdhsa_reserve_vcc 1
		.amdhsa_reserve_flat_scratch 0
		.amdhsa_float_round_mode_32 0
		.amdhsa_float_round_mode_16_64 0
		.amdhsa_float_denorm_mode_32 3
		.amdhsa_float_denorm_mode_16_64 3
		.amdhsa_dx10_clamp 1
		.amdhsa_ieee_mode 1
		.amdhsa_fp16_overflow 0
		.amdhsa_exception_fp_ieee_invalid_op 0
		.amdhsa_exception_fp_denorm_src 0
		.amdhsa_exception_fp_ieee_div_zero 0
		.amdhsa_exception_fp_ieee_overflow 0
		.amdhsa_exception_fp_ieee_underflow 0
		.amdhsa_exception_fp_ieee_inexact 0
		.amdhsa_exception_int_div_zero 0
	.end_amdhsa_kernel
	.section	.text._Z6kernelI14exclusive_scanILN6hipcub18BlockScanAlgorithmE0EEiLj256ELj4ELj100EEvPKT0_PS4_S4_,"axG",@progbits,_Z6kernelI14exclusive_scanILN6hipcub18BlockScanAlgorithmE0EEiLj256ELj4ELj100EEvPKT0_PS4_S4_,comdat
.Lfunc_end188:
	.size	_Z6kernelI14exclusive_scanILN6hipcub18BlockScanAlgorithmE0EEiLj256ELj4ELj100EEvPKT0_PS4_S4_, .Lfunc_end188-_Z6kernelI14exclusive_scanILN6hipcub18BlockScanAlgorithmE0EEiLj256ELj4ELj100EEvPKT0_PS4_S4_
                                        ; -- End function
	.set _Z6kernelI14exclusive_scanILN6hipcub18BlockScanAlgorithmE0EEiLj256ELj4ELj100EEvPKT0_PS4_S4_.num_vgpr, 13
	.set _Z6kernelI14exclusive_scanILN6hipcub18BlockScanAlgorithmE0EEiLj256ELj4ELj100EEvPKT0_PS4_S4_.num_agpr, 0
	.set _Z6kernelI14exclusive_scanILN6hipcub18BlockScanAlgorithmE0EEiLj256ELj4ELj100EEvPKT0_PS4_S4_.numbered_sgpr, 30
	.set _Z6kernelI14exclusive_scanILN6hipcub18BlockScanAlgorithmE0EEiLj256ELj4ELj100EEvPKT0_PS4_S4_.num_named_barrier, 0
	.set _Z6kernelI14exclusive_scanILN6hipcub18BlockScanAlgorithmE0EEiLj256ELj4ELj100EEvPKT0_PS4_S4_.private_seg_size, 0
	.set _Z6kernelI14exclusive_scanILN6hipcub18BlockScanAlgorithmE0EEiLj256ELj4ELj100EEvPKT0_PS4_S4_.uses_vcc, 1
	.set _Z6kernelI14exclusive_scanILN6hipcub18BlockScanAlgorithmE0EEiLj256ELj4ELj100EEvPKT0_PS4_S4_.uses_flat_scratch, 0
	.set _Z6kernelI14exclusive_scanILN6hipcub18BlockScanAlgorithmE0EEiLj256ELj4ELj100EEvPKT0_PS4_S4_.has_dyn_sized_stack, 0
	.set _Z6kernelI14exclusive_scanILN6hipcub18BlockScanAlgorithmE0EEiLj256ELj4ELj100EEvPKT0_PS4_S4_.has_recursion, 0
	.set _Z6kernelI14exclusive_scanILN6hipcub18BlockScanAlgorithmE0EEiLj256ELj4ELj100EEvPKT0_PS4_S4_.has_indirect_call, 0
	.section	.AMDGPU.csdata,"",@progbits
; Kernel info:
; codeLenInByte = 664
; TotalNumSgprs: 34
; NumVgprs: 13
; ScratchSize: 0
; MemoryBound: 0
; FloatMode: 240
; IeeeMode: 1
; LDSByteSize: 16 bytes/workgroup (compile time only)
; SGPRBlocks: 4
; VGPRBlocks: 3
; NumSGPRsForWavesPerEU: 34
; NumVGPRsForWavesPerEU: 13
; Occupancy: 10
; WaveLimiterHint : 0
; COMPUTE_PGM_RSRC2:SCRATCH_EN: 0
; COMPUTE_PGM_RSRC2:USER_SGPR: 6
; COMPUTE_PGM_RSRC2:TRAP_HANDLER: 0
; COMPUTE_PGM_RSRC2:TGID_X_EN: 1
; COMPUTE_PGM_RSRC2:TGID_Y_EN: 0
; COMPUTE_PGM_RSRC2:TGID_Z_EN: 0
; COMPUTE_PGM_RSRC2:TIDIG_COMP_CNT: 0
	.section	.text._Z6kernelI14exclusive_scanILN6hipcub18BlockScanAlgorithmE0EEiLj256ELj8ELj100EEvPKT0_PS4_S4_,"axG",@progbits,_Z6kernelI14exclusive_scanILN6hipcub18BlockScanAlgorithmE0EEiLj256ELj8ELj100EEvPKT0_PS4_S4_,comdat
	.protected	_Z6kernelI14exclusive_scanILN6hipcub18BlockScanAlgorithmE0EEiLj256ELj8ELj100EEvPKT0_PS4_S4_ ; -- Begin function _Z6kernelI14exclusive_scanILN6hipcub18BlockScanAlgorithmE0EEiLj256ELj8ELj100EEvPKT0_PS4_S4_
	.globl	_Z6kernelI14exclusive_scanILN6hipcub18BlockScanAlgorithmE0EEiLj256ELj8ELj100EEvPKT0_PS4_S4_
	.p2align	8
	.type	_Z6kernelI14exclusive_scanILN6hipcub18BlockScanAlgorithmE0EEiLj256ELj8ELj100EEvPKT0_PS4_S4_,@function
_Z6kernelI14exclusive_scanILN6hipcub18BlockScanAlgorithmE0EEiLj256ELj8ELj100EEvPKT0_PS4_S4_: ; @_Z6kernelI14exclusive_scanILN6hipcub18BlockScanAlgorithmE0EEiLj256ELj8ELj100EEvPKT0_PS4_S4_
; %bb.0:
	s_load_dword s0, s[4:5], 0x24
	s_load_dwordx4 s[24:27], s[4:5], 0x0
	s_load_dword s28, s[4:5], 0x10
	v_mov_b32_e32 v2, 0
	v_cmp_gt_u32_e64 s[12:13], 4, v0
	s_waitcnt lgkmcnt(0)
	s_and_b32 s0, s0, 0xffff
	s_mul_i32 s6, s6, s0
	v_add_lshl_u32 v1, s6, v0, 3
	v_lshlrev_b64 v[16:17], 2, v[1:2]
	v_mov_b32_e32 v1, s25
	v_add_co_u32_e32 v9, vcc, s24, v16
	v_addc_co_u32_e32 v10, vcc, v1, v17, vcc
	global_load_dwordx4 v[5:8], v[9:10], off
	global_load_dwordx4 v[1:4], v[9:10], off offset:16
	v_mbcnt_lo_u32_b32 v9, -1, 0
	v_mbcnt_hi_u32_b32 v9, -1, v9
	v_and_b32_e32 v10, 15, v9
	v_cmp_eq_u32_e32 vcc, 0, v10
	v_cmp_lt_u32_e64 s[0:1], 1, v10
	v_cmp_lt_u32_e64 s[2:3], 3, v10
	;; [unrolled: 1-line block ×3, first 2 shown]
	v_and_b32_e32 v10, 16, v9
	v_cmp_eq_u32_e64 s[6:7], 0, v10
	v_or_b32_e32 v10, 63, v0
	v_cmp_eq_u32_e64 s[10:11], v0, v10
	v_subrev_co_u32_e64 v10, s[16:17], 1, v9
	v_and_b32_e32 v11, 64, v9
	v_cmp_lt_i32_e64 s[18:19], v10, v11
	v_cndmask_b32_e64 v10, v10, v9, s[18:19]
	v_lshlrev_b32_e32 v18, 2, v10
	v_lshrrev_b32_e32 v10, 4, v0
	v_cmp_lt_u32_e64 s[8:9], 31, v9
	v_and_b32_e32 v19, 12, v10
	v_and_b32_e32 v9, 3, v9
	v_cmp_lt_u32_e64 s[14:15], 63, v0
	v_cmp_eq_u32_e64 s[18:19], 0, v0
	v_lshlrev_b32_e32 v0, 2, v0
	v_cmp_eq_u32_e64 s[20:21], 0, v9
	v_cmp_lt_u32_e64 s[22:23], 1, v9
	v_add_u32_e32 v20, -4, v19
	s_movk_i32 s29, 0x64
.LBB189_1:                              ; =>This Inner Loop Header: Depth=1
	s_waitcnt vmcnt(1)
	v_add_u32_e32 v9, v6, v5
	v_add3_u32 v9, v9, v7, v8
	s_waitcnt vmcnt(0)
	v_add3_u32 v9, v9, v1, v2
	v_add3_u32 v4, v9, v3, v4
	s_nop 1
	v_mov_b32_dpp v9, v4 row_shr:1 row_mask:0xf bank_mask:0xf
	v_cndmask_b32_e64 v9, v9, 0, vcc
	v_add_u32_e32 v4, v4, v9
	s_nop 1
	v_mov_b32_dpp v9, v4 row_shr:2 row_mask:0xf bank_mask:0xf
	v_cndmask_b32_e64 v9, 0, v9, s[0:1]
	v_add_u32_e32 v4, v4, v9
	s_nop 1
	v_mov_b32_dpp v9, v4 row_shr:4 row_mask:0xf bank_mask:0xf
	v_cndmask_b32_e64 v9, 0, v9, s[2:3]
	v_add_u32_e32 v4, v4, v9
	s_nop 1
	v_mov_b32_dpp v9, v4 row_shr:8 row_mask:0xf bank_mask:0xf
	v_cndmask_b32_e64 v9, 0, v9, s[4:5]
	v_add_u32_e32 v4, v4, v9
	s_nop 1
	v_mov_b32_dpp v9, v4 row_bcast:15 row_mask:0xf bank_mask:0xf
	v_cndmask_b32_e64 v9, v9, 0, s[6:7]
	v_add_u32_e32 v4, v4, v9
	s_nop 1
	v_mov_b32_dpp v9, v4 row_bcast:31 row_mask:0xf bank_mask:0xf
	v_cndmask_b32_e64 v9, 0, v9, s[8:9]
	v_add_u32_e32 v4, v4, v9
	s_and_saveexec_b64 s[24:25], s[10:11]
; %bb.2:                                ;   in Loop: Header=BB189_1 Depth=1
	ds_write_b32 v19, v4
; %bb.3:                                ;   in Loop: Header=BB189_1 Depth=1
	s_or_b64 exec, exec, s[24:25]
	s_waitcnt lgkmcnt(0)
	s_barrier
	s_and_saveexec_b64 s[24:25], s[12:13]
	s_cbranch_execz .LBB189_5
; %bb.4:                                ;   in Loop: Header=BB189_1 Depth=1
	ds_read_b32 v9, v0
	s_waitcnt lgkmcnt(0)
	s_nop 0
	v_mov_b32_dpp v10, v9 row_shr:1 row_mask:0xf bank_mask:0xf
	v_cndmask_b32_e64 v10, v10, 0, s[20:21]
	v_add_u32_e32 v9, v10, v9
	s_nop 1
	v_mov_b32_dpp v10, v9 row_shr:2 row_mask:0xf bank_mask:0xf
	v_cndmask_b32_e64 v10, 0, v10, s[22:23]
	v_add_u32_e32 v9, v9, v10
	ds_write_b32 v0, v9
.LBB189_5:                              ;   in Loop: Header=BB189_1 Depth=1
	s_or_b64 exec, exec, s[24:25]
	v_mov_b32_e32 v9, s28
	s_waitcnt lgkmcnt(0)
	s_barrier
	s_and_saveexec_b64 s[24:25], s[14:15]
	s_cbranch_execz .LBB189_7
; %bb.6:                                ;   in Loop: Header=BB189_1 Depth=1
	ds_read_b32 v9, v20
	s_waitcnt lgkmcnt(0)
	v_add_u32_e32 v9, s28, v9
.LBB189_7:                              ;   in Loop: Header=BB189_1 Depth=1
	s_or_b64 exec, exec, s[24:25]
	v_add_u32_e32 v4, v9, v4
	ds_bpermute_b32 v4, v18, v4
	v_mov_b32_e32 v10, s28
	s_add_i32 s29, s29, -1
	s_cmp_lg_u32 s29, 0
	s_waitcnt lgkmcnt(0)
	v_cndmask_b32_e64 v4, v4, v9, s[16:17]
	v_cndmask_b32_e64 v12, v4, v10, s[18:19]
	v_add_u32_e32 v13, v12, v5
	v_add_u32_e32 v14, v13, v6
	v_add_u32_e32 v15, v14, v7
	v_add_u32_e32 v9, v15, v8
	v_add_u32_e32 v10, v9, v1
	v_add_u32_e32 v11, v10, v2
	v_add_u32_e32 v4, v11, v3
	s_cbranch_scc0 .LBB189_9
; %bb.8:                                ;   in Loop: Header=BB189_1 Depth=1
	v_mov_b32_e32 v5, v12
	v_mov_b32_e32 v6, v13
	;; [unrolled: 1-line block ×7, first 2 shown]
	s_branch .LBB189_1
.LBB189_9:
	v_mov_b32_e32 v1, s27
	v_add_co_u32_e32 v0, vcc, s26, v16
	v_addc_co_u32_e32 v1, vcc, v1, v17, vcc
	global_store_dwordx4 v[0:1], v[12:15], off
	s_nop 0
	v_mov_b32_e32 v12, v4
	global_store_dwordx4 v[0:1], v[9:12], off offset:16
	s_endpgm
	.section	.rodata,"a",@progbits
	.p2align	6, 0x0
	.amdhsa_kernel _Z6kernelI14exclusive_scanILN6hipcub18BlockScanAlgorithmE0EEiLj256ELj8ELj100EEvPKT0_PS4_S4_
		.amdhsa_group_segment_fixed_size 16
		.amdhsa_private_segment_fixed_size 0
		.amdhsa_kernarg_size 280
		.amdhsa_user_sgpr_count 6
		.amdhsa_user_sgpr_private_segment_buffer 1
		.amdhsa_user_sgpr_dispatch_ptr 0
		.amdhsa_user_sgpr_queue_ptr 0
		.amdhsa_user_sgpr_kernarg_segment_ptr 1
		.amdhsa_user_sgpr_dispatch_id 0
		.amdhsa_user_sgpr_flat_scratch_init 0
		.amdhsa_user_sgpr_private_segment_size 0
		.amdhsa_uses_dynamic_stack 0
		.amdhsa_system_sgpr_private_segment_wavefront_offset 0
		.amdhsa_system_sgpr_workgroup_id_x 1
		.amdhsa_system_sgpr_workgroup_id_y 0
		.amdhsa_system_sgpr_workgroup_id_z 0
		.amdhsa_system_sgpr_workgroup_info 0
		.amdhsa_system_vgpr_workitem_id 0
		.amdhsa_next_free_vgpr 21
		.amdhsa_next_free_sgpr 30
		.amdhsa_reserve_vcc 1
		.amdhsa_reserve_flat_scratch 0
		.amdhsa_float_round_mode_32 0
		.amdhsa_float_round_mode_16_64 0
		.amdhsa_float_denorm_mode_32 3
		.amdhsa_float_denorm_mode_16_64 3
		.amdhsa_dx10_clamp 1
		.amdhsa_ieee_mode 1
		.amdhsa_fp16_overflow 0
		.amdhsa_exception_fp_ieee_invalid_op 0
		.amdhsa_exception_fp_denorm_src 0
		.amdhsa_exception_fp_ieee_div_zero 0
		.amdhsa_exception_fp_ieee_overflow 0
		.amdhsa_exception_fp_ieee_underflow 0
		.amdhsa_exception_fp_ieee_inexact 0
		.amdhsa_exception_int_div_zero 0
	.end_amdhsa_kernel
	.section	.text._Z6kernelI14exclusive_scanILN6hipcub18BlockScanAlgorithmE0EEiLj256ELj8ELj100EEvPKT0_PS4_S4_,"axG",@progbits,_Z6kernelI14exclusive_scanILN6hipcub18BlockScanAlgorithmE0EEiLj256ELj8ELj100EEvPKT0_PS4_S4_,comdat
.Lfunc_end189:
	.size	_Z6kernelI14exclusive_scanILN6hipcub18BlockScanAlgorithmE0EEiLj256ELj8ELj100EEvPKT0_PS4_S4_, .Lfunc_end189-_Z6kernelI14exclusive_scanILN6hipcub18BlockScanAlgorithmE0EEiLj256ELj8ELj100EEvPKT0_PS4_S4_
                                        ; -- End function
	.set _Z6kernelI14exclusive_scanILN6hipcub18BlockScanAlgorithmE0EEiLj256ELj8ELj100EEvPKT0_PS4_S4_.num_vgpr, 21
	.set _Z6kernelI14exclusive_scanILN6hipcub18BlockScanAlgorithmE0EEiLj256ELj8ELj100EEvPKT0_PS4_S4_.num_agpr, 0
	.set _Z6kernelI14exclusive_scanILN6hipcub18BlockScanAlgorithmE0EEiLj256ELj8ELj100EEvPKT0_PS4_S4_.numbered_sgpr, 30
	.set _Z6kernelI14exclusive_scanILN6hipcub18BlockScanAlgorithmE0EEiLj256ELj8ELj100EEvPKT0_PS4_S4_.num_named_barrier, 0
	.set _Z6kernelI14exclusive_scanILN6hipcub18BlockScanAlgorithmE0EEiLj256ELj8ELj100EEvPKT0_PS4_S4_.private_seg_size, 0
	.set _Z6kernelI14exclusive_scanILN6hipcub18BlockScanAlgorithmE0EEiLj256ELj8ELj100EEvPKT0_PS4_S4_.uses_vcc, 1
	.set _Z6kernelI14exclusive_scanILN6hipcub18BlockScanAlgorithmE0EEiLj256ELj8ELj100EEvPKT0_PS4_S4_.uses_flat_scratch, 0
	.set _Z6kernelI14exclusive_scanILN6hipcub18BlockScanAlgorithmE0EEiLj256ELj8ELj100EEvPKT0_PS4_S4_.has_dyn_sized_stack, 0
	.set _Z6kernelI14exclusive_scanILN6hipcub18BlockScanAlgorithmE0EEiLj256ELj8ELj100EEvPKT0_PS4_S4_.has_recursion, 0
	.set _Z6kernelI14exclusive_scanILN6hipcub18BlockScanAlgorithmE0EEiLj256ELj8ELj100EEvPKT0_PS4_S4_.has_indirect_call, 0
	.section	.AMDGPU.csdata,"",@progbits
; Kernel info:
; codeLenInByte = 736
; TotalNumSgprs: 34
; NumVgprs: 21
; ScratchSize: 0
; MemoryBound: 0
; FloatMode: 240
; IeeeMode: 1
; LDSByteSize: 16 bytes/workgroup (compile time only)
; SGPRBlocks: 4
; VGPRBlocks: 5
; NumSGPRsForWavesPerEU: 34
; NumVGPRsForWavesPerEU: 21
; Occupancy: 10
; WaveLimiterHint : 0
; COMPUTE_PGM_RSRC2:SCRATCH_EN: 0
; COMPUTE_PGM_RSRC2:USER_SGPR: 6
; COMPUTE_PGM_RSRC2:TRAP_HANDLER: 0
; COMPUTE_PGM_RSRC2:TGID_X_EN: 1
; COMPUTE_PGM_RSRC2:TGID_Y_EN: 0
; COMPUTE_PGM_RSRC2:TGID_Z_EN: 0
; COMPUTE_PGM_RSRC2:TIDIG_COMP_CNT: 0
	.section	.text._Z6kernelI14exclusive_scanILN6hipcub18BlockScanAlgorithmE0EEiLj256ELj11ELj100EEvPKT0_PS4_S4_,"axG",@progbits,_Z6kernelI14exclusive_scanILN6hipcub18BlockScanAlgorithmE0EEiLj256ELj11ELj100EEvPKT0_PS4_S4_,comdat
	.protected	_Z6kernelI14exclusive_scanILN6hipcub18BlockScanAlgorithmE0EEiLj256ELj11ELj100EEvPKT0_PS4_S4_ ; -- Begin function _Z6kernelI14exclusive_scanILN6hipcub18BlockScanAlgorithmE0EEiLj256ELj11ELj100EEvPKT0_PS4_S4_
	.globl	_Z6kernelI14exclusive_scanILN6hipcub18BlockScanAlgorithmE0EEiLj256ELj11ELj100EEvPKT0_PS4_S4_
	.p2align	8
	.type	_Z6kernelI14exclusive_scanILN6hipcub18BlockScanAlgorithmE0EEiLj256ELj11ELj100EEvPKT0_PS4_S4_,@function
_Z6kernelI14exclusive_scanILN6hipcub18BlockScanAlgorithmE0EEiLj256ELj11ELj100EEvPKT0_PS4_S4_: ; @_Z6kernelI14exclusive_scanILN6hipcub18BlockScanAlgorithmE0EEiLj256ELj11ELj100EEvPKT0_PS4_S4_
; %bb.0:
	s_load_dword s0, s[4:5], 0x24
	s_load_dwordx4 s[24:27], s[4:5], 0x0
	s_load_dword s28, s[4:5], 0x10
	v_mov_b32_e32 v18, 0
	v_cmp_gt_u32_e64 s[18:19], 4, v0
	s_waitcnt lgkmcnt(0)
	s_and_b32 s0, s0, 0xffff
	s_mul_i32 s6, s6, s0
	v_add_u32_e32 v1, s6, v0
	v_mul_lo_u32 v17, v1, 11
	v_mov_b32_e32 v2, s25
	v_mov_b32_e32 v23, s25
	v_cmp_lt_u32_e64 s[20:21], 63, v0
	v_lshlrev_b64 v[15:16], 2, v[17:18]
	v_add_u32_e32 v1, 1, v17
	v_add_co_u32_e32 v19, vcc, s24, v15
	v_addc_co_u32_e32 v20, vcc, v2, v16, vcc
	v_mov_b32_e32 v2, v18
	v_lshlrev_b64 v[13:14], 2, v[1:2]
	v_mov_b32_e32 v1, s25
	v_add_co_u32_e32 v21, vcc, s24, v13
	v_addc_co_u32_e32 v22, vcc, v1, v14, vcc
	v_add_u32_e32 v1, 2, v17
	v_lshlrev_b64 v[11:12], 2, v[1:2]
	v_mov_b32_e32 v1, s25
	v_add_co_u32_e32 v31, vcc, s24, v11
	v_addc_co_u32_e32 v32, vcc, v1, v12, vcc
	v_add_u32_e32 v1, 3, v17
	;; [unrolled: 5-line block ×6, first 2 shown]
	v_lshlrev_b64 v[1:2], 2, v[1:2]
	v_cmp_eq_u32_e64 s[22:23], 0, v0
	v_add_co_u32_e32 v41, vcc, s24, v1
	v_addc_co_u32_e32 v42, vcc, v23, v2, vcc
	global_load_dword v30, v[19:20], off
	global_load_dword v28, v[21:22], off
	;; [unrolled: 1-line block ×5, first 2 shown]
                                        ; kill: killed $vgpr33 killed $vgpr34
                                        ; kill: killed $vgpr21 killed $vgpr22
                                        ; kill: killed $vgpr31 killed $vgpr32
                                        ; kill: killed $vgpr35 killed $vgpr36
                                        ; kill: killed $vgpr19 killed $vgpr20
	global_load_dword v29, v[37:38], off
	global_load_dword v27, v[39:40], off
	;; [unrolled: 1-line block ×3, first 2 shown]
	v_add_u32_e32 v19, 8, v17
	v_mov_b32_e32 v20, v18
	v_lshlrev_b64 v[21:22], 2, v[19:20]
	v_mov_b32_e32 v19, s25
	v_add_co_u32_e32 v34, vcc, s24, v21
	v_addc_co_u32_e32 v35, vcc, v19, v22, vcc
	v_add_u32_e32 v19, 9, v17
	v_lshlrev_b64 v[19:20], 2, v[19:20]
	v_add_u32_e32 v17, 10, v17
	v_mov_b32_e32 v31, s25
	v_add_co_u32_e32 v36, vcc, s24, v19
	v_lshlrev_b64 v[17:18], 2, v[17:18]
	v_addc_co_u32_e32 v37, vcc, v31, v20, vcc
	v_add_co_u32_e32 v38, vcc, s24, v17
	v_addc_co_u32_e32 v39, vcc, v31, v18, vcc
	global_load_dword v32, v[34:35], off
	global_load_dword v31, v[36:37], off
	;; [unrolled: 1-line block ×3, first 2 shown]
	v_mbcnt_lo_u32_b32 v34, -1, 0
	v_mbcnt_hi_u32_b32 v34, -1, v34
	v_and_b32_e32 v35, 15, v34
	v_cmp_eq_u32_e32 vcc, 0, v35
	v_cmp_lt_u32_e64 s[0:1], 1, v35
	v_cmp_lt_u32_e64 s[2:3], 3, v35
	;; [unrolled: 1-line block ×3, first 2 shown]
	v_and_b32_e32 v35, 16, v34
	v_cmp_eq_u32_e64 s[6:7], 0, v35
	v_or_b32_e32 v35, 63, v0
	v_cmp_eq_u32_e64 s[8:9], v0, v35
	v_subrev_co_u32_e64 v35, s[10:11], 1, v34
	v_and_b32_e32 v36, 64, v34
	v_cmp_lt_i32_e64 s[14:15], v35, v36
	v_cmp_lt_u32_e64 s[12:13], 31, v34
	v_cndmask_b32_e64 v35, v35, v34, s[14:15]
	v_and_b32_e32 v34, 3, v34
	v_cmp_eq_u32_e64 s[14:15], 0, v34
	v_cmp_lt_u32_e64 s[16:17], 1, v34
	v_lshlrev_b32_e32 v34, 2, v35
	v_lshrrev_b32_e32 v35, 4, v0
	v_and_b32_e32 v35, 12, v35
	v_lshlrev_b32_e32 v0, 2, v0
	s_movk_i32 s29, 0x64
	v_add_u32_e32 v36, -4, v35
.LBB190_1:                              ; =>This Inner Loop Header: Depth=1
	s_waitcnt vmcnt(0)
	v_add3_u32 v33, v31, v33, v32
	v_add3_u32 v33, v33, v25, v27
	;; [unrolled: 1-line block ×5, first 2 shown]
	s_nop 1
	v_mov_b32_dpp v37, v33 row_shr:1 row_mask:0xf bank_mask:0xf
	v_cndmask_b32_e64 v37, v37, 0, vcc
	v_add_u32_e32 v33, v33, v37
	s_nop 1
	v_mov_b32_dpp v37, v33 row_shr:2 row_mask:0xf bank_mask:0xf
	v_cndmask_b32_e64 v37, 0, v37, s[0:1]
	v_add_u32_e32 v33, v33, v37
	s_nop 1
	v_mov_b32_dpp v37, v33 row_shr:4 row_mask:0xf bank_mask:0xf
	v_cndmask_b32_e64 v37, 0, v37, s[2:3]
	;; [unrolled: 4-line block ×3, first 2 shown]
	v_add_u32_e32 v33, v33, v37
	s_nop 1
	v_mov_b32_dpp v37, v33 row_bcast:15 row_mask:0xf bank_mask:0xf
	v_cndmask_b32_e64 v37, v37, 0, s[6:7]
	v_add_u32_e32 v33, v33, v37
	s_nop 1
	v_mov_b32_dpp v37, v33 row_bcast:31 row_mask:0xf bank_mask:0xf
	v_cndmask_b32_e64 v37, 0, v37, s[12:13]
	v_add_u32_e32 v33, v33, v37
	s_and_saveexec_b64 s[24:25], s[8:9]
; %bb.2:                                ;   in Loop: Header=BB190_1 Depth=1
	ds_write_b32 v35, v33
; %bb.3:                                ;   in Loop: Header=BB190_1 Depth=1
	s_or_b64 exec, exec, s[24:25]
	s_waitcnt lgkmcnt(0)
	s_barrier
	s_and_saveexec_b64 s[24:25], s[18:19]
	s_cbranch_execz .LBB190_5
; %bb.4:                                ;   in Loop: Header=BB190_1 Depth=1
	ds_read_b32 v37, v0
	s_waitcnt lgkmcnt(0)
	s_nop 0
	v_mov_b32_dpp v38, v37 row_shr:1 row_mask:0xf bank_mask:0xf
	v_cndmask_b32_e64 v38, v38, 0, s[14:15]
	v_add_u32_e32 v37, v38, v37
	s_nop 1
	v_mov_b32_dpp v38, v37 row_shr:2 row_mask:0xf bank_mask:0xf
	v_cndmask_b32_e64 v38, 0, v38, s[16:17]
	v_add_u32_e32 v37, v37, v38
	ds_write_b32 v0, v37
.LBB190_5:                              ;   in Loop: Header=BB190_1 Depth=1
	s_or_b64 exec, exec, s[24:25]
	v_mov_b32_e32 v37, s28
	s_waitcnt lgkmcnt(0)
	s_barrier
	s_and_saveexec_b64 s[24:25], s[20:21]
	s_cbranch_execz .LBB190_7
; %bb.6:                                ;   in Loop: Header=BB190_1 Depth=1
	ds_read_b32 v37, v36
	s_waitcnt lgkmcnt(0)
	v_add_u32_e32 v37, s28, v37
.LBB190_7:                              ;   in Loop: Header=BB190_1 Depth=1
	s_or_b64 exec, exec, s[24:25]
	v_add_u32_e32 v33, v37, v33
	ds_bpermute_b32 v33, v34, v33
	v_mov_b32_e32 v38, s28
	s_add_i32 s29, s29, -1
	s_cmp_lg_u32 s29, 0
	s_waitcnt lgkmcnt(0)
	v_cndmask_b32_e64 v33, v33, v37, s[10:11]
	v_cndmask_b32_e64 v41, v33, v38, s[22:23]
	v_add_u32_e32 v40, v41, v30
	v_add_u32_e32 v39, v40, v28
	;; [unrolled: 1-line block ×10, first 2 shown]
	s_cbranch_scc0 .LBB190_9
; %bb.8:                                ;   in Loop: Header=BB190_1 Depth=1
	v_mov_b32_e32 v31, v23
	v_mov_b32_e32 v32, v24
	;; [unrolled: 1-line block ×10, first 2 shown]
	s_branch .LBB190_1
.LBB190_9:
	v_mov_b32_e32 v0, s27
	v_add_co_u32_e32 v15, vcc, s26, v15
	v_addc_co_u32_e32 v16, vcc, v0, v16, vcc
	v_add_co_u32_e32 v13, vcc, s26, v13
	v_addc_co_u32_e32 v14, vcc, v0, v14, vcc
	;; [unrolled: 2-line block ×7, first 2 shown]
	global_store_dword v[3:4], v28, off
	v_mov_b32_e32 v3, s27
	v_add_co_u32_e32 v0, vcc, s26, v1
	v_addc_co_u32_e32 v1, vcc, v3, v2, vcc
	global_store_dword v[0:1], v26, off
	v_mov_b32_e32 v1, s27
	v_add_co_u32_e32 v0, vcc, s26, v21
	v_addc_co_u32_e32 v1, vcc, v1, v22, vcc
	;; [unrolled: 4-line block ×4, first 2 shown]
	global_store_dword v[15:16], v41, off
	global_store_dword v[13:14], v40, off
	;; [unrolled: 1-line block ×7, first 2 shown]
	s_endpgm
	.section	.rodata,"a",@progbits
	.p2align	6, 0x0
	.amdhsa_kernel _Z6kernelI14exclusive_scanILN6hipcub18BlockScanAlgorithmE0EEiLj256ELj11ELj100EEvPKT0_PS4_S4_
		.amdhsa_group_segment_fixed_size 16
		.amdhsa_private_segment_fixed_size 0
		.amdhsa_kernarg_size 280
		.amdhsa_user_sgpr_count 6
		.amdhsa_user_sgpr_private_segment_buffer 1
		.amdhsa_user_sgpr_dispatch_ptr 0
		.amdhsa_user_sgpr_queue_ptr 0
		.amdhsa_user_sgpr_kernarg_segment_ptr 1
		.amdhsa_user_sgpr_dispatch_id 0
		.amdhsa_user_sgpr_flat_scratch_init 0
		.amdhsa_user_sgpr_private_segment_size 0
		.amdhsa_uses_dynamic_stack 0
		.amdhsa_system_sgpr_private_segment_wavefront_offset 0
		.amdhsa_system_sgpr_workgroup_id_x 1
		.amdhsa_system_sgpr_workgroup_id_y 0
		.amdhsa_system_sgpr_workgroup_id_z 0
		.amdhsa_system_sgpr_workgroup_info 0
		.amdhsa_system_vgpr_workitem_id 0
		.amdhsa_next_free_vgpr 43
		.amdhsa_next_free_sgpr 30
		.amdhsa_reserve_vcc 1
		.amdhsa_reserve_flat_scratch 0
		.amdhsa_float_round_mode_32 0
		.amdhsa_float_round_mode_16_64 0
		.amdhsa_float_denorm_mode_32 3
		.amdhsa_float_denorm_mode_16_64 3
		.amdhsa_dx10_clamp 1
		.amdhsa_ieee_mode 1
		.amdhsa_fp16_overflow 0
		.amdhsa_exception_fp_ieee_invalid_op 0
		.amdhsa_exception_fp_denorm_src 0
		.amdhsa_exception_fp_ieee_div_zero 0
		.amdhsa_exception_fp_ieee_overflow 0
		.amdhsa_exception_fp_ieee_underflow 0
		.amdhsa_exception_fp_ieee_inexact 0
		.amdhsa_exception_int_div_zero 0
	.end_amdhsa_kernel
	.section	.text._Z6kernelI14exclusive_scanILN6hipcub18BlockScanAlgorithmE0EEiLj256ELj11ELj100EEvPKT0_PS4_S4_,"axG",@progbits,_Z6kernelI14exclusive_scanILN6hipcub18BlockScanAlgorithmE0EEiLj256ELj11ELj100EEvPKT0_PS4_S4_,comdat
.Lfunc_end190:
	.size	_Z6kernelI14exclusive_scanILN6hipcub18BlockScanAlgorithmE0EEiLj256ELj11ELj100EEvPKT0_PS4_S4_, .Lfunc_end190-_Z6kernelI14exclusive_scanILN6hipcub18BlockScanAlgorithmE0EEiLj256ELj11ELj100EEvPKT0_PS4_S4_
                                        ; -- End function
	.set _Z6kernelI14exclusive_scanILN6hipcub18BlockScanAlgorithmE0EEiLj256ELj11ELj100EEvPKT0_PS4_S4_.num_vgpr, 43
	.set _Z6kernelI14exclusive_scanILN6hipcub18BlockScanAlgorithmE0EEiLj256ELj11ELj100EEvPKT0_PS4_S4_.num_agpr, 0
	.set _Z6kernelI14exclusive_scanILN6hipcub18BlockScanAlgorithmE0EEiLj256ELj11ELj100EEvPKT0_PS4_S4_.numbered_sgpr, 30
	.set _Z6kernelI14exclusive_scanILN6hipcub18BlockScanAlgorithmE0EEiLj256ELj11ELj100EEvPKT0_PS4_S4_.num_named_barrier, 0
	.set _Z6kernelI14exclusive_scanILN6hipcub18BlockScanAlgorithmE0EEiLj256ELj11ELj100EEvPKT0_PS4_S4_.private_seg_size, 0
	.set _Z6kernelI14exclusive_scanILN6hipcub18BlockScanAlgorithmE0EEiLj256ELj11ELj100EEvPKT0_PS4_S4_.uses_vcc, 1
	.set _Z6kernelI14exclusive_scanILN6hipcub18BlockScanAlgorithmE0EEiLj256ELj11ELj100EEvPKT0_PS4_S4_.uses_flat_scratch, 0
	.set _Z6kernelI14exclusive_scanILN6hipcub18BlockScanAlgorithmE0EEiLj256ELj11ELj100EEvPKT0_PS4_S4_.has_dyn_sized_stack, 0
	.set _Z6kernelI14exclusive_scanILN6hipcub18BlockScanAlgorithmE0EEiLj256ELj11ELj100EEvPKT0_PS4_S4_.has_recursion, 0
	.set _Z6kernelI14exclusive_scanILN6hipcub18BlockScanAlgorithmE0EEiLj256ELj11ELj100EEvPKT0_PS4_S4_.has_indirect_call, 0
	.section	.AMDGPU.csdata,"",@progbits
; Kernel info:
; codeLenInByte = 1248
; TotalNumSgprs: 34
; NumVgprs: 43
; ScratchSize: 0
; MemoryBound: 0
; FloatMode: 240
; IeeeMode: 1
; LDSByteSize: 16 bytes/workgroup (compile time only)
; SGPRBlocks: 4
; VGPRBlocks: 10
; NumSGPRsForWavesPerEU: 34
; NumVGPRsForWavesPerEU: 43
; Occupancy: 5
; WaveLimiterHint : 0
; COMPUTE_PGM_RSRC2:SCRATCH_EN: 0
; COMPUTE_PGM_RSRC2:USER_SGPR: 6
; COMPUTE_PGM_RSRC2:TRAP_HANDLER: 0
; COMPUTE_PGM_RSRC2:TGID_X_EN: 1
; COMPUTE_PGM_RSRC2:TGID_Y_EN: 0
; COMPUTE_PGM_RSRC2:TGID_Z_EN: 0
; COMPUTE_PGM_RSRC2:TIDIG_COMP_CNT: 0
	.section	.text._Z6kernelI14exclusive_scanILN6hipcub18BlockScanAlgorithmE0EEiLj256ELj16ELj100EEvPKT0_PS4_S4_,"axG",@progbits,_Z6kernelI14exclusive_scanILN6hipcub18BlockScanAlgorithmE0EEiLj256ELj16ELj100EEvPKT0_PS4_S4_,comdat
	.protected	_Z6kernelI14exclusive_scanILN6hipcub18BlockScanAlgorithmE0EEiLj256ELj16ELj100EEvPKT0_PS4_S4_ ; -- Begin function _Z6kernelI14exclusive_scanILN6hipcub18BlockScanAlgorithmE0EEiLj256ELj16ELj100EEvPKT0_PS4_S4_
	.globl	_Z6kernelI14exclusive_scanILN6hipcub18BlockScanAlgorithmE0EEiLj256ELj16ELj100EEvPKT0_PS4_S4_
	.p2align	8
	.type	_Z6kernelI14exclusive_scanILN6hipcub18BlockScanAlgorithmE0EEiLj256ELj16ELj100EEvPKT0_PS4_S4_,@function
_Z6kernelI14exclusive_scanILN6hipcub18BlockScanAlgorithmE0EEiLj256ELj16ELj100EEvPKT0_PS4_S4_: ; @_Z6kernelI14exclusive_scanILN6hipcub18BlockScanAlgorithmE0EEiLj256ELj16ELj100EEvPKT0_PS4_S4_
; %bb.0:
	s_load_dword s0, s[4:5], 0x24
	s_load_dwordx4 s[24:27], s[4:5], 0x0
	s_load_dword s28, s[4:5], 0x10
	v_mov_b32_e32 v2, 0
	v_mbcnt_lo_u32_b32 v9, -1, 0
	s_waitcnt lgkmcnt(0)
	s_and_b32 s0, s0, 0xffff
	s_mul_i32 s6, s6, s0
	v_add_lshl_u32 v1, s6, v0, 4
	v_lshlrev_b64 v[21:22], 2, v[1:2]
	v_mov_b32_e32 v1, s25
	v_add_co_u32_e32 v17, vcc, s24, v21
	v_mbcnt_hi_u32_b32 v9, -1, v9
	v_addc_co_u32_e32 v18, vcc, v1, v22, vcc
	v_and_b32_e32 v10, 15, v9
	v_cmp_eq_u32_e32 vcc, 0, v10
	v_cmp_lt_u32_e64 s[0:1], 1, v10
	v_cmp_lt_u32_e64 s[2:3], 3, v10
	;; [unrolled: 1-line block ×3, first 2 shown]
	v_and_b32_e32 v10, 16, v9
	v_cmp_eq_u32_e64 s[6:7], 0, v10
	v_or_b32_e32 v10, 63, v0
	v_cmp_eq_u32_e64 s[10:11], v0, v10
	v_subrev_co_u32_e64 v10, s[16:17], 1, v9
	v_and_b32_e32 v11, 64, v9
	v_cmp_lt_i32_e64 s[18:19], v10, v11
	v_cndmask_b32_e64 v10, v10, v9, s[18:19]
	v_lshlrev_b32_e32 v23, 2, v10
	v_lshrrev_b32_e32 v10, 4, v0
	global_load_dwordx4 v[5:8], v[17:18], off
	global_load_dwordx4 v[1:4], v[17:18], off offset:16
	v_cmp_lt_u32_e64 s[8:9], 31, v9
	v_cmp_gt_u32_e64 s[12:13], 4, v0
	v_cmp_lt_u32_e64 s[14:15], 63, v0
	v_cmp_eq_u32_e64 s[18:19], 0, v0
	v_and_b32_e32 v24, 12, v10
	v_lshlrev_b32_e32 v25, 2, v0
	v_and_b32_e32 v0, 3, v9
	global_load_dwordx4 v[13:16], v[17:18], off offset:32
	global_load_dwordx4 v[9:12], v[17:18], off offset:48
	v_cmp_eq_u32_e64 s[20:21], 0, v0
	v_cmp_lt_u32_e64 s[22:23], 1, v0
	s_movk_i32 s29, 0x64
.LBB191_1:                              ; =>This Inner Loop Header: Depth=1
	s_waitcnt vmcnt(0)
	v_add_u32_e32 v0, v11, v12
	v_add3_u32 v0, v0, v10, v9
	v_add3_u32 v0, v0, v16, v15
	v_add3_u32 v0, v0, v14, v13
	v_add3_u32 v0, v0, v4, v3
	v_add3_u32 v0, v0, v2, v1
	v_add3_u32 v0, v0, v8, v7
	v_add3_u32 v0, v0, v6, v5
	s_nop 1
	v_mov_b32_dpp v12, v0 row_shr:1 row_mask:0xf bank_mask:0xf
	v_cndmask_b32_e64 v12, v12, 0, vcc
	v_add_u32_e32 v0, v0, v12
	s_nop 1
	v_mov_b32_dpp v12, v0 row_shr:2 row_mask:0xf bank_mask:0xf
	v_cndmask_b32_e64 v12, 0, v12, s[0:1]
	v_add_u32_e32 v0, v0, v12
	s_nop 1
	v_mov_b32_dpp v12, v0 row_shr:4 row_mask:0xf bank_mask:0xf
	v_cndmask_b32_e64 v12, 0, v12, s[2:3]
	;; [unrolled: 4-line block ×3, first 2 shown]
	v_add_u32_e32 v0, v0, v12
	s_nop 1
	v_mov_b32_dpp v12, v0 row_bcast:15 row_mask:0xf bank_mask:0xf
	v_cndmask_b32_e64 v12, v12, 0, s[6:7]
	v_add_u32_e32 v0, v0, v12
	s_nop 1
	v_mov_b32_dpp v12, v0 row_bcast:31 row_mask:0xf bank_mask:0xf
	v_cndmask_b32_e64 v12, 0, v12, s[8:9]
	v_add_u32_e32 v0, v0, v12
	s_and_saveexec_b64 s[24:25], s[10:11]
; %bb.2:                                ;   in Loop: Header=BB191_1 Depth=1
	ds_write_b32 v24, v0
; %bb.3:                                ;   in Loop: Header=BB191_1 Depth=1
	s_or_b64 exec, exec, s[24:25]
	s_waitcnt lgkmcnt(0)
	s_barrier
	s_and_saveexec_b64 s[24:25], s[12:13]
	s_cbranch_execz .LBB191_5
; %bb.4:                                ;   in Loop: Header=BB191_1 Depth=1
	ds_read_b32 v12, v25
	s_waitcnt lgkmcnt(0)
	s_nop 0
	v_mov_b32_dpp v17, v12 row_shr:1 row_mask:0xf bank_mask:0xf
	v_cndmask_b32_e64 v17, v17, 0, s[20:21]
	v_add_u32_e32 v12, v17, v12
	s_nop 1
	v_mov_b32_dpp v17, v12 row_shr:2 row_mask:0xf bank_mask:0xf
	v_cndmask_b32_e64 v17, 0, v17, s[22:23]
	v_add_u32_e32 v12, v12, v17
	ds_write_b32 v25, v12
.LBB191_5:                              ;   in Loop: Header=BB191_1 Depth=1
	s_or_b64 exec, exec, s[24:25]
	v_mov_b32_e32 v12, s28
	s_waitcnt lgkmcnt(0)
	s_barrier
	s_and_saveexec_b64 s[24:25], s[14:15]
	s_cbranch_execz .LBB191_7
; %bb.6:                                ;   in Loop: Header=BB191_1 Depth=1
	v_add_u32_e32 v12, -4, v24
	ds_read_b32 v12, v12
	s_waitcnt lgkmcnt(0)
	v_add_u32_e32 v12, s28, v12
.LBB191_7:                              ;   in Loop: Header=BB191_1 Depth=1
	s_or_b64 exec, exec, s[24:25]
	v_add_u32_e32 v0, v12, v0
	ds_bpermute_b32 v0, v23, v0
	v_mov_b32_e32 v17, s28
	s_add_i32 s29, s29, -1
	s_cmp_lg_u32 s29, 0
	s_waitcnt lgkmcnt(0)
	v_cndmask_b32_e64 v0, v0, v12, s[16:17]
	v_cndmask_b32_e64 v17, v0, v17, s[18:19]
	v_add_u32_e32 v18, v17, v5
	v_add_u32_e32 v19, v18, v6
	;; [unrolled: 1-line block ×15, first 2 shown]
	s_cbranch_scc0 .LBB191_9
; %bb.8:                                ;   in Loop: Header=BB191_1 Depth=1
	v_mov_b32_e32 v11, v10
	v_mov_b32_e32 v10, v9
	;; [unrolled: 1-line block ×15, first 2 shown]
	s_branch .LBB191_1
.LBB191_9:
	v_mov_b32_e32 v11, s27
	v_add_co_u32_e32 v13, vcc, s26, v21
	v_addc_co_u32_e32 v14, vcc, v11, v22, vcc
	v_mov_b32_e32 v11, v12
	global_store_dwordx4 v[13:14], v[17:20], off
	global_store_dwordx4 v[13:14], v[0:3], off offset:16
	global_store_dwordx4 v[13:14], v[4:7], off offset:32
	;; [unrolled: 1-line block ×3, first 2 shown]
	s_endpgm
	.section	.rodata,"a",@progbits
	.p2align	6, 0x0
	.amdhsa_kernel _Z6kernelI14exclusive_scanILN6hipcub18BlockScanAlgorithmE0EEiLj256ELj16ELj100EEvPKT0_PS4_S4_
		.amdhsa_group_segment_fixed_size 16
		.amdhsa_private_segment_fixed_size 0
		.amdhsa_kernarg_size 280
		.amdhsa_user_sgpr_count 6
		.amdhsa_user_sgpr_private_segment_buffer 1
		.amdhsa_user_sgpr_dispatch_ptr 0
		.amdhsa_user_sgpr_queue_ptr 0
		.amdhsa_user_sgpr_kernarg_segment_ptr 1
		.amdhsa_user_sgpr_dispatch_id 0
		.amdhsa_user_sgpr_flat_scratch_init 0
		.amdhsa_user_sgpr_private_segment_size 0
		.amdhsa_uses_dynamic_stack 0
		.amdhsa_system_sgpr_private_segment_wavefront_offset 0
		.amdhsa_system_sgpr_workgroup_id_x 1
		.amdhsa_system_sgpr_workgroup_id_y 0
		.amdhsa_system_sgpr_workgroup_id_z 0
		.amdhsa_system_sgpr_workgroup_info 0
		.amdhsa_system_vgpr_workitem_id 0
		.amdhsa_next_free_vgpr 26
		.amdhsa_next_free_sgpr 30
		.amdhsa_reserve_vcc 1
		.amdhsa_reserve_flat_scratch 0
		.amdhsa_float_round_mode_32 0
		.amdhsa_float_round_mode_16_64 0
		.amdhsa_float_denorm_mode_32 3
		.amdhsa_float_denorm_mode_16_64 3
		.amdhsa_dx10_clamp 1
		.amdhsa_ieee_mode 1
		.amdhsa_fp16_overflow 0
		.amdhsa_exception_fp_ieee_invalid_op 0
		.amdhsa_exception_fp_denorm_src 0
		.amdhsa_exception_fp_ieee_div_zero 0
		.amdhsa_exception_fp_ieee_overflow 0
		.amdhsa_exception_fp_ieee_underflow 0
		.amdhsa_exception_fp_ieee_inexact 0
		.amdhsa_exception_int_div_zero 0
	.end_amdhsa_kernel
	.section	.text._Z6kernelI14exclusive_scanILN6hipcub18BlockScanAlgorithmE0EEiLj256ELj16ELj100EEvPKT0_PS4_S4_,"axG",@progbits,_Z6kernelI14exclusive_scanILN6hipcub18BlockScanAlgorithmE0EEiLj256ELj16ELj100EEvPKT0_PS4_S4_,comdat
.Lfunc_end191:
	.size	_Z6kernelI14exclusive_scanILN6hipcub18BlockScanAlgorithmE0EEiLj256ELj16ELj100EEvPKT0_PS4_S4_, .Lfunc_end191-_Z6kernelI14exclusive_scanILN6hipcub18BlockScanAlgorithmE0EEiLj256ELj16ELj100EEvPKT0_PS4_S4_
                                        ; -- End function
	.set _Z6kernelI14exclusive_scanILN6hipcub18BlockScanAlgorithmE0EEiLj256ELj16ELj100EEvPKT0_PS4_S4_.num_vgpr, 26
	.set _Z6kernelI14exclusive_scanILN6hipcub18BlockScanAlgorithmE0EEiLj256ELj16ELj100EEvPKT0_PS4_S4_.num_agpr, 0
	.set _Z6kernelI14exclusive_scanILN6hipcub18BlockScanAlgorithmE0EEiLj256ELj16ELj100EEvPKT0_PS4_S4_.numbered_sgpr, 30
	.set _Z6kernelI14exclusive_scanILN6hipcub18BlockScanAlgorithmE0EEiLj256ELj16ELj100EEvPKT0_PS4_S4_.num_named_barrier, 0
	.set _Z6kernelI14exclusive_scanILN6hipcub18BlockScanAlgorithmE0EEiLj256ELj16ELj100EEvPKT0_PS4_S4_.private_seg_size, 0
	.set _Z6kernelI14exclusive_scanILN6hipcub18BlockScanAlgorithmE0EEiLj256ELj16ELj100EEvPKT0_PS4_S4_.uses_vcc, 1
	.set _Z6kernelI14exclusive_scanILN6hipcub18BlockScanAlgorithmE0EEiLj256ELj16ELj100EEvPKT0_PS4_S4_.uses_flat_scratch, 0
	.set _Z6kernelI14exclusive_scanILN6hipcub18BlockScanAlgorithmE0EEiLj256ELj16ELj100EEvPKT0_PS4_S4_.has_dyn_sized_stack, 0
	.set _Z6kernelI14exclusive_scanILN6hipcub18BlockScanAlgorithmE0EEiLj256ELj16ELj100EEvPKT0_PS4_S4_.has_recursion, 0
	.set _Z6kernelI14exclusive_scanILN6hipcub18BlockScanAlgorithmE0EEiLj256ELj16ELj100EEvPKT0_PS4_S4_.has_indirect_call, 0
	.section	.AMDGPU.csdata,"",@progbits
; Kernel info:
; codeLenInByte = 856
; TotalNumSgprs: 34
; NumVgprs: 26
; ScratchSize: 0
; MemoryBound: 0
; FloatMode: 240
; IeeeMode: 1
; LDSByteSize: 16 bytes/workgroup (compile time only)
; SGPRBlocks: 4
; VGPRBlocks: 6
; NumSGPRsForWavesPerEU: 34
; NumVGPRsForWavesPerEU: 26
; Occupancy: 9
; WaveLimiterHint : 0
; COMPUTE_PGM_RSRC2:SCRATCH_EN: 0
; COMPUTE_PGM_RSRC2:USER_SGPR: 6
; COMPUTE_PGM_RSRC2:TRAP_HANDLER: 0
; COMPUTE_PGM_RSRC2:TGID_X_EN: 1
; COMPUTE_PGM_RSRC2:TGID_Y_EN: 0
; COMPUTE_PGM_RSRC2:TGID_Z_EN: 0
; COMPUTE_PGM_RSRC2:TIDIG_COMP_CNT: 0
	.section	.text._Z6kernelI14exclusive_scanILN6hipcub18BlockScanAlgorithmE0EEfLj256ELj1ELj100EEvPKT0_PS4_S4_,"axG",@progbits,_Z6kernelI14exclusive_scanILN6hipcub18BlockScanAlgorithmE0EEfLj256ELj1ELj100EEvPKT0_PS4_S4_,comdat
	.protected	_Z6kernelI14exclusive_scanILN6hipcub18BlockScanAlgorithmE0EEfLj256ELj1ELj100EEvPKT0_PS4_S4_ ; -- Begin function _Z6kernelI14exclusive_scanILN6hipcub18BlockScanAlgorithmE0EEfLj256ELj1ELj100EEvPKT0_PS4_S4_
	.globl	_Z6kernelI14exclusive_scanILN6hipcub18BlockScanAlgorithmE0EEfLj256ELj1ELj100EEvPKT0_PS4_S4_
	.p2align	8
	.type	_Z6kernelI14exclusive_scanILN6hipcub18BlockScanAlgorithmE0EEfLj256ELj1ELj100EEvPKT0_PS4_S4_,@function
_Z6kernelI14exclusive_scanILN6hipcub18BlockScanAlgorithmE0EEfLj256ELj1ELj100EEvPKT0_PS4_S4_: ; @_Z6kernelI14exclusive_scanILN6hipcub18BlockScanAlgorithmE0EEfLj256ELj1ELj100EEvPKT0_PS4_S4_
; %bb.0:
	s_load_dword s0, s[4:5], 0x24
	s_load_dwordx4 s[20:23], s[4:5], 0x0
	s_load_dword s26, s[4:5], 0x10
	v_mov_b32_e32 v2, 0
	v_cmp_gt_u32_e64 s[12:13], 4, v0
	s_waitcnt lgkmcnt(0)
	s_and_b32 s0, s0, 0xffff
	s_mul_i32 s6, s6, s0
	v_add_u32_e32 v1, s6, v0
	v_lshlrev_b64 v[1:2], 2, v[1:2]
	v_mov_b32_e32 v4, s21
	v_add_co_u32_e32 v3, vcc, s20, v1
	v_addc_co_u32_e32 v4, vcc, v4, v2, vcc
	global_load_dword v6, v[3:4], off
	v_mbcnt_lo_u32_b32 v3, -1, 0
	v_mbcnt_hi_u32_b32 v5, -1, v3
	v_and_b32_e32 v3, 15, v5
	v_cmp_eq_u32_e32 vcc, 0, v3
	v_cmp_lt_u32_e64 s[0:1], 1, v3
	v_cmp_lt_u32_e64 s[2:3], 3, v3
	;; [unrolled: 1-line block ×3, first 2 shown]
	v_and_b32_e32 v3, 16, v5
	v_cmp_eq_u32_e64 s[6:7], 0, v3
	v_or_b32_e32 v3, 63, v0
	v_cmp_eq_u32_e64 s[10:11], v0, v3
	v_subrev_co_u32_e64 v3, s[16:17], 1, v5
	v_and_b32_e32 v4, 64, v5
	v_cmp_lt_i32_e64 s[18:19], v3, v4
	v_lshrrev_b32_e32 v4, 4, v0
	v_cmp_lt_u32_e64 s[8:9], 31, v5
	v_cndmask_b32_e64 v3, v3, v5, s[18:19]
	v_and_b32_e32 v4, 12, v4
	v_and_b32_e32 v5, 3, v5
	v_cmp_lt_u32_e64 s[14:15], 63, v0
	v_lshlrev_b32_e32 v3, 2, v3
	v_lshlrev_b32_e32 v0, 2, v0
	v_cmp_eq_u32_e64 s[18:19], 0, v5
	v_cmp_lt_u32_e64 s[20:21], 1, v5
	v_add_u32_e32 v5, -4, v4
	s_movk_i32 s27, 0x64
	s_branch .LBB192_2
.LBB192_1:                              ;   in Loop: Header=BB192_2 Depth=1
	s_or_b64 exec, exec, s[24:25]
	v_add_f32_e32 v6, v6, v7
	ds_bpermute_b32 v6, v3, v6
	s_add_i32 s27, s27, -1
	s_cmp_lg_u32 s27, 0
	s_waitcnt lgkmcnt(0)
	v_cndmask_b32_e64 v6, v6, v7, s[16:17]
	s_cbranch_scc0 .LBB192_8
.LBB192_2:                              ; =>This Inner Loop Header: Depth=1
	s_waitcnt vmcnt(0)
	v_mov_b32_dpp v7, v6 row_shr:1 row_mask:0xf bank_mask:0xf
	v_add_f32_e32 v7, v6, v7
	v_cndmask_b32_e32 v6, v7, v6, vcc
	s_nop 1
	v_mov_b32_dpp v7, v6 row_shr:2 row_mask:0xf bank_mask:0xf
	v_add_f32_e32 v7, v6, v7
	v_cndmask_b32_e64 v6, v6, v7, s[0:1]
	s_nop 1
	v_mov_b32_dpp v7, v6 row_shr:4 row_mask:0xf bank_mask:0xf
	v_add_f32_e32 v7, v6, v7
	v_cndmask_b32_e64 v6, v6, v7, s[2:3]
	;; [unrolled: 4-line block ×3, first 2 shown]
	s_nop 1
	v_mov_b32_dpp v7, v6 row_bcast:15 row_mask:0xf bank_mask:0xf
	v_add_f32_e32 v7, v6, v7
	v_cndmask_b32_e64 v6, v7, v6, s[6:7]
	s_nop 1
	v_mov_b32_dpp v7, v6 row_bcast:31 row_mask:0xf bank_mask:0xf
	v_add_f32_e32 v7, v6, v7
	v_cndmask_b32_e64 v6, v6, v7, s[8:9]
	s_and_saveexec_b64 s[24:25], s[10:11]
; %bb.3:                                ;   in Loop: Header=BB192_2 Depth=1
	ds_write_b32 v4, v6
; %bb.4:                                ;   in Loop: Header=BB192_2 Depth=1
	s_or_b64 exec, exec, s[24:25]
	s_waitcnt lgkmcnt(0)
	s_barrier
	s_and_saveexec_b64 s[24:25], s[12:13]
	s_cbranch_execz .LBB192_6
; %bb.5:                                ;   in Loop: Header=BB192_2 Depth=1
	ds_read_b32 v7, v0
	s_waitcnt lgkmcnt(0)
	s_nop 0
	v_mov_b32_dpp v8, v7 row_shr:1 row_mask:0xf bank_mask:0xf
	v_add_f32_e32 v8, v7, v8
	v_cndmask_b32_e64 v7, v8, v7, s[18:19]
	s_nop 1
	v_mov_b32_dpp v8, v7 row_shr:2 row_mask:0xf bank_mask:0xf
	v_add_f32_e32 v8, v7, v8
	v_cndmask_b32_e64 v7, v7, v8, s[20:21]
	ds_write_b32 v0, v7
.LBB192_6:                              ;   in Loop: Header=BB192_2 Depth=1
	s_or_b64 exec, exec, s[24:25]
	v_mov_b32_e32 v7, s26
	s_waitcnt lgkmcnt(0)
	s_barrier
	s_and_saveexec_b64 s[24:25], s[14:15]
	s_cbranch_execz .LBB192_1
; %bb.7:                                ;   in Loop: Header=BB192_2 Depth=1
	ds_read_b32 v7, v5
	s_waitcnt lgkmcnt(0)
	v_add_f32_e32 v7, s26, v7
	s_branch .LBB192_1
.LBB192_8:
	v_mov_b32_e32 v3, s23
	v_add_co_u32_e32 v0, vcc, s22, v1
	v_addc_co_u32_e32 v1, vcc, v3, v2, vcc
	global_store_dword v[0:1], v6, off
	s_endpgm
	.section	.rodata,"a",@progbits
	.p2align	6, 0x0
	.amdhsa_kernel _Z6kernelI14exclusive_scanILN6hipcub18BlockScanAlgorithmE0EEfLj256ELj1ELj100EEvPKT0_PS4_S4_
		.amdhsa_group_segment_fixed_size 16
		.amdhsa_private_segment_fixed_size 0
		.amdhsa_kernarg_size 280
		.amdhsa_user_sgpr_count 6
		.amdhsa_user_sgpr_private_segment_buffer 1
		.amdhsa_user_sgpr_dispatch_ptr 0
		.amdhsa_user_sgpr_queue_ptr 0
		.amdhsa_user_sgpr_kernarg_segment_ptr 1
		.amdhsa_user_sgpr_dispatch_id 0
		.amdhsa_user_sgpr_flat_scratch_init 0
		.amdhsa_user_sgpr_private_segment_size 0
		.amdhsa_uses_dynamic_stack 0
		.amdhsa_system_sgpr_private_segment_wavefront_offset 0
		.amdhsa_system_sgpr_workgroup_id_x 1
		.amdhsa_system_sgpr_workgroup_id_y 0
		.amdhsa_system_sgpr_workgroup_id_z 0
		.amdhsa_system_sgpr_workgroup_info 0
		.amdhsa_system_vgpr_workitem_id 0
		.amdhsa_next_free_vgpr 9
		.amdhsa_next_free_sgpr 28
		.amdhsa_reserve_vcc 1
		.amdhsa_reserve_flat_scratch 0
		.amdhsa_float_round_mode_32 0
		.amdhsa_float_round_mode_16_64 0
		.amdhsa_float_denorm_mode_32 3
		.amdhsa_float_denorm_mode_16_64 3
		.amdhsa_dx10_clamp 1
		.amdhsa_ieee_mode 1
		.amdhsa_fp16_overflow 0
		.amdhsa_exception_fp_ieee_invalid_op 0
		.amdhsa_exception_fp_denorm_src 0
		.amdhsa_exception_fp_ieee_div_zero 0
		.amdhsa_exception_fp_ieee_overflow 0
		.amdhsa_exception_fp_ieee_underflow 0
		.amdhsa_exception_fp_ieee_inexact 0
		.amdhsa_exception_int_div_zero 0
	.end_amdhsa_kernel
	.section	.text._Z6kernelI14exclusive_scanILN6hipcub18BlockScanAlgorithmE0EEfLj256ELj1ELj100EEvPKT0_PS4_S4_,"axG",@progbits,_Z6kernelI14exclusive_scanILN6hipcub18BlockScanAlgorithmE0EEfLj256ELj1ELj100EEvPKT0_PS4_S4_,comdat
.Lfunc_end192:
	.size	_Z6kernelI14exclusive_scanILN6hipcub18BlockScanAlgorithmE0EEfLj256ELj1ELj100EEvPKT0_PS4_S4_, .Lfunc_end192-_Z6kernelI14exclusive_scanILN6hipcub18BlockScanAlgorithmE0EEfLj256ELj1ELj100EEvPKT0_PS4_S4_
                                        ; -- End function
	.set _Z6kernelI14exclusive_scanILN6hipcub18BlockScanAlgorithmE0EEfLj256ELj1ELj100EEvPKT0_PS4_S4_.num_vgpr, 9
	.set _Z6kernelI14exclusive_scanILN6hipcub18BlockScanAlgorithmE0EEfLj256ELj1ELj100EEvPKT0_PS4_S4_.num_agpr, 0
	.set _Z6kernelI14exclusive_scanILN6hipcub18BlockScanAlgorithmE0EEfLj256ELj1ELj100EEvPKT0_PS4_S4_.numbered_sgpr, 28
	.set _Z6kernelI14exclusive_scanILN6hipcub18BlockScanAlgorithmE0EEfLj256ELj1ELj100EEvPKT0_PS4_S4_.num_named_barrier, 0
	.set _Z6kernelI14exclusive_scanILN6hipcub18BlockScanAlgorithmE0EEfLj256ELj1ELj100EEvPKT0_PS4_S4_.private_seg_size, 0
	.set _Z6kernelI14exclusive_scanILN6hipcub18BlockScanAlgorithmE0EEfLj256ELj1ELj100EEvPKT0_PS4_S4_.uses_vcc, 1
	.set _Z6kernelI14exclusive_scanILN6hipcub18BlockScanAlgorithmE0EEfLj256ELj1ELj100EEvPKT0_PS4_S4_.uses_flat_scratch, 0
	.set _Z6kernelI14exclusive_scanILN6hipcub18BlockScanAlgorithmE0EEfLj256ELj1ELj100EEvPKT0_PS4_S4_.has_dyn_sized_stack, 0
	.set _Z6kernelI14exclusive_scanILN6hipcub18BlockScanAlgorithmE0EEfLj256ELj1ELj100EEvPKT0_PS4_S4_.has_recursion, 0
	.set _Z6kernelI14exclusive_scanILN6hipcub18BlockScanAlgorithmE0EEfLj256ELj1ELj100EEvPKT0_PS4_S4_.has_indirect_call, 0
	.section	.AMDGPU.csdata,"",@progbits
; Kernel info:
; codeLenInByte = 596
; TotalNumSgprs: 32
; NumVgprs: 9
; ScratchSize: 0
; MemoryBound: 0
; FloatMode: 240
; IeeeMode: 1
; LDSByteSize: 16 bytes/workgroup (compile time only)
; SGPRBlocks: 3
; VGPRBlocks: 2
; NumSGPRsForWavesPerEU: 32
; NumVGPRsForWavesPerEU: 9
; Occupancy: 10
; WaveLimiterHint : 0
; COMPUTE_PGM_RSRC2:SCRATCH_EN: 0
; COMPUTE_PGM_RSRC2:USER_SGPR: 6
; COMPUTE_PGM_RSRC2:TRAP_HANDLER: 0
; COMPUTE_PGM_RSRC2:TGID_X_EN: 1
; COMPUTE_PGM_RSRC2:TGID_Y_EN: 0
; COMPUTE_PGM_RSRC2:TGID_Z_EN: 0
; COMPUTE_PGM_RSRC2:TIDIG_COMP_CNT: 0
	.section	.text._Z6kernelI14exclusive_scanILN6hipcub18BlockScanAlgorithmE0EEfLj256ELj3ELj100EEvPKT0_PS4_S4_,"axG",@progbits,_Z6kernelI14exclusive_scanILN6hipcub18BlockScanAlgorithmE0EEfLj256ELj3ELj100EEvPKT0_PS4_S4_,comdat
	.protected	_Z6kernelI14exclusive_scanILN6hipcub18BlockScanAlgorithmE0EEfLj256ELj3ELj100EEvPKT0_PS4_S4_ ; -- Begin function _Z6kernelI14exclusive_scanILN6hipcub18BlockScanAlgorithmE0EEfLj256ELj3ELj100EEvPKT0_PS4_S4_
	.globl	_Z6kernelI14exclusive_scanILN6hipcub18BlockScanAlgorithmE0EEfLj256ELj3ELj100EEvPKT0_PS4_S4_
	.p2align	8
	.type	_Z6kernelI14exclusive_scanILN6hipcub18BlockScanAlgorithmE0EEfLj256ELj3ELj100EEvPKT0_PS4_S4_,@function
_Z6kernelI14exclusive_scanILN6hipcub18BlockScanAlgorithmE0EEfLj256ELj3ELj100EEvPKT0_PS4_S4_: ; @_Z6kernelI14exclusive_scanILN6hipcub18BlockScanAlgorithmE0EEfLj256ELj3ELj100EEvPKT0_PS4_S4_
; %bb.0:
	s_load_dword s0, s[4:5], 0x24
	s_load_dwordx4 s[24:27], s[4:5], 0x0
	s_load_dword s28, s[4:5], 0x10
	v_mov_b32_e32 v6, 0
	v_mov_b32_e32 v4, v6
	s_waitcnt lgkmcnt(0)
	s_and_b32 s0, s0, 0xffff
	s_mul_i32 s6, s6, s0
	v_add_u32_e32 v1, s6, v0
	v_lshl_add_u32 v5, v1, 1, v1
	v_lshlrev_b64 v[1:2], 2, v[5:6]
	v_mov_b32_e32 v3, s25
	v_add_co_u32_e32 v9, vcc, s24, v1
	v_addc_co_u32_e32 v10, vcc, v3, v2, vcc
	v_add_u32_e32 v3, 1, v5
	v_lshlrev_b64 v[3:4], 2, v[3:4]
	v_add_u32_e32 v5, 2, v5
	v_mov_b32_e32 v7, s25
	v_add_co_u32_e32 v13, vcc, s24, v3
	v_lshlrev_b64 v[5:6], 2, v[5:6]
	v_addc_co_u32_e32 v14, vcc, v7, v4, vcc
	v_add_co_u32_e32 v15, vcc, s24, v5
	v_addc_co_u32_e32 v16, vcc, v7, v6, vcc
	global_load_dword v7, v[9:10], off
	global_load_dword v8, v[13:14], off
	;; [unrolled: 1-line block ×3, first 2 shown]
	v_mbcnt_lo_u32_b32 v9, -1, 0
	v_mbcnt_hi_u32_b32 v11, -1, v9
	v_and_b32_e32 v9, 15, v11
	v_cmp_eq_u32_e32 vcc, 0, v9
	v_cmp_lt_u32_e64 s[0:1], 1, v9
	v_cmp_lt_u32_e64 s[2:3], 3, v9
	;; [unrolled: 1-line block ×3, first 2 shown]
	v_and_b32_e32 v9, 16, v11
	v_cmp_eq_u32_e64 s[6:7], 0, v9
	v_or_b32_e32 v9, 63, v0
	v_cmp_eq_u32_e64 s[10:11], v0, v9
	v_subrev_co_u32_e64 v9, s[16:17], 1, v11
	v_and_b32_e32 v10, 64, v11
	v_cmp_lt_i32_e64 s[18:19], v9, v10
	v_lshrrev_b32_e32 v10, 4, v0
	v_cmp_lt_u32_e64 s[8:9], 31, v11
	v_cndmask_b32_e64 v9, v9, v11, s[18:19]
	v_and_b32_e32 v10, 12, v10
	v_and_b32_e32 v11, 3, v11
	v_cmp_gt_u32_e64 s[12:13], 4, v0
	v_cmp_lt_u32_e64 s[14:15], 63, v0
	v_lshlrev_b32_e32 v9, 2, v9
	v_cmp_eq_u32_e64 s[18:19], 0, v0
	v_lshlrev_b32_e32 v0, 2, v0
	v_cmp_eq_u32_e64 s[20:21], 0, v11
	v_cmp_lt_u32_e64 s[22:23], 1, v11
	v_add_u32_e32 v11, -4, v10
	s_movk_i32 s29, 0x64
.LBB193_1:                              ; =>This Inner Loop Header: Depth=1
	s_waitcnt vmcnt(1)
	v_add_f32_e32 v13, v7, v8
	s_waitcnt vmcnt(0)
	v_add_f32_e32 v12, v12, v13
	s_nop 1
	v_mov_b32_dpp v13, v12 row_shr:1 row_mask:0xf bank_mask:0xf
	v_add_f32_e32 v13, v12, v13
	v_cndmask_b32_e32 v12, v13, v12, vcc
	s_nop 1
	v_mov_b32_dpp v13, v12 row_shr:2 row_mask:0xf bank_mask:0xf
	v_add_f32_e32 v13, v12, v13
	v_cndmask_b32_e64 v12, v12, v13, s[0:1]
	s_nop 1
	v_mov_b32_dpp v13, v12 row_shr:4 row_mask:0xf bank_mask:0xf
	v_add_f32_e32 v13, v12, v13
	v_cndmask_b32_e64 v12, v12, v13, s[2:3]
	;; [unrolled: 4-line block ×3, first 2 shown]
	s_nop 1
	v_mov_b32_dpp v13, v12 row_bcast:15 row_mask:0xf bank_mask:0xf
	v_add_f32_e32 v13, v12, v13
	v_cndmask_b32_e64 v12, v13, v12, s[6:7]
	s_nop 1
	v_mov_b32_dpp v13, v12 row_bcast:31 row_mask:0xf bank_mask:0xf
	v_add_f32_e32 v13, v12, v13
	v_cndmask_b32_e64 v12, v12, v13, s[8:9]
	s_and_saveexec_b64 s[24:25], s[10:11]
; %bb.2:                                ;   in Loop: Header=BB193_1 Depth=1
	ds_write_b32 v10, v12
; %bb.3:                                ;   in Loop: Header=BB193_1 Depth=1
	s_or_b64 exec, exec, s[24:25]
	s_waitcnt lgkmcnt(0)
	s_barrier
	s_and_saveexec_b64 s[24:25], s[12:13]
	s_cbranch_execz .LBB193_5
; %bb.4:                                ;   in Loop: Header=BB193_1 Depth=1
	ds_read_b32 v13, v0
	s_waitcnt lgkmcnt(0)
	s_nop 0
	v_mov_b32_dpp v14, v13 row_shr:1 row_mask:0xf bank_mask:0xf
	v_add_f32_e32 v14, v13, v14
	v_cndmask_b32_e64 v13, v14, v13, s[20:21]
	s_nop 1
	v_mov_b32_dpp v14, v13 row_shr:2 row_mask:0xf bank_mask:0xf
	v_add_f32_e32 v14, v13, v14
	v_cndmask_b32_e64 v13, v13, v14, s[22:23]
	ds_write_b32 v0, v13
.LBB193_5:                              ;   in Loop: Header=BB193_1 Depth=1
	s_or_b64 exec, exec, s[24:25]
	v_mov_b32_e32 v13, s28
	s_waitcnt lgkmcnt(0)
	s_barrier
	s_and_saveexec_b64 s[24:25], s[14:15]
	s_cbranch_execz .LBB193_7
; %bb.6:                                ;   in Loop: Header=BB193_1 Depth=1
	ds_read_b32 v13, v11
	s_waitcnt lgkmcnt(0)
	v_add_f32_e32 v13, s28, v13
.LBB193_7:                              ;   in Loop: Header=BB193_1 Depth=1
	s_or_b64 exec, exec, s[24:25]
	v_add_f32_e32 v12, v12, v13
	ds_bpermute_b32 v12, v9, v12
	v_mov_b32_e32 v14, s28
	s_add_i32 s29, s29, -1
	s_cmp_lg_u32 s29, 0
	s_waitcnt lgkmcnt(0)
	v_cndmask_b32_e64 v12, v12, v13, s[16:17]
	v_cndmask_b32_e64 v14, v12, v14, s[18:19]
	v_add_f32_e32 v13, v7, v14
	v_add_f32_e32 v12, v8, v13
	s_cbranch_scc0 .LBB193_9
; %bb.8:                                ;   in Loop: Header=BB193_1 Depth=1
	v_mov_b32_e32 v7, v14
	v_mov_b32_e32 v8, v13
	s_branch .LBB193_1
.LBB193_9:
	v_mov_b32_e32 v7, s27
	v_add_co_u32_e32 v0, vcc, s26, v1
	v_addc_co_u32_e32 v1, vcc, v7, v2, vcc
	global_store_dword v[0:1], v14, off
	v_mov_b32_e32 v1, s27
	v_add_co_u32_e32 v0, vcc, s26, v3
	v_addc_co_u32_e32 v1, vcc, v1, v4, vcc
	global_store_dword v[0:1], v13, off
	v_mov_b32_e32 v1, s27
	v_add_co_u32_e32 v0, vcc, s26, v5
	v_addc_co_u32_e32 v1, vcc, v1, v6, vcc
	global_store_dword v[0:1], v12, off
	s_endpgm
	.section	.rodata,"a",@progbits
	.p2align	6, 0x0
	.amdhsa_kernel _Z6kernelI14exclusive_scanILN6hipcub18BlockScanAlgorithmE0EEfLj256ELj3ELj100EEvPKT0_PS4_S4_
		.amdhsa_group_segment_fixed_size 16
		.amdhsa_private_segment_fixed_size 0
		.amdhsa_kernarg_size 280
		.amdhsa_user_sgpr_count 6
		.amdhsa_user_sgpr_private_segment_buffer 1
		.amdhsa_user_sgpr_dispatch_ptr 0
		.amdhsa_user_sgpr_queue_ptr 0
		.amdhsa_user_sgpr_kernarg_segment_ptr 1
		.amdhsa_user_sgpr_dispatch_id 0
		.amdhsa_user_sgpr_flat_scratch_init 0
		.amdhsa_user_sgpr_private_segment_size 0
		.amdhsa_uses_dynamic_stack 0
		.amdhsa_system_sgpr_private_segment_wavefront_offset 0
		.amdhsa_system_sgpr_workgroup_id_x 1
		.amdhsa_system_sgpr_workgroup_id_y 0
		.amdhsa_system_sgpr_workgroup_id_z 0
		.amdhsa_system_sgpr_workgroup_info 0
		.amdhsa_system_vgpr_workitem_id 0
		.amdhsa_next_free_vgpr 17
		.amdhsa_next_free_sgpr 30
		.amdhsa_reserve_vcc 1
		.amdhsa_reserve_flat_scratch 0
		.amdhsa_float_round_mode_32 0
		.amdhsa_float_round_mode_16_64 0
		.amdhsa_float_denorm_mode_32 3
		.amdhsa_float_denorm_mode_16_64 3
		.amdhsa_dx10_clamp 1
		.amdhsa_ieee_mode 1
		.amdhsa_fp16_overflow 0
		.amdhsa_exception_fp_ieee_invalid_op 0
		.amdhsa_exception_fp_denorm_src 0
		.amdhsa_exception_fp_ieee_div_zero 0
		.amdhsa_exception_fp_ieee_overflow 0
		.amdhsa_exception_fp_ieee_underflow 0
		.amdhsa_exception_fp_ieee_inexact 0
		.amdhsa_exception_int_div_zero 0
	.end_amdhsa_kernel
	.section	.text._Z6kernelI14exclusive_scanILN6hipcub18BlockScanAlgorithmE0EEfLj256ELj3ELj100EEvPKT0_PS4_S4_,"axG",@progbits,_Z6kernelI14exclusive_scanILN6hipcub18BlockScanAlgorithmE0EEfLj256ELj3ELj100EEvPKT0_PS4_S4_,comdat
.Lfunc_end193:
	.size	_Z6kernelI14exclusive_scanILN6hipcub18BlockScanAlgorithmE0EEfLj256ELj3ELj100EEvPKT0_PS4_S4_, .Lfunc_end193-_Z6kernelI14exclusive_scanILN6hipcub18BlockScanAlgorithmE0EEfLj256ELj3ELj100EEvPKT0_PS4_S4_
                                        ; -- End function
	.set _Z6kernelI14exclusive_scanILN6hipcub18BlockScanAlgorithmE0EEfLj256ELj3ELj100EEvPKT0_PS4_S4_.num_vgpr, 17
	.set _Z6kernelI14exclusive_scanILN6hipcub18BlockScanAlgorithmE0EEfLj256ELj3ELj100EEvPKT0_PS4_S4_.num_agpr, 0
	.set _Z6kernelI14exclusive_scanILN6hipcub18BlockScanAlgorithmE0EEfLj256ELj3ELj100EEvPKT0_PS4_S4_.numbered_sgpr, 30
	.set _Z6kernelI14exclusive_scanILN6hipcub18BlockScanAlgorithmE0EEfLj256ELj3ELj100EEvPKT0_PS4_S4_.num_named_barrier, 0
	.set _Z6kernelI14exclusive_scanILN6hipcub18BlockScanAlgorithmE0EEfLj256ELj3ELj100EEvPKT0_PS4_S4_.private_seg_size, 0
	.set _Z6kernelI14exclusive_scanILN6hipcub18BlockScanAlgorithmE0EEfLj256ELj3ELj100EEvPKT0_PS4_S4_.uses_vcc, 1
	.set _Z6kernelI14exclusive_scanILN6hipcub18BlockScanAlgorithmE0EEfLj256ELj3ELj100EEvPKT0_PS4_S4_.uses_flat_scratch, 0
	.set _Z6kernelI14exclusive_scanILN6hipcub18BlockScanAlgorithmE0EEfLj256ELj3ELj100EEvPKT0_PS4_S4_.has_dyn_sized_stack, 0
	.set _Z6kernelI14exclusive_scanILN6hipcub18BlockScanAlgorithmE0EEfLj256ELj3ELj100EEvPKT0_PS4_S4_.has_recursion, 0
	.set _Z6kernelI14exclusive_scanILN6hipcub18BlockScanAlgorithmE0EEfLj256ELj3ELj100EEvPKT0_PS4_S4_.has_indirect_call, 0
	.section	.AMDGPU.csdata,"",@progbits
; Kernel info:
; codeLenInByte = 756
; TotalNumSgprs: 34
; NumVgprs: 17
; ScratchSize: 0
; MemoryBound: 0
; FloatMode: 240
; IeeeMode: 1
; LDSByteSize: 16 bytes/workgroup (compile time only)
; SGPRBlocks: 4
; VGPRBlocks: 4
; NumSGPRsForWavesPerEU: 34
; NumVGPRsForWavesPerEU: 17
; Occupancy: 10
; WaveLimiterHint : 0
; COMPUTE_PGM_RSRC2:SCRATCH_EN: 0
; COMPUTE_PGM_RSRC2:USER_SGPR: 6
; COMPUTE_PGM_RSRC2:TRAP_HANDLER: 0
; COMPUTE_PGM_RSRC2:TGID_X_EN: 1
; COMPUTE_PGM_RSRC2:TGID_Y_EN: 0
; COMPUTE_PGM_RSRC2:TGID_Z_EN: 0
; COMPUTE_PGM_RSRC2:TIDIG_COMP_CNT: 0
	.section	.text._Z6kernelI14exclusive_scanILN6hipcub18BlockScanAlgorithmE0EEfLj256ELj4ELj100EEvPKT0_PS4_S4_,"axG",@progbits,_Z6kernelI14exclusive_scanILN6hipcub18BlockScanAlgorithmE0EEfLj256ELj4ELj100EEvPKT0_PS4_S4_,comdat
	.protected	_Z6kernelI14exclusive_scanILN6hipcub18BlockScanAlgorithmE0EEfLj256ELj4ELj100EEvPKT0_PS4_S4_ ; -- Begin function _Z6kernelI14exclusive_scanILN6hipcub18BlockScanAlgorithmE0EEfLj256ELj4ELj100EEvPKT0_PS4_S4_
	.globl	_Z6kernelI14exclusive_scanILN6hipcub18BlockScanAlgorithmE0EEfLj256ELj4ELj100EEvPKT0_PS4_S4_
	.p2align	8
	.type	_Z6kernelI14exclusive_scanILN6hipcub18BlockScanAlgorithmE0EEfLj256ELj4ELj100EEvPKT0_PS4_S4_,@function
_Z6kernelI14exclusive_scanILN6hipcub18BlockScanAlgorithmE0EEfLj256ELj4ELj100EEvPKT0_PS4_S4_: ; @_Z6kernelI14exclusive_scanILN6hipcub18BlockScanAlgorithmE0EEfLj256ELj4ELj100EEvPKT0_PS4_S4_
; %bb.0:
	s_load_dword s0, s[4:5], 0x24
	s_load_dwordx4 s[24:27], s[4:5], 0x0
	s_load_dword s28, s[4:5], 0x10
	v_mov_b32_e32 v2, 0
	v_mbcnt_lo_u32_b32 v5, -1, 0
	s_waitcnt lgkmcnt(0)
	s_and_b32 s0, s0, 0xffff
	s_mul_i32 s6, s6, s0
	v_add_lshl_u32 v1, s6, v0, 2
	v_lshlrev_b64 v[8:9], 2, v[1:2]
	v_mov_b32_e32 v2, s25
	v_add_co_u32_e32 v1, vcc, s24, v8
	v_addc_co_u32_e32 v2, vcc, v2, v9, vcc
	global_load_dwordx4 v[1:4], v[1:2], off
	v_mbcnt_hi_u32_b32 v5, -1, v5
	v_and_b32_e32 v6, 15, v5
	v_cmp_eq_u32_e32 vcc, 0, v6
	v_cmp_lt_u32_e64 s[0:1], 1, v6
	v_cmp_lt_u32_e64 s[2:3], 3, v6
	;; [unrolled: 1-line block ×3, first 2 shown]
	v_and_b32_e32 v6, 16, v5
	v_cmp_eq_u32_e64 s[6:7], 0, v6
	v_or_b32_e32 v6, 63, v0
	v_cmp_eq_u32_e64 s[10:11], v0, v6
	v_subrev_co_u32_e64 v6, s[16:17], 1, v5
	v_and_b32_e32 v7, 64, v5
	v_cmp_lt_i32_e64 s[18:19], v6, v7
	v_cndmask_b32_e64 v6, v6, v5, s[18:19]
	v_lshlrev_b32_e32 v10, 2, v6
	v_lshrrev_b32_e32 v6, 4, v0
	v_cmp_lt_u32_e64 s[8:9], 31, v5
	v_and_b32_e32 v11, 12, v6
	v_and_b32_e32 v5, 3, v5
	v_cmp_gt_u32_e64 s[12:13], 4, v0
	v_cmp_lt_u32_e64 s[14:15], 63, v0
	v_cmp_eq_u32_e64 s[18:19], 0, v0
	v_lshlrev_b32_e32 v0, 2, v0
	v_cmp_eq_u32_e64 s[20:21], 0, v5
	v_cmp_lt_u32_e64 s[22:23], 1, v5
	v_add_u32_e32 v12, -4, v11
	s_movk_i32 s29, 0x64
.LBB194_1:                              ; =>This Inner Loop Header: Depth=1
	s_waitcnt vmcnt(0)
	v_add_f32_e32 v5, v1, v2
	v_add_f32_e32 v5, v3, v5
	;; [unrolled: 1-line block ×3, first 2 shown]
	s_nop 1
	v_mov_b32_dpp v5, v4 row_shr:1 row_mask:0xf bank_mask:0xf
	v_add_f32_e32 v5, v4, v5
	v_cndmask_b32_e32 v4, v5, v4, vcc
	s_nop 1
	v_mov_b32_dpp v5, v4 row_shr:2 row_mask:0xf bank_mask:0xf
	v_add_f32_e32 v5, v4, v5
	v_cndmask_b32_e64 v4, v4, v5, s[0:1]
	s_nop 1
	v_mov_b32_dpp v5, v4 row_shr:4 row_mask:0xf bank_mask:0xf
	v_add_f32_e32 v5, v4, v5
	v_cndmask_b32_e64 v4, v4, v5, s[2:3]
	;; [unrolled: 4-line block ×3, first 2 shown]
	s_nop 1
	v_mov_b32_dpp v5, v4 row_bcast:15 row_mask:0xf bank_mask:0xf
	v_add_f32_e32 v5, v4, v5
	v_cndmask_b32_e64 v4, v5, v4, s[6:7]
	s_nop 1
	v_mov_b32_dpp v5, v4 row_bcast:31 row_mask:0xf bank_mask:0xf
	v_add_f32_e32 v5, v4, v5
	v_cndmask_b32_e64 v4, v4, v5, s[8:9]
	s_and_saveexec_b64 s[24:25], s[10:11]
; %bb.2:                                ;   in Loop: Header=BB194_1 Depth=1
	ds_write_b32 v11, v4
; %bb.3:                                ;   in Loop: Header=BB194_1 Depth=1
	s_or_b64 exec, exec, s[24:25]
	s_waitcnt lgkmcnt(0)
	s_barrier
	s_and_saveexec_b64 s[24:25], s[12:13]
	s_cbranch_execz .LBB194_5
; %bb.4:                                ;   in Loop: Header=BB194_1 Depth=1
	ds_read_b32 v5, v0
	s_waitcnt lgkmcnt(0)
	s_nop 0
	v_mov_b32_dpp v6, v5 row_shr:1 row_mask:0xf bank_mask:0xf
	v_add_f32_e32 v6, v5, v6
	v_cndmask_b32_e64 v5, v6, v5, s[20:21]
	s_nop 1
	v_mov_b32_dpp v6, v5 row_shr:2 row_mask:0xf bank_mask:0xf
	v_add_f32_e32 v6, v5, v6
	v_cndmask_b32_e64 v5, v5, v6, s[22:23]
	ds_write_b32 v0, v5
.LBB194_5:                              ;   in Loop: Header=BB194_1 Depth=1
	s_or_b64 exec, exec, s[24:25]
	v_mov_b32_e32 v5, s28
	s_waitcnt lgkmcnt(0)
	s_barrier
	s_and_saveexec_b64 s[24:25], s[14:15]
	s_cbranch_execz .LBB194_7
; %bb.6:                                ;   in Loop: Header=BB194_1 Depth=1
	ds_read_b32 v5, v12
	s_waitcnt lgkmcnt(0)
	v_add_f32_e32 v5, s28, v5
.LBB194_7:                              ;   in Loop: Header=BB194_1 Depth=1
	s_or_b64 exec, exec, s[24:25]
	v_add_f32_e32 v4, v4, v5
	ds_bpermute_b32 v4, v10, v4
	v_mov_b32_e32 v6, s28
	s_add_i32 s29, s29, -1
	s_cmp_lg_u32 s29, 0
	s_waitcnt lgkmcnt(0)
	v_cndmask_b32_e64 v4, v4, v5, s[16:17]
	v_cndmask_b32_e64 v5, v4, v6, s[18:19]
	v_add_f32_e32 v6, v1, v5
	v_add_f32_e32 v7, v2, v6
	;; [unrolled: 1-line block ×3, first 2 shown]
	s_cbranch_scc0 .LBB194_9
; %bb.8:                                ;   in Loop: Header=BB194_1 Depth=1
	v_mov_b32_e32 v1, v5
	v_mov_b32_e32 v2, v6
	;; [unrolled: 1-line block ×3, first 2 shown]
	s_branch .LBB194_1
.LBB194_9:
	v_mov_b32_e32 v1, s27
	v_add_co_u32_e32 v0, vcc, s26, v8
	v_addc_co_u32_e32 v1, vcc, v1, v9, vcc
	v_mov_b32_e32 v8, v4
	global_store_dwordx4 v[0:1], v[5:8], off
	s_endpgm
	.section	.rodata,"a",@progbits
	.p2align	6, 0x0
	.amdhsa_kernel _Z6kernelI14exclusive_scanILN6hipcub18BlockScanAlgorithmE0EEfLj256ELj4ELj100EEvPKT0_PS4_S4_
		.amdhsa_group_segment_fixed_size 16
		.amdhsa_private_segment_fixed_size 0
		.amdhsa_kernarg_size 280
		.amdhsa_user_sgpr_count 6
		.amdhsa_user_sgpr_private_segment_buffer 1
		.amdhsa_user_sgpr_dispatch_ptr 0
		.amdhsa_user_sgpr_queue_ptr 0
		.amdhsa_user_sgpr_kernarg_segment_ptr 1
		.amdhsa_user_sgpr_dispatch_id 0
		.amdhsa_user_sgpr_flat_scratch_init 0
		.amdhsa_user_sgpr_private_segment_size 0
		.amdhsa_uses_dynamic_stack 0
		.amdhsa_system_sgpr_private_segment_wavefront_offset 0
		.amdhsa_system_sgpr_workgroup_id_x 1
		.amdhsa_system_sgpr_workgroup_id_y 0
		.amdhsa_system_sgpr_workgroup_id_z 0
		.amdhsa_system_sgpr_workgroup_info 0
		.amdhsa_system_vgpr_workitem_id 0
		.amdhsa_next_free_vgpr 13
		.amdhsa_next_free_sgpr 30
		.amdhsa_reserve_vcc 1
		.amdhsa_reserve_flat_scratch 0
		.amdhsa_float_round_mode_32 0
		.amdhsa_float_round_mode_16_64 0
		.amdhsa_float_denorm_mode_32 3
		.amdhsa_float_denorm_mode_16_64 3
		.amdhsa_dx10_clamp 1
		.amdhsa_ieee_mode 1
		.amdhsa_fp16_overflow 0
		.amdhsa_exception_fp_ieee_invalid_op 0
		.amdhsa_exception_fp_denorm_src 0
		.amdhsa_exception_fp_ieee_div_zero 0
		.amdhsa_exception_fp_ieee_overflow 0
		.amdhsa_exception_fp_ieee_underflow 0
		.amdhsa_exception_fp_ieee_inexact 0
		.amdhsa_exception_int_div_zero 0
	.end_amdhsa_kernel
	.section	.text._Z6kernelI14exclusive_scanILN6hipcub18BlockScanAlgorithmE0EEfLj256ELj4ELj100EEvPKT0_PS4_S4_,"axG",@progbits,_Z6kernelI14exclusive_scanILN6hipcub18BlockScanAlgorithmE0EEfLj256ELj4ELj100EEvPKT0_PS4_S4_,comdat
.Lfunc_end194:
	.size	_Z6kernelI14exclusive_scanILN6hipcub18BlockScanAlgorithmE0EEfLj256ELj4ELj100EEvPKT0_PS4_S4_, .Lfunc_end194-_Z6kernelI14exclusive_scanILN6hipcub18BlockScanAlgorithmE0EEfLj256ELj4ELj100EEvPKT0_PS4_S4_
                                        ; -- End function
	.set _Z6kernelI14exclusive_scanILN6hipcub18BlockScanAlgorithmE0EEfLj256ELj4ELj100EEvPKT0_PS4_S4_.num_vgpr, 13
	.set _Z6kernelI14exclusive_scanILN6hipcub18BlockScanAlgorithmE0EEfLj256ELj4ELj100EEvPKT0_PS4_S4_.num_agpr, 0
	.set _Z6kernelI14exclusive_scanILN6hipcub18BlockScanAlgorithmE0EEfLj256ELj4ELj100EEvPKT0_PS4_S4_.numbered_sgpr, 30
	.set _Z6kernelI14exclusive_scanILN6hipcub18BlockScanAlgorithmE0EEfLj256ELj4ELj100EEvPKT0_PS4_S4_.num_named_barrier, 0
	.set _Z6kernelI14exclusive_scanILN6hipcub18BlockScanAlgorithmE0EEfLj256ELj4ELj100EEvPKT0_PS4_S4_.private_seg_size, 0
	.set _Z6kernelI14exclusive_scanILN6hipcub18BlockScanAlgorithmE0EEfLj256ELj4ELj100EEvPKT0_PS4_S4_.uses_vcc, 1
	.set _Z6kernelI14exclusive_scanILN6hipcub18BlockScanAlgorithmE0EEfLj256ELj4ELj100EEvPKT0_PS4_S4_.uses_flat_scratch, 0
	.set _Z6kernelI14exclusive_scanILN6hipcub18BlockScanAlgorithmE0EEfLj256ELj4ELj100EEvPKT0_PS4_S4_.has_dyn_sized_stack, 0
	.set _Z6kernelI14exclusive_scanILN6hipcub18BlockScanAlgorithmE0EEfLj256ELj4ELj100EEvPKT0_PS4_S4_.has_recursion, 0
	.set _Z6kernelI14exclusive_scanILN6hipcub18BlockScanAlgorithmE0EEfLj256ELj4ELj100EEvPKT0_PS4_S4_.has_indirect_call, 0
	.section	.AMDGPU.csdata,"",@progbits
; Kernel info:
; codeLenInByte = 660
; TotalNumSgprs: 34
; NumVgprs: 13
; ScratchSize: 0
; MemoryBound: 0
; FloatMode: 240
; IeeeMode: 1
; LDSByteSize: 16 bytes/workgroup (compile time only)
; SGPRBlocks: 4
; VGPRBlocks: 3
; NumSGPRsForWavesPerEU: 34
; NumVGPRsForWavesPerEU: 13
; Occupancy: 10
; WaveLimiterHint : 0
; COMPUTE_PGM_RSRC2:SCRATCH_EN: 0
; COMPUTE_PGM_RSRC2:USER_SGPR: 6
; COMPUTE_PGM_RSRC2:TRAP_HANDLER: 0
; COMPUTE_PGM_RSRC2:TGID_X_EN: 1
; COMPUTE_PGM_RSRC2:TGID_Y_EN: 0
; COMPUTE_PGM_RSRC2:TGID_Z_EN: 0
; COMPUTE_PGM_RSRC2:TIDIG_COMP_CNT: 0
	.section	.text._Z6kernelI14exclusive_scanILN6hipcub18BlockScanAlgorithmE0EEfLj256ELj8ELj100EEvPKT0_PS4_S4_,"axG",@progbits,_Z6kernelI14exclusive_scanILN6hipcub18BlockScanAlgorithmE0EEfLj256ELj8ELj100EEvPKT0_PS4_S4_,comdat
	.protected	_Z6kernelI14exclusive_scanILN6hipcub18BlockScanAlgorithmE0EEfLj256ELj8ELj100EEvPKT0_PS4_S4_ ; -- Begin function _Z6kernelI14exclusive_scanILN6hipcub18BlockScanAlgorithmE0EEfLj256ELj8ELj100EEvPKT0_PS4_S4_
	.globl	_Z6kernelI14exclusive_scanILN6hipcub18BlockScanAlgorithmE0EEfLj256ELj8ELj100EEvPKT0_PS4_S4_
	.p2align	8
	.type	_Z6kernelI14exclusive_scanILN6hipcub18BlockScanAlgorithmE0EEfLj256ELj8ELj100EEvPKT0_PS4_S4_,@function
_Z6kernelI14exclusive_scanILN6hipcub18BlockScanAlgorithmE0EEfLj256ELj8ELj100EEvPKT0_PS4_S4_: ; @_Z6kernelI14exclusive_scanILN6hipcub18BlockScanAlgorithmE0EEfLj256ELj8ELj100EEvPKT0_PS4_S4_
; %bb.0:
	s_load_dword s0, s[4:5], 0x24
	s_load_dwordx4 s[24:27], s[4:5], 0x0
	s_load_dword s28, s[4:5], 0x10
	v_mov_b32_e32 v2, 0
	v_cmp_gt_u32_e64 s[12:13], 4, v0
	s_waitcnt lgkmcnt(0)
	s_and_b32 s0, s0, 0xffff
	s_mul_i32 s6, s6, s0
	v_add_lshl_u32 v1, s6, v0, 3
	v_lshlrev_b64 v[16:17], 2, v[1:2]
	v_mov_b32_e32 v1, s25
	v_add_co_u32_e32 v9, vcc, s24, v16
	v_addc_co_u32_e32 v10, vcc, v1, v17, vcc
	global_load_dwordx4 v[5:8], v[9:10], off
	global_load_dwordx4 v[1:4], v[9:10], off offset:16
	v_mbcnt_lo_u32_b32 v9, -1, 0
	v_mbcnt_hi_u32_b32 v9, -1, v9
	v_and_b32_e32 v10, 15, v9
	v_cmp_eq_u32_e32 vcc, 0, v10
	v_cmp_lt_u32_e64 s[0:1], 1, v10
	v_cmp_lt_u32_e64 s[2:3], 3, v10
	;; [unrolled: 1-line block ×3, first 2 shown]
	v_and_b32_e32 v10, 16, v9
	v_cmp_eq_u32_e64 s[6:7], 0, v10
	v_or_b32_e32 v10, 63, v0
	v_cmp_eq_u32_e64 s[10:11], v0, v10
	v_subrev_co_u32_e64 v10, s[16:17], 1, v9
	v_and_b32_e32 v11, 64, v9
	v_cmp_lt_i32_e64 s[18:19], v10, v11
	v_cndmask_b32_e64 v10, v10, v9, s[18:19]
	v_lshlrev_b32_e32 v18, 2, v10
	v_lshrrev_b32_e32 v10, 4, v0
	v_cmp_lt_u32_e64 s[8:9], 31, v9
	v_and_b32_e32 v19, 12, v10
	v_and_b32_e32 v9, 3, v9
	v_cmp_lt_u32_e64 s[14:15], 63, v0
	v_cmp_eq_u32_e64 s[18:19], 0, v0
	v_lshlrev_b32_e32 v0, 2, v0
	v_cmp_eq_u32_e64 s[20:21], 0, v9
	v_cmp_lt_u32_e64 s[22:23], 1, v9
	v_add_u32_e32 v20, -4, v19
	s_movk_i32 s29, 0x64
.LBB195_1:                              ; =>This Inner Loop Header: Depth=1
	s_waitcnt vmcnt(1)
	v_add_f32_e32 v9, v5, v6
	v_add_f32_e32 v9, v7, v9
	;; [unrolled: 1-line block ×3, first 2 shown]
	s_waitcnt vmcnt(0)
	v_add_f32_e32 v9, v1, v9
	v_add_f32_e32 v9, v2, v9
	;; [unrolled: 1-line block ×4, first 2 shown]
	s_nop 1
	v_mov_b32_dpp v9, v4 row_shr:1 row_mask:0xf bank_mask:0xf
	v_add_f32_e32 v9, v4, v9
	v_cndmask_b32_e32 v4, v9, v4, vcc
	s_nop 1
	v_mov_b32_dpp v9, v4 row_shr:2 row_mask:0xf bank_mask:0xf
	v_add_f32_e32 v9, v4, v9
	v_cndmask_b32_e64 v4, v4, v9, s[0:1]
	s_nop 1
	v_mov_b32_dpp v9, v4 row_shr:4 row_mask:0xf bank_mask:0xf
	v_add_f32_e32 v9, v4, v9
	v_cndmask_b32_e64 v4, v4, v9, s[2:3]
	;; [unrolled: 4-line block ×3, first 2 shown]
	s_nop 1
	v_mov_b32_dpp v9, v4 row_bcast:15 row_mask:0xf bank_mask:0xf
	v_add_f32_e32 v9, v4, v9
	v_cndmask_b32_e64 v4, v9, v4, s[6:7]
	s_nop 1
	v_mov_b32_dpp v9, v4 row_bcast:31 row_mask:0xf bank_mask:0xf
	v_add_f32_e32 v9, v4, v9
	v_cndmask_b32_e64 v4, v4, v9, s[8:9]
	s_and_saveexec_b64 s[24:25], s[10:11]
; %bb.2:                                ;   in Loop: Header=BB195_1 Depth=1
	ds_write_b32 v19, v4
; %bb.3:                                ;   in Loop: Header=BB195_1 Depth=1
	s_or_b64 exec, exec, s[24:25]
	s_waitcnt lgkmcnt(0)
	s_barrier
	s_and_saveexec_b64 s[24:25], s[12:13]
	s_cbranch_execz .LBB195_5
; %bb.4:                                ;   in Loop: Header=BB195_1 Depth=1
	ds_read_b32 v9, v0
	s_waitcnt lgkmcnt(0)
	s_nop 0
	v_mov_b32_dpp v10, v9 row_shr:1 row_mask:0xf bank_mask:0xf
	v_add_f32_e32 v10, v9, v10
	v_cndmask_b32_e64 v9, v10, v9, s[20:21]
	s_nop 1
	v_mov_b32_dpp v10, v9 row_shr:2 row_mask:0xf bank_mask:0xf
	v_add_f32_e32 v10, v9, v10
	v_cndmask_b32_e64 v9, v9, v10, s[22:23]
	ds_write_b32 v0, v9
.LBB195_5:                              ;   in Loop: Header=BB195_1 Depth=1
	s_or_b64 exec, exec, s[24:25]
	v_mov_b32_e32 v9, s28
	s_waitcnt lgkmcnt(0)
	s_barrier
	s_and_saveexec_b64 s[24:25], s[14:15]
	s_cbranch_execz .LBB195_7
; %bb.6:                                ;   in Loop: Header=BB195_1 Depth=1
	ds_read_b32 v9, v20
	s_waitcnt lgkmcnt(0)
	v_add_f32_e32 v9, s28, v9
.LBB195_7:                              ;   in Loop: Header=BB195_1 Depth=1
	s_or_b64 exec, exec, s[24:25]
	v_add_f32_e32 v4, v4, v9
	ds_bpermute_b32 v4, v18, v4
	v_mov_b32_e32 v10, s28
	s_add_i32 s29, s29, -1
	s_cmp_lg_u32 s29, 0
	s_waitcnt lgkmcnt(0)
	v_cndmask_b32_e64 v4, v4, v9, s[16:17]
	v_cndmask_b32_e64 v12, v4, v10, s[18:19]
	v_add_f32_e32 v13, v5, v12
	v_add_f32_e32 v14, v6, v13
	;; [unrolled: 1-line block ×7, first 2 shown]
	s_cbranch_scc0 .LBB195_9
; %bb.8:                                ;   in Loop: Header=BB195_1 Depth=1
	v_mov_b32_e32 v5, v12
	v_mov_b32_e32 v6, v13
	v_mov_b32_e32 v7, v14
	v_mov_b32_e32 v8, v15
	v_mov_b32_e32 v1, v9
	v_mov_b32_e32 v2, v10
	v_mov_b32_e32 v3, v11
	s_branch .LBB195_1
.LBB195_9:
	v_mov_b32_e32 v1, s27
	v_add_co_u32_e32 v0, vcc, s26, v16
	v_addc_co_u32_e32 v1, vcc, v1, v17, vcc
	global_store_dwordx4 v[0:1], v[12:15], off
	s_nop 0
	v_mov_b32_e32 v12, v4
	global_store_dwordx4 v[0:1], v[9:12], off offset:16
	s_endpgm
	.section	.rodata,"a",@progbits
	.p2align	6, 0x0
	.amdhsa_kernel _Z6kernelI14exclusive_scanILN6hipcub18BlockScanAlgorithmE0EEfLj256ELj8ELj100EEvPKT0_PS4_S4_
		.amdhsa_group_segment_fixed_size 16
		.amdhsa_private_segment_fixed_size 0
		.amdhsa_kernarg_size 280
		.amdhsa_user_sgpr_count 6
		.amdhsa_user_sgpr_private_segment_buffer 1
		.amdhsa_user_sgpr_dispatch_ptr 0
		.amdhsa_user_sgpr_queue_ptr 0
		.amdhsa_user_sgpr_kernarg_segment_ptr 1
		.amdhsa_user_sgpr_dispatch_id 0
		.amdhsa_user_sgpr_flat_scratch_init 0
		.amdhsa_user_sgpr_private_segment_size 0
		.amdhsa_uses_dynamic_stack 0
		.amdhsa_system_sgpr_private_segment_wavefront_offset 0
		.amdhsa_system_sgpr_workgroup_id_x 1
		.amdhsa_system_sgpr_workgroup_id_y 0
		.amdhsa_system_sgpr_workgroup_id_z 0
		.amdhsa_system_sgpr_workgroup_info 0
		.amdhsa_system_vgpr_workitem_id 0
		.amdhsa_next_free_vgpr 21
		.amdhsa_next_free_sgpr 30
		.amdhsa_reserve_vcc 1
		.amdhsa_reserve_flat_scratch 0
		.amdhsa_float_round_mode_32 0
		.amdhsa_float_round_mode_16_64 0
		.amdhsa_float_denorm_mode_32 3
		.amdhsa_float_denorm_mode_16_64 3
		.amdhsa_dx10_clamp 1
		.amdhsa_ieee_mode 1
		.amdhsa_fp16_overflow 0
		.amdhsa_exception_fp_ieee_invalid_op 0
		.amdhsa_exception_fp_denorm_src 0
		.amdhsa_exception_fp_ieee_div_zero 0
		.amdhsa_exception_fp_ieee_overflow 0
		.amdhsa_exception_fp_ieee_underflow 0
		.amdhsa_exception_fp_ieee_inexact 0
		.amdhsa_exception_int_div_zero 0
	.end_amdhsa_kernel
	.section	.text._Z6kernelI14exclusive_scanILN6hipcub18BlockScanAlgorithmE0EEfLj256ELj8ELj100EEvPKT0_PS4_S4_,"axG",@progbits,_Z6kernelI14exclusive_scanILN6hipcub18BlockScanAlgorithmE0EEfLj256ELj8ELj100EEvPKT0_PS4_S4_,comdat
.Lfunc_end195:
	.size	_Z6kernelI14exclusive_scanILN6hipcub18BlockScanAlgorithmE0EEfLj256ELj8ELj100EEvPKT0_PS4_S4_, .Lfunc_end195-_Z6kernelI14exclusive_scanILN6hipcub18BlockScanAlgorithmE0EEfLj256ELj8ELj100EEvPKT0_PS4_S4_
                                        ; -- End function
	.set _Z6kernelI14exclusive_scanILN6hipcub18BlockScanAlgorithmE0EEfLj256ELj8ELj100EEvPKT0_PS4_S4_.num_vgpr, 21
	.set _Z6kernelI14exclusive_scanILN6hipcub18BlockScanAlgorithmE0EEfLj256ELj8ELj100EEvPKT0_PS4_S4_.num_agpr, 0
	.set _Z6kernelI14exclusive_scanILN6hipcub18BlockScanAlgorithmE0EEfLj256ELj8ELj100EEvPKT0_PS4_S4_.numbered_sgpr, 30
	.set _Z6kernelI14exclusive_scanILN6hipcub18BlockScanAlgorithmE0EEfLj256ELj8ELj100EEvPKT0_PS4_S4_.num_named_barrier, 0
	.set _Z6kernelI14exclusive_scanILN6hipcub18BlockScanAlgorithmE0EEfLj256ELj8ELj100EEvPKT0_PS4_S4_.private_seg_size, 0
	.set _Z6kernelI14exclusive_scanILN6hipcub18BlockScanAlgorithmE0EEfLj256ELj8ELj100EEvPKT0_PS4_S4_.uses_vcc, 1
	.set _Z6kernelI14exclusive_scanILN6hipcub18BlockScanAlgorithmE0EEfLj256ELj8ELj100EEvPKT0_PS4_S4_.uses_flat_scratch, 0
	.set _Z6kernelI14exclusive_scanILN6hipcub18BlockScanAlgorithmE0EEfLj256ELj8ELj100EEvPKT0_PS4_S4_.has_dyn_sized_stack, 0
	.set _Z6kernelI14exclusive_scanILN6hipcub18BlockScanAlgorithmE0EEfLj256ELj8ELj100EEvPKT0_PS4_S4_.has_recursion, 0
	.set _Z6kernelI14exclusive_scanILN6hipcub18BlockScanAlgorithmE0EEfLj256ELj8ELj100EEvPKT0_PS4_S4_.has_indirect_call, 0
	.section	.AMDGPU.csdata,"",@progbits
; Kernel info:
; codeLenInByte = 732
; TotalNumSgprs: 34
; NumVgprs: 21
; ScratchSize: 0
; MemoryBound: 0
; FloatMode: 240
; IeeeMode: 1
; LDSByteSize: 16 bytes/workgroup (compile time only)
; SGPRBlocks: 4
; VGPRBlocks: 5
; NumSGPRsForWavesPerEU: 34
; NumVGPRsForWavesPerEU: 21
; Occupancy: 10
; WaveLimiterHint : 0
; COMPUTE_PGM_RSRC2:SCRATCH_EN: 0
; COMPUTE_PGM_RSRC2:USER_SGPR: 6
; COMPUTE_PGM_RSRC2:TRAP_HANDLER: 0
; COMPUTE_PGM_RSRC2:TGID_X_EN: 1
; COMPUTE_PGM_RSRC2:TGID_Y_EN: 0
; COMPUTE_PGM_RSRC2:TGID_Z_EN: 0
; COMPUTE_PGM_RSRC2:TIDIG_COMP_CNT: 0
	.section	.text._Z6kernelI14exclusive_scanILN6hipcub18BlockScanAlgorithmE0EEfLj256ELj11ELj100EEvPKT0_PS4_S4_,"axG",@progbits,_Z6kernelI14exclusive_scanILN6hipcub18BlockScanAlgorithmE0EEfLj256ELj11ELj100EEvPKT0_PS4_S4_,comdat
	.protected	_Z6kernelI14exclusive_scanILN6hipcub18BlockScanAlgorithmE0EEfLj256ELj11ELj100EEvPKT0_PS4_S4_ ; -- Begin function _Z6kernelI14exclusive_scanILN6hipcub18BlockScanAlgorithmE0EEfLj256ELj11ELj100EEvPKT0_PS4_S4_
	.globl	_Z6kernelI14exclusive_scanILN6hipcub18BlockScanAlgorithmE0EEfLj256ELj11ELj100EEvPKT0_PS4_S4_
	.p2align	8
	.type	_Z6kernelI14exclusive_scanILN6hipcub18BlockScanAlgorithmE0EEfLj256ELj11ELj100EEvPKT0_PS4_S4_,@function
_Z6kernelI14exclusive_scanILN6hipcub18BlockScanAlgorithmE0EEfLj256ELj11ELj100EEvPKT0_PS4_S4_: ; @_Z6kernelI14exclusive_scanILN6hipcub18BlockScanAlgorithmE0EEfLj256ELj11ELj100EEvPKT0_PS4_S4_
; %bb.0:
	s_load_dword s0, s[4:5], 0x24
	s_load_dwordx4 s[24:27], s[4:5], 0x0
	s_load_dword s28, s[4:5], 0x10
	v_mov_b32_e32 v18, 0
	v_cmp_gt_u32_e64 s[18:19], 4, v0
	s_waitcnt lgkmcnt(0)
	s_and_b32 s0, s0, 0xffff
	s_mul_i32 s6, s6, s0
	v_add_u32_e32 v1, s6, v0
	v_mul_lo_u32 v17, v1, 11
	v_mov_b32_e32 v2, s25
	v_mov_b32_e32 v23, s25
	v_cmp_lt_u32_e64 s[20:21], 63, v0
	v_lshlrev_b64 v[15:16], 2, v[17:18]
	v_add_u32_e32 v1, 1, v17
	v_add_co_u32_e32 v19, vcc, s24, v15
	v_addc_co_u32_e32 v20, vcc, v2, v16, vcc
	v_mov_b32_e32 v2, v18
	v_lshlrev_b64 v[13:14], 2, v[1:2]
	v_mov_b32_e32 v1, s25
	v_add_co_u32_e32 v21, vcc, s24, v13
	v_addc_co_u32_e32 v22, vcc, v1, v14, vcc
	v_add_u32_e32 v1, 2, v17
	v_lshlrev_b64 v[11:12], 2, v[1:2]
	v_mov_b32_e32 v1, s25
	v_add_co_u32_e32 v31, vcc, s24, v11
	v_addc_co_u32_e32 v32, vcc, v1, v12, vcc
	v_add_u32_e32 v1, 3, v17
	;; [unrolled: 5-line block ×6, first 2 shown]
	v_lshlrev_b64 v[1:2], 2, v[1:2]
	v_cmp_eq_u32_e64 s[22:23], 0, v0
	v_add_co_u32_e32 v41, vcc, s24, v1
	v_addc_co_u32_e32 v42, vcc, v23, v2, vcc
	global_load_dword v30, v[19:20], off
	global_load_dword v28, v[21:22], off
	;; [unrolled: 1-line block ×5, first 2 shown]
                                        ; kill: killed $vgpr33 killed $vgpr34
                                        ; kill: killed $vgpr21 killed $vgpr22
                                        ; kill: killed $vgpr31 killed $vgpr32
                                        ; kill: killed $vgpr35 killed $vgpr36
                                        ; kill: killed $vgpr19 killed $vgpr20
	global_load_dword v29, v[37:38], off
	global_load_dword v27, v[39:40], off
	;; [unrolled: 1-line block ×3, first 2 shown]
	v_add_u32_e32 v19, 8, v17
	v_mov_b32_e32 v20, v18
	v_lshlrev_b64 v[21:22], 2, v[19:20]
	v_mov_b32_e32 v19, s25
	v_add_co_u32_e32 v34, vcc, s24, v21
	v_addc_co_u32_e32 v35, vcc, v19, v22, vcc
	v_add_u32_e32 v19, 9, v17
	v_lshlrev_b64 v[19:20], 2, v[19:20]
	v_add_u32_e32 v17, 10, v17
	v_mov_b32_e32 v31, s25
	v_add_co_u32_e32 v36, vcc, s24, v19
	v_lshlrev_b64 v[17:18], 2, v[17:18]
	v_addc_co_u32_e32 v37, vcc, v31, v20, vcc
	v_add_co_u32_e32 v38, vcc, s24, v17
	v_addc_co_u32_e32 v39, vcc, v31, v18, vcc
	global_load_dword v32, v[34:35], off
	global_load_dword v31, v[36:37], off
	;; [unrolled: 1-line block ×3, first 2 shown]
	v_mbcnt_lo_u32_b32 v34, -1, 0
	v_mbcnt_hi_u32_b32 v34, -1, v34
	v_and_b32_e32 v35, 15, v34
	v_cmp_eq_u32_e32 vcc, 0, v35
	v_cmp_lt_u32_e64 s[0:1], 1, v35
	v_cmp_lt_u32_e64 s[2:3], 3, v35
	;; [unrolled: 1-line block ×3, first 2 shown]
	v_and_b32_e32 v35, 16, v34
	v_cmp_eq_u32_e64 s[6:7], 0, v35
	v_or_b32_e32 v35, 63, v0
	v_cmp_eq_u32_e64 s[8:9], v0, v35
	v_subrev_co_u32_e64 v35, s[10:11], 1, v34
	v_and_b32_e32 v36, 64, v34
	v_cmp_lt_i32_e64 s[14:15], v35, v36
	v_cmp_lt_u32_e64 s[12:13], 31, v34
	v_cndmask_b32_e64 v35, v35, v34, s[14:15]
	v_and_b32_e32 v34, 3, v34
	v_cmp_eq_u32_e64 s[14:15], 0, v34
	v_cmp_lt_u32_e64 s[16:17], 1, v34
	v_lshlrev_b32_e32 v34, 2, v35
	v_lshrrev_b32_e32 v35, 4, v0
	v_and_b32_e32 v35, 12, v35
	v_lshlrev_b32_e32 v0, 2, v0
	s_movk_i32 s29, 0x64
	v_add_u32_e32 v36, -4, v35
.LBB196_1:                              ; =>This Inner Loop Header: Depth=1
	s_waitcnt vmcnt(9)
	v_add_f32_e32 v37, v28, v30
	s_waitcnt vmcnt(8)
	v_add_f32_e32 v37, v26, v37
	;; [unrolled: 2-line block ×10, first 2 shown]
	s_nop 1
	v_mov_b32_dpp v37, v33 row_shr:1 row_mask:0xf bank_mask:0xf
	v_add_f32_e32 v37, v33, v37
	v_cndmask_b32_e32 v33, v37, v33, vcc
	s_nop 1
	v_mov_b32_dpp v37, v33 row_shr:2 row_mask:0xf bank_mask:0xf
	v_add_f32_e32 v37, v33, v37
	v_cndmask_b32_e64 v33, v33, v37, s[0:1]
	s_nop 1
	v_mov_b32_dpp v37, v33 row_shr:4 row_mask:0xf bank_mask:0xf
	v_add_f32_e32 v37, v33, v37
	v_cndmask_b32_e64 v33, v33, v37, s[2:3]
	;; [unrolled: 4-line block ×3, first 2 shown]
	s_nop 1
	v_mov_b32_dpp v37, v33 row_bcast:15 row_mask:0xf bank_mask:0xf
	v_add_f32_e32 v37, v33, v37
	v_cndmask_b32_e64 v33, v37, v33, s[6:7]
	s_nop 1
	v_mov_b32_dpp v37, v33 row_bcast:31 row_mask:0xf bank_mask:0xf
	v_add_f32_e32 v37, v33, v37
	v_cndmask_b32_e64 v33, v33, v37, s[12:13]
	s_and_saveexec_b64 s[24:25], s[8:9]
; %bb.2:                                ;   in Loop: Header=BB196_1 Depth=1
	ds_write_b32 v35, v33
; %bb.3:                                ;   in Loop: Header=BB196_1 Depth=1
	s_or_b64 exec, exec, s[24:25]
	s_waitcnt lgkmcnt(0)
	s_barrier
	s_and_saveexec_b64 s[24:25], s[18:19]
	s_cbranch_execz .LBB196_5
; %bb.4:                                ;   in Loop: Header=BB196_1 Depth=1
	ds_read_b32 v37, v0
	s_waitcnt lgkmcnt(0)
	s_nop 0
	v_mov_b32_dpp v38, v37 row_shr:1 row_mask:0xf bank_mask:0xf
	v_add_f32_e32 v38, v37, v38
	v_cndmask_b32_e64 v37, v38, v37, s[14:15]
	s_nop 1
	v_mov_b32_dpp v38, v37 row_shr:2 row_mask:0xf bank_mask:0xf
	v_add_f32_e32 v38, v37, v38
	v_cndmask_b32_e64 v37, v37, v38, s[16:17]
	ds_write_b32 v0, v37
.LBB196_5:                              ;   in Loop: Header=BB196_1 Depth=1
	s_or_b64 exec, exec, s[24:25]
	v_mov_b32_e32 v37, s28
	s_waitcnt lgkmcnt(0)
	s_barrier
	s_and_saveexec_b64 s[24:25], s[20:21]
	s_cbranch_execz .LBB196_7
; %bb.6:                                ;   in Loop: Header=BB196_1 Depth=1
	ds_read_b32 v37, v36
	s_waitcnt lgkmcnt(0)
	v_add_f32_e32 v37, s28, v37
.LBB196_7:                              ;   in Loop: Header=BB196_1 Depth=1
	s_or_b64 exec, exec, s[24:25]
	v_add_f32_e32 v33, v33, v37
	ds_bpermute_b32 v33, v34, v33
	v_mov_b32_e32 v38, s28
	s_add_i32 s29, s29, -1
	s_cmp_lg_u32 s29, 0
	s_waitcnt lgkmcnt(0)
	v_cndmask_b32_e64 v33, v33, v37, s[10:11]
	v_cndmask_b32_e64 v41, v33, v38, s[22:23]
	v_add_f32_e32 v40, v30, v41
	v_add_f32_e32 v39, v28, v40
	;; [unrolled: 1-line block ×10, first 2 shown]
	s_cbranch_scc0 .LBB196_9
; %bb.8:                                ;   in Loop: Header=BB196_1 Depth=1
	v_mov_b32_e32 v31, v23
	v_mov_b32_e32 v32, v24
	;; [unrolled: 1-line block ×10, first 2 shown]
	s_branch .LBB196_1
.LBB196_9:
	v_mov_b32_e32 v0, s27
	v_add_co_u32_e32 v15, vcc, s26, v15
	v_addc_co_u32_e32 v16, vcc, v0, v16, vcc
	v_add_co_u32_e32 v13, vcc, s26, v13
	v_addc_co_u32_e32 v14, vcc, v0, v14, vcc
	;; [unrolled: 2-line block ×7, first 2 shown]
	global_store_dword v[3:4], v28, off
	v_mov_b32_e32 v3, s27
	v_add_co_u32_e32 v0, vcc, s26, v1
	v_addc_co_u32_e32 v1, vcc, v3, v2, vcc
	global_store_dword v[0:1], v26, off
	v_mov_b32_e32 v1, s27
	v_add_co_u32_e32 v0, vcc, s26, v21
	v_addc_co_u32_e32 v1, vcc, v1, v22, vcc
	;; [unrolled: 4-line block ×4, first 2 shown]
	global_store_dword v[15:16], v41, off
	global_store_dword v[13:14], v40, off
	;; [unrolled: 1-line block ×7, first 2 shown]
	s_endpgm
	.section	.rodata,"a",@progbits
	.p2align	6, 0x0
	.amdhsa_kernel _Z6kernelI14exclusive_scanILN6hipcub18BlockScanAlgorithmE0EEfLj256ELj11ELj100EEvPKT0_PS4_S4_
		.amdhsa_group_segment_fixed_size 16
		.amdhsa_private_segment_fixed_size 0
		.amdhsa_kernarg_size 280
		.amdhsa_user_sgpr_count 6
		.amdhsa_user_sgpr_private_segment_buffer 1
		.amdhsa_user_sgpr_dispatch_ptr 0
		.amdhsa_user_sgpr_queue_ptr 0
		.amdhsa_user_sgpr_kernarg_segment_ptr 1
		.amdhsa_user_sgpr_dispatch_id 0
		.amdhsa_user_sgpr_flat_scratch_init 0
		.amdhsa_user_sgpr_private_segment_size 0
		.amdhsa_uses_dynamic_stack 0
		.amdhsa_system_sgpr_private_segment_wavefront_offset 0
		.amdhsa_system_sgpr_workgroup_id_x 1
		.amdhsa_system_sgpr_workgroup_id_y 0
		.amdhsa_system_sgpr_workgroup_id_z 0
		.amdhsa_system_sgpr_workgroup_info 0
		.amdhsa_system_vgpr_workitem_id 0
		.amdhsa_next_free_vgpr 43
		.amdhsa_next_free_sgpr 30
		.amdhsa_reserve_vcc 1
		.amdhsa_reserve_flat_scratch 0
		.amdhsa_float_round_mode_32 0
		.amdhsa_float_round_mode_16_64 0
		.amdhsa_float_denorm_mode_32 3
		.amdhsa_float_denorm_mode_16_64 3
		.amdhsa_dx10_clamp 1
		.amdhsa_ieee_mode 1
		.amdhsa_fp16_overflow 0
		.amdhsa_exception_fp_ieee_invalid_op 0
		.amdhsa_exception_fp_denorm_src 0
		.amdhsa_exception_fp_ieee_div_zero 0
		.amdhsa_exception_fp_ieee_overflow 0
		.amdhsa_exception_fp_ieee_underflow 0
		.amdhsa_exception_fp_ieee_inexact 0
		.amdhsa_exception_int_div_zero 0
	.end_amdhsa_kernel
	.section	.text._Z6kernelI14exclusive_scanILN6hipcub18BlockScanAlgorithmE0EEfLj256ELj11ELj100EEvPKT0_PS4_S4_,"axG",@progbits,_Z6kernelI14exclusive_scanILN6hipcub18BlockScanAlgorithmE0EEfLj256ELj11ELj100EEvPKT0_PS4_S4_,comdat
.Lfunc_end196:
	.size	_Z6kernelI14exclusive_scanILN6hipcub18BlockScanAlgorithmE0EEfLj256ELj11ELj100EEvPKT0_PS4_S4_, .Lfunc_end196-_Z6kernelI14exclusive_scanILN6hipcub18BlockScanAlgorithmE0EEfLj256ELj11ELj100EEvPKT0_PS4_S4_
                                        ; -- End function
	.set _Z6kernelI14exclusive_scanILN6hipcub18BlockScanAlgorithmE0EEfLj256ELj11ELj100EEvPKT0_PS4_S4_.num_vgpr, 43
	.set _Z6kernelI14exclusive_scanILN6hipcub18BlockScanAlgorithmE0EEfLj256ELj11ELj100EEvPKT0_PS4_S4_.num_agpr, 0
	.set _Z6kernelI14exclusive_scanILN6hipcub18BlockScanAlgorithmE0EEfLj256ELj11ELj100EEvPKT0_PS4_S4_.numbered_sgpr, 30
	.set _Z6kernelI14exclusive_scanILN6hipcub18BlockScanAlgorithmE0EEfLj256ELj11ELj100EEvPKT0_PS4_S4_.num_named_barrier, 0
	.set _Z6kernelI14exclusive_scanILN6hipcub18BlockScanAlgorithmE0EEfLj256ELj11ELj100EEvPKT0_PS4_S4_.private_seg_size, 0
	.set _Z6kernelI14exclusive_scanILN6hipcub18BlockScanAlgorithmE0EEfLj256ELj11ELj100EEvPKT0_PS4_S4_.uses_vcc, 1
	.set _Z6kernelI14exclusive_scanILN6hipcub18BlockScanAlgorithmE0EEfLj256ELj11ELj100EEvPKT0_PS4_S4_.uses_flat_scratch, 0
	.set _Z6kernelI14exclusive_scanILN6hipcub18BlockScanAlgorithmE0EEfLj256ELj11ELj100EEvPKT0_PS4_S4_.has_dyn_sized_stack, 0
	.set _Z6kernelI14exclusive_scanILN6hipcub18BlockScanAlgorithmE0EEfLj256ELj11ELj100EEvPKT0_PS4_S4_.has_recursion, 0
	.set _Z6kernelI14exclusive_scanILN6hipcub18BlockScanAlgorithmE0EEfLj256ELj11ELj100EEvPKT0_PS4_S4_.has_indirect_call, 0
	.section	.AMDGPU.csdata,"",@progbits
; Kernel info:
; codeLenInByte = 1280
; TotalNumSgprs: 34
; NumVgprs: 43
; ScratchSize: 0
; MemoryBound: 0
; FloatMode: 240
; IeeeMode: 1
; LDSByteSize: 16 bytes/workgroup (compile time only)
; SGPRBlocks: 4
; VGPRBlocks: 10
; NumSGPRsForWavesPerEU: 34
; NumVGPRsForWavesPerEU: 43
; Occupancy: 5
; WaveLimiterHint : 0
; COMPUTE_PGM_RSRC2:SCRATCH_EN: 0
; COMPUTE_PGM_RSRC2:USER_SGPR: 6
; COMPUTE_PGM_RSRC2:TRAP_HANDLER: 0
; COMPUTE_PGM_RSRC2:TGID_X_EN: 1
; COMPUTE_PGM_RSRC2:TGID_Y_EN: 0
; COMPUTE_PGM_RSRC2:TGID_Z_EN: 0
; COMPUTE_PGM_RSRC2:TIDIG_COMP_CNT: 0
	.section	.text._Z6kernelI14exclusive_scanILN6hipcub18BlockScanAlgorithmE0EEfLj256ELj16ELj100EEvPKT0_PS4_S4_,"axG",@progbits,_Z6kernelI14exclusive_scanILN6hipcub18BlockScanAlgorithmE0EEfLj256ELj16ELj100EEvPKT0_PS4_S4_,comdat
	.protected	_Z6kernelI14exclusive_scanILN6hipcub18BlockScanAlgorithmE0EEfLj256ELj16ELj100EEvPKT0_PS4_S4_ ; -- Begin function _Z6kernelI14exclusive_scanILN6hipcub18BlockScanAlgorithmE0EEfLj256ELj16ELj100EEvPKT0_PS4_S4_
	.globl	_Z6kernelI14exclusive_scanILN6hipcub18BlockScanAlgorithmE0EEfLj256ELj16ELj100EEvPKT0_PS4_S4_
	.p2align	8
	.type	_Z6kernelI14exclusive_scanILN6hipcub18BlockScanAlgorithmE0EEfLj256ELj16ELj100EEvPKT0_PS4_S4_,@function
_Z6kernelI14exclusive_scanILN6hipcub18BlockScanAlgorithmE0EEfLj256ELj16ELj100EEvPKT0_PS4_S4_: ; @_Z6kernelI14exclusive_scanILN6hipcub18BlockScanAlgorithmE0EEfLj256ELj16ELj100EEvPKT0_PS4_S4_
; %bb.0:
	s_load_dword s0, s[4:5], 0x24
	s_load_dwordx4 s[24:27], s[4:5], 0x0
	s_load_dword s28, s[4:5], 0x10
	v_mov_b32_e32 v2, 0
	v_mbcnt_lo_u32_b32 v9, -1, 0
	s_waitcnt lgkmcnt(0)
	s_and_b32 s0, s0, 0xffff
	s_mul_i32 s6, s6, s0
	v_add_lshl_u32 v1, s6, v0, 4
	v_lshlrev_b64 v[21:22], 2, v[1:2]
	v_mov_b32_e32 v1, s25
	v_add_co_u32_e32 v17, vcc, s24, v21
	v_mbcnt_hi_u32_b32 v9, -1, v9
	v_addc_co_u32_e32 v18, vcc, v1, v22, vcc
	v_and_b32_e32 v10, 15, v9
	v_cmp_eq_u32_e32 vcc, 0, v10
	v_cmp_lt_u32_e64 s[0:1], 1, v10
	v_cmp_lt_u32_e64 s[2:3], 3, v10
	;; [unrolled: 1-line block ×3, first 2 shown]
	v_and_b32_e32 v10, 16, v9
	v_cmp_eq_u32_e64 s[6:7], 0, v10
	v_or_b32_e32 v10, 63, v0
	v_cmp_eq_u32_e64 s[10:11], v0, v10
	v_subrev_co_u32_e64 v10, s[16:17], 1, v9
	v_and_b32_e32 v11, 64, v9
	v_cmp_lt_i32_e64 s[18:19], v10, v11
	v_cndmask_b32_e64 v10, v10, v9, s[18:19]
	v_lshlrev_b32_e32 v23, 2, v10
	v_lshrrev_b32_e32 v10, 4, v0
	global_load_dwordx4 v[5:8], v[17:18], off
	global_load_dwordx4 v[1:4], v[17:18], off offset:16
	v_cmp_lt_u32_e64 s[8:9], 31, v9
	v_cmp_gt_u32_e64 s[12:13], 4, v0
	v_cmp_lt_u32_e64 s[14:15], 63, v0
	v_cmp_eq_u32_e64 s[18:19], 0, v0
	v_and_b32_e32 v24, 12, v10
	v_lshlrev_b32_e32 v25, 2, v0
	v_and_b32_e32 v0, 3, v9
	global_load_dwordx4 v[13:16], v[17:18], off offset:32
	global_load_dwordx4 v[9:12], v[17:18], off offset:48
	v_cmp_eq_u32_e64 s[20:21], 0, v0
	v_cmp_lt_u32_e64 s[22:23], 1, v0
	s_movk_i32 s29, 0x64
.LBB197_1:                              ; =>This Inner Loop Header: Depth=1
	s_waitcnt vmcnt(3)
	v_add_f32_e32 v0, v6, v5
	v_add_f32_e32 v0, v7, v0
	v_add_f32_e32 v0, v8, v0
	s_waitcnt vmcnt(2)
	v_add_f32_e32 v0, v1, v0
	v_add_f32_e32 v0, v2, v0
	v_add_f32_e32 v0, v3, v0
	v_add_f32_e32 v0, v4, v0
	s_waitcnt vmcnt(1)
	v_add_f32_e32 v0, v13, v0
	;; [unrolled: 5-line block ×3, first 2 shown]
	v_add_f32_e32 v0, v10, v0
	v_add_f32_e32 v0, v11, v0
	v_add_f32_e32 v0, v12, v0
	s_nop 1
	v_mov_b32_dpp v12, v0 row_shr:1 row_mask:0xf bank_mask:0xf
	v_add_f32_e32 v12, v0, v12
	v_cndmask_b32_e32 v0, v12, v0, vcc
	s_nop 1
	v_mov_b32_dpp v12, v0 row_shr:2 row_mask:0xf bank_mask:0xf
	v_add_f32_e32 v12, v0, v12
	v_cndmask_b32_e64 v0, v0, v12, s[0:1]
	s_nop 1
	v_mov_b32_dpp v12, v0 row_shr:4 row_mask:0xf bank_mask:0xf
	v_add_f32_e32 v12, v0, v12
	v_cndmask_b32_e64 v0, v0, v12, s[2:3]
	;; [unrolled: 4-line block ×3, first 2 shown]
	s_nop 1
	v_mov_b32_dpp v12, v0 row_bcast:15 row_mask:0xf bank_mask:0xf
	v_add_f32_e32 v12, v0, v12
	v_cndmask_b32_e64 v0, v12, v0, s[6:7]
	s_nop 1
	v_mov_b32_dpp v12, v0 row_bcast:31 row_mask:0xf bank_mask:0xf
	v_add_f32_e32 v12, v0, v12
	v_cndmask_b32_e64 v0, v0, v12, s[8:9]
	s_and_saveexec_b64 s[24:25], s[10:11]
; %bb.2:                                ;   in Loop: Header=BB197_1 Depth=1
	ds_write_b32 v24, v0
; %bb.3:                                ;   in Loop: Header=BB197_1 Depth=1
	s_or_b64 exec, exec, s[24:25]
	s_waitcnt lgkmcnt(0)
	s_barrier
	s_and_saveexec_b64 s[24:25], s[12:13]
	s_cbranch_execz .LBB197_5
; %bb.4:                                ;   in Loop: Header=BB197_1 Depth=1
	ds_read_b32 v12, v25
	s_waitcnt lgkmcnt(0)
	s_nop 0
	v_mov_b32_dpp v17, v12 row_shr:1 row_mask:0xf bank_mask:0xf
	v_add_f32_e32 v17, v12, v17
	v_cndmask_b32_e64 v12, v17, v12, s[20:21]
	s_nop 1
	v_mov_b32_dpp v17, v12 row_shr:2 row_mask:0xf bank_mask:0xf
	v_add_f32_e32 v17, v12, v17
	v_cndmask_b32_e64 v12, v12, v17, s[22:23]
	ds_write_b32 v25, v12
.LBB197_5:                              ;   in Loop: Header=BB197_1 Depth=1
	s_or_b64 exec, exec, s[24:25]
	v_mov_b32_e32 v12, s28
	s_waitcnt lgkmcnt(0)
	s_barrier
	s_and_saveexec_b64 s[24:25], s[14:15]
	s_cbranch_execz .LBB197_7
; %bb.6:                                ;   in Loop: Header=BB197_1 Depth=1
	v_add_u32_e32 v12, -4, v24
	ds_read_b32 v12, v12
	s_waitcnt lgkmcnt(0)
	v_add_f32_e32 v12, s28, v12
.LBB197_7:                              ;   in Loop: Header=BB197_1 Depth=1
	s_or_b64 exec, exec, s[24:25]
	v_add_f32_e32 v0, v0, v12
	ds_bpermute_b32 v0, v23, v0
	v_mov_b32_e32 v17, s28
	s_add_i32 s29, s29, -1
	s_cmp_lg_u32 s29, 0
	s_waitcnt lgkmcnt(0)
	v_cndmask_b32_e64 v0, v0, v12, s[16:17]
	v_cndmask_b32_e64 v17, v0, v17, s[18:19]
	v_add_f32_e32 v18, v5, v17
	v_add_f32_e32 v19, v6, v18
	;; [unrolled: 1-line block ×15, first 2 shown]
	s_cbranch_scc0 .LBB197_9
; %bb.8:                                ;   in Loop: Header=BB197_1 Depth=1
	v_mov_b32_e32 v11, v10
	v_mov_b32_e32 v10, v9
	;; [unrolled: 1-line block ×15, first 2 shown]
	s_branch .LBB197_1
.LBB197_9:
	v_mov_b32_e32 v11, s27
	v_add_co_u32_e32 v13, vcc, s26, v21
	v_addc_co_u32_e32 v14, vcc, v11, v22, vcc
	v_mov_b32_e32 v11, v12
	global_store_dwordx4 v[13:14], v[17:20], off
	global_store_dwordx4 v[13:14], v[0:3], off offset:16
	global_store_dwordx4 v[13:14], v[4:7], off offset:32
	;; [unrolled: 1-line block ×3, first 2 shown]
	s_endpgm
	.section	.rodata,"a",@progbits
	.p2align	6, 0x0
	.amdhsa_kernel _Z6kernelI14exclusive_scanILN6hipcub18BlockScanAlgorithmE0EEfLj256ELj16ELj100EEvPKT0_PS4_S4_
		.amdhsa_group_segment_fixed_size 16
		.amdhsa_private_segment_fixed_size 0
		.amdhsa_kernarg_size 280
		.amdhsa_user_sgpr_count 6
		.amdhsa_user_sgpr_private_segment_buffer 1
		.amdhsa_user_sgpr_dispatch_ptr 0
		.amdhsa_user_sgpr_queue_ptr 0
		.amdhsa_user_sgpr_kernarg_segment_ptr 1
		.amdhsa_user_sgpr_dispatch_id 0
		.amdhsa_user_sgpr_flat_scratch_init 0
		.amdhsa_user_sgpr_private_segment_size 0
		.amdhsa_uses_dynamic_stack 0
		.amdhsa_system_sgpr_private_segment_wavefront_offset 0
		.amdhsa_system_sgpr_workgroup_id_x 1
		.amdhsa_system_sgpr_workgroup_id_y 0
		.amdhsa_system_sgpr_workgroup_id_z 0
		.amdhsa_system_sgpr_workgroup_info 0
		.amdhsa_system_vgpr_workitem_id 0
		.amdhsa_next_free_vgpr 26
		.amdhsa_next_free_sgpr 30
		.amdhsa_reserve_vcc 1
		.amdhsa_reserve_flat_scratch 0
		.amdhsa_float_round_mode_32 0
		.amdhsa_float_round_mode_16_64 0
		.amdhsa_float_denorm_mode_32 3
		.amdhsa_float_denorm_mode_16_64 3
		.amdhsa_dx10_clamp 1
		.amdhsa_ieee_mode 1
		.amdhsa_fp16_overflow 0
		.amdhsa_exception_fp_ieee_invalid_op 0
		.amdhsa_exception_fp_denorm_src 0
		.amdhsa_exception_fp_ieee_div_zero 0
		.amdhsa_exception_fp_ieee_overflow 0
		.amdhsa_exception_fp_ieee_underflow 0
		.amdhsa_exception_fp_ieee_inexact 0
		.amdhsa_exception_int_div_zero 0
	.end_amdhsa_kernel
	.section	.text._Z6kernelI14exclusive_scanILN6hipcub18BlockScanAlgorithmE0EEfLj256ELj16ELj100EEvPKT0_PS4_S4_,"axG",@progbits,_Z6kernelI14exclusive_scanILN6hipcub18BlockScanAlgorithmE0EEfLj256ELj16ELj100EEvPKT0_PS4_S4_,comdat
.Lfunc_end197:
	.size	_Z6kernelI14exclusive_scanILN6hipcub18BlockScanAlgorithmE0EEfLj256ELj16ELj100EEvPKT0_PS4_S4_, .Lfunc_end197-_Z6kernelI14exclusive_scanILN6hipcub18BlockScanAlgorithmE0EEfLj256ELj16ELj100EEvPKT0_PS4_S4_
                                        ; -- End function
	.set _Z6kernelI14exclusive_scanILN6hipcub18BlockScanAlgorithmE0EEfLj256ELj16ELj100EEvPKT0_PS4_S4_.num_vgpr, 26
	.set _Z6kernelI14exclusive_scanILN6hipcub18BlockScanAlgorithmE0EEfLj256ELj16ELj100EEvPKT0_PS4_S4_.num_agpr, 0
	.set _Z6kernelI14exclusive_scanILN6hipcub18BlockScanAlgorithmE0EEfLj256ELj16ELj100EEvPKT0_PS4_S4_.numbered_sgpr, 30
	.set _Z6kernelI14exclusive_scanILN6hipcub18BlockScanAlgorithmE0EEfLj256ELj16ELj100EEvPKT0_PS4_S4_.num_named_barrier, 0
	.set _Z6kernelI14exclusive_scanILN6hipcub18BlockScanAlgorithmE0EEfLj256ELj16ELj100EEvPKT0_PS4_S4_.private_seg_size, 0
	.set _Z6kernelI14exclusive_scanILN6hipcub18BlockScanAlgorithmE0EEfLj256ELj16ELj100EEvPKT0_PS4_S4_.uses_vcc, 1
	.set _Z6kernelI14exclusive_scanILN6hipcub18BlockScanAlgorithmE0EEfLj256ELj16ELj100EEvPKT0_PS4_S4_.uses_flat_scratch, 0
	.set _Z6kernelI14exclusive_scanILN6hipcub18BlockScanAlgorithmE0EEfLj256ELj16ELj100EEvPKT0_PS4_S4_.has_dyn_sized_stack, 0
	.set _Z6kernelI14exclusive_scanILN6hipcub18BlockScanAlgorithmE0EEfLj256ELj16ELj100EEvPKT0_PS4_S4_.has_recursion, 0
	.set _Z6kernelI14exclusive_scanILN6hipcub18BlockScanAlgorithmE0EEfLj256ELj16ELj100EEvPKT0_PS4_S4_.has_indirect_call, 0
	.section	.AMDGPU.csdata,"",@progbits
; Kernel info:
; codeLenInByte = 864
; TotalNumSgprs: 34
; NumVgprs: 26
; ScratchSize: 0
; MemoryBound: 0
; FloatMode: 240
; IeeeMode: 1
; LDSByteSize: 16 bytes/workgroup (compile time only)
; SGPRBlocks: 4
; VGPRBlocks: 6
; NumSGPRsForWavesPerEU: 34
; NumVGPRsForWavesPerEU: 26
; Occupancy: 9
; WaveLimiterHint : 0
; COMPUTE_PGM_RSRC2:SCRATCH_EN: 0
; COMPUTE_PGM_RSRC2:USER_SGPR: 6
; COMPUTE_PGM_RSRC2:TRAP_HANDLER: 0
; COMPUTE_PGM_RSRC2:TGID_X_EN: 1
; COMPUTE_PGM_RSRC2:TGID_Y_EN: 0
; COMPUTE_PGM_RSRC2:TGID_Z_EN: 0
; COMPUTE_PGM_RSRC2:TIDIG_COMP_CNT: 0
	.section	.text._Z6kernelI14exclusive_scanILN6hipcub18BlockScanAlgorithmE0EEdLj256ELj1ELj100EEvPKT0_PS4_S4_,"axG",@progbits,_Z6kernelI14exclusive_scanILN6hipcub18BlockScanAlgorithmE0EEdLj256ELj1ELj100EEvPKT0_PS4_S4_,comdat
	.protected	_Z6kernelI14exclusive_scanILN6hipcub18BlockScanAlgorithmE0EEdLj256ELj1ELj100EEvPKT0_PS4_S4_ ; -- Begin function _Z6kernelI14exclusive_scanILN6hipcub18BlockScanAlgorithmE0EEdLj256ELj1ELj100EEvPKT0_PS4_S4_
	.globl	_Z6kernelI14exclusive_scanILN6hipcub18BlockScanAlgorithmE0EEdLj256ELj1ELj100EEvPKT0_PS4_S4_
	.p2align	8
	.type	_Z6kernelI14exclusive_scanILN6hipcub18BlockScanAlgorithmE0EEdLj256ELj1ELj100EEvPKT0_PS4_S4_,@function
_Z6kernelI14exclusive_scanILN6hipcub18BlockScanAlgorithmE0EEdLj256ELj1ELj100EEvPKT0_PS4_S4_: ; @_Z6kernelI14exclusive_scanILN6hipcub18BlockScanAlgorithmE0EEdLj256ELj1ELj100EEvPKT0_PS4_S4_
; %bb.0:
	s_load_dword s0, s[4:5], 0x24
	s_load_dwordx4 s[20:23], s[4:5], 0x0
	s_load_dwordx2 s[24:25], s[4:5], 0x10
	v_mov_b32_e32 v2, 0
	v_mbcnt_lo_u32_b32 v5, -1, 0
	s_waitcnt lgkmcnt(0)
	s_and_b32 s0, s0, 0xffff
	s_mul_i32 s6, s6, s0
	v_add_u32_e32 v1, s6, v0
	v_lshlrev_b64 v[1:2], 3, v[1:2]
	v_mov_b32_e32 v4, s21
	v_add_co_u32_e32 v3, vcc, s20, v1
	v_addc_co_u32_e32 v4, vcc, v4, v2, vcc
	global_load_dwordx2 v[3:4], v[3:4], off
	v_mbcnt_hi_u32_b32 v5, -1, v5
	v_and_b32_e32 v6, 15, v5
	v_cmp_ne_u32_e32 vcc, 0, v6
	v_cmp_lt_u32_e64 s[0:1], 1, v6
	v_cmp_lt_u32_e64 s[2:3], 3, v6
	;; [unrolled: 1-line block ×3, first 2 shown]
	v_and_b32_e32 v6, 16, v5
	v_cmp_ne_u32_e64 s[6:7], 0, v6
	v_or_b32_e32 v6, 63, v0
	v_cmp_eq_u32_e64 s[10:11], v0, v6
	v_subrev_co_u32_e64 v6, s[16:17], 1, v5
	v_and_b32_e32 v7, 64, v5
	v_cmp_lt_i32_e64 s[18:19], v6, v7
	v_cndmask_b32_e64 v6, v6, v5, s[18:19]
	v_lshlrev_b32_e32 v9, 2, v6
	v_lshrrev_b32_e32 v6, 3, v0
	v_cmp_lt_u32_e64 s[8:9], 31, v5
	v_and_b32_e32 v10, 24, v6
	v_and_b32_e32 v5, 3, v5
	v_cmp_gt_u32_e64 s[12:13], 4, v0
	v_cmp_lt_u32_e64 s[14:15], 63, v0
	v_lshlrev_b32_e32 v0, 3, v0
	v_cmp_ne_u32_e64 s[18:19], 0, v5
	v_cmp_lt_u32_e64 s[20:21], 1, v5
	v_add_u32_e32 v11, -8, v10
	s_movk_i32 s30, 0x64
	s_branch .LBB198_2
.LBB198_1:                              ;   in Loop: Header=BB198_2 Depth=1
	s_or_b64 exec, exec, s[26:27]
	v_add_f64 v[3:4], v[3:4], v[5:6]
	s_add_i32 s30, s30, -1
	s_cmp_lg_u32 s30, 0
	ds_bpermute_b32 v4, v9, v4
	ds_bpermute_b32 v3, v9, v3
	s_waitcnt lgkmcnt(1)
	v_cndmask_b32_e64 v4, v4, v6, s[16:17]
	s_waitcnt lgkmcnt(0)
	v_cndmask_b32_e64 v3, v3, v5, s[16:17]
	s_cbranch_scc0 .LBB198_20
.LBB198_2:                              ; =>This Inner Loop Header: Depth=1
	s_waitcnt vmcnt(0)
	v_mov_b32_dpp v5, v3 row_shr:1 row_mask:0xf bank_mask:0xf
	v_mov_b32_dpp v6, v4 row_shr:1 row_mask:0xf bank_mask:0xf
	s_and_saveexec_b64 s[26:27], vcc
; %bb.3:                                ;   in Loop: Header=BB198_2 Depth=1
	v_add_f64 v[3:4], v[3:4], v[5:6]
; %bb.4:                                ;   in Loop: Header=BB198_2 Depth=1
	s_or_b64 exec, exec, s[26:27]
	s_nop 0
	v_mov_b32_dpp v5, v3 row_shr:2 row_mask:0xf bank_mask:0xf
	v_mov_b32_dpp v6, v4 row_shr:2 row_mask:0xf bank_mask:0xf
	s_and_saveexec_b64 s[26:27], s[0:1]
; %bb.5:                                ;   in Loop: Header=BB198_2 Depth=1
	v_add_f64 v[3:4], v[3:4], v[5:6]
; %bb.6:                                ;   in Loop: Header=BB198_2 Depth=1
	s_or_b64 exec, exec, s[26:27]
	s_nop 0
	v_mov_b32_dpp v5, v3 row_shr:4 row_mask:0xf bank_mask:0xf
	v_mov_b32_dpp v6, v4 row_shr:4 row_mask:0xf bank_mask:0xf
	s_and_saveexec_b64 s[26:27], s[2:3]
	;; [unrolled: 8-line block ×3, first 2 shown]
; %bb.9:                                ;   in Loop: Header=BB198_2 Depth=1
	v_add_f64 v[3:4], v[3:4], v[5:6]
; %bb.10:                               ;   in Loop: Header=BB198_2 Depth=1
	s_or_b64 exec, exec, s[26:27]
	s_nop 0
	v_mov_b32_dpp v5, v3 row_bcast:15 row_mask:0xf bank_mask:0xf
	v_mov_b32_dpp v6, v4 row_bcast:15 row_mask:0xf bank_mask:0xf
	s_and_saveexec_b64 s[26:27], s[6:7]
; %bb.11:                               ;   in Loop: Header=BB198_2 Depth=1
	v_add_f64 v[3:4], v[3:4], v[5:6]
; %bb.12:                               ;   in Loop: Header=BB198_2 Depth=1
	s_or_b64 exec, exec, s[26:27]
	s_nop 0
	v_mov_b32_dpp v5, v3 row_bcast:31 row_mask:0xf bank_mask:0xf
	v_mov_b32_dpp v6, v4 row_bcast:31 row_mask:0xf bank_mask:0xf
	v_add_f64 v[5:6], v[3:4], v[5:6]
	v_cndmask_b32_e64 v4, v4, v6, s[8:9]
	v_cndmask_b32_e64 v3, v3, v5, s[8:9]
	s_and_saveexec_b64 s[26:27], s[10:11]
; %bb.13:                               ;   in Loop: Header=BB198_2 Depth=1
	ds_write_b64 v10, v[3:4]
; %bb.14:                               ;   in Loop: Header=BB198_2 Depth=1
	s_or_b64 exec, exec, s[26:27]
	s_waitcnt lgkmcnt(0)
	s_barrier
	s_and_saveexec_b64 s[26:27], s[12:13]
	s_cbranch_execz .LBB198_18
; %bb.15:                               ;   in Loop: Header=BB198_2 Depth=1
	ds_read_b64 v[5:6], v0
	s_waitcnt lgkmcnt(0)
	s_nop 0
	v_mov_b32_dpp v7, v5 row_shr:1 row_mask:0xf bank_mask:0xf
	v_mov_b32_dpp v8, v6 row_shr:1 row_mask:0xf bank_mask:0xf
	s_and_saveexec_b64 s[28:29], s[18:19]
; %bb.16:                               ;   in Loop: Header=BB198_2 Depth=1
	v_add_f64 v[5:6], v[5:6], v[7:8]
; %bb.17:                               ;   in Loop: Header=BB198_2 Depth=1
	s_or_b64 exec, exec, s[28:29]
	s_nop 0
	v_mov_b32_dpp v7, v5 row_shr:2 row_mask:0xf bank_mask:0xf
	v_mov_b32_dpp v8, v6 row_shr:2 row_mask:0xf bank_mask:0xf
	v_add_f64 v[7:8], v[5:6], v[7:8]
	v_cndmask_b32_e64 v6, v6, v8, s[20:21]
	v_cndmask_b32_e64 v5, v5, v7, s[20:21]
	ds_write_b64 v0, v[5:6]
.LBB198_18:                             ;   in Loop: Header=BB198_2 Depth=1
	s_or_b64 exec, exec, s[26:27]
	v_mov_b32_e32 v5, s24
	v_mov_b32_e32 v6, s25
	s_waitcnt lgkmcnt(0)
	s_barrier
	s_and_saveexec_b64 s[26:27], s[14:15]
	s_cbranch_execz .LBB198_1
; %bb.19:                               ;   in Loop: Header=BB198_2 Depth=1
	ds_read_b64 v[5:6], v11
	s_waitcnt lgkmcnt(0)
	v_add_f64 v[5:6], s[24:25], v[5:6]
	s_branch .LBB198_1
.LBB198_20:
	v_mov_b32_e32 v5, s23
	v_add_co_u32_e32 v0, vcc, s22, v1
	v_addc_co_u32_e32 v1, vcc, v5, v2, vcc
	global_store_dwordx2 v[0:1], v[3:4], off
	s_endpgm
	.section	.rodata,"a",@progbits
	.p2align	6, 0x0
	.amdhsa_kernel _Z6kernelI14exclusive_scanILN6hipcub18BlockScanAlgorithmE0EEdLj256ELj1ELj100EEvPKT0_PS4_S4_
		.amdhsa_group_segment_fixed_size 32
		.amdhsa_private_segment_fixed_size 0
		.amdhsa_kernarg_size 280
		.amdhsa_user_sgpr_count 6
		.amdhsa_user_sgpr_private_segment_buffer 1
		.amdhsa_user_sgpr_dispatch_ptr 0
		.amdhsa_user_sgpr_queue_ptr 0
		.amdhsa_user_sgpr_kernarg_segment_ptr 1
		.amdhsa_user_sgpr_dispatch_id 0
		.amdhsa_user_sgpr_flat_scratch_init 0
		.amdhsa_user_sgpr_private_segment_size 0
		.amdhsa_uses_dynamic_stack 0
		.amdhsa_system_sgpr_private_segment_wavefront_offset 0
		.amdhsa_system_sgpr_workgroup_id_x 1
		.amdhsa_system_sgpr_workgroup_id_y 0
		.amdhsa_system_sgpr_workgroup_id_z 0
		.amdhsa_system_sgpr_workgroup_info 0
		.amdhsa_system_vgpr_workitem_id 0
		.amdhsa_next_free_vgpr 12
		.amdhsa_next_free_sgpr 31
		.amdhsa_reserve_vcc 1
		.amdhsa_reserve_flat_scratch 0
		.amdhsa_float_round_mode_32 0
		.amdhsa_float_round_mode_16_64 0
		.amdhsa_float_denorm_mode_32 3
		.amdhsa_float_denorm_mode_16_64 3
		.amdhsa_dx10_clamp 1
		.amdhsa_ieee_mode 1
		.amdhsa_fp16_overflow 0
		.amdhsa_exception_fp_ieee_invalid_op 0
		.amdhsa_exception_fp_denorm_src 0
		.amdhsa_exception_fp_ieee_div_zero 0
		.amdhsa_exception_fp_ieee_overflow 0
		.amdhsa_exception_fp_ieee_underflow 0
		.amdhsa_exception_fp_ieee_inexact 0
		.amdhsa_exception_int_div_zero 0
	.end_amdhsa_kernel
	.section	.text._Z6kernelI14exclusive_scanILN6hipcub18BlockScanAlgorithmE0EEdLj256ELj1ELj100EEvPKT0_PS4_S4_,"axG",@progbits,_Z6kernelI14exclusive_scanILN6hipcub18BlockScanAlgorithmE0EEdLj256ELj1ELj100EEvPKT0_PS4_S4_,comdat
.Lfunc_end198:
	.size	_Z6kernelI14exclusive_scanILN6hipcub18BlockScanAlgorithmE0EEdLj256ELj1ELj100EEvPKT0_PS4_S4_, .Lfunc_end198-_Z6kernelI14exclusive_scanILN6hipcub18BlockScanAlgorithmE0EEdLj256ELj1ELj100EEvPKT0_PS4_S4_
                                        ; -- End function
	.set _Z6kernelI14exclusive_scanILN6hipcub18BlockScanAlgorithmE0EEdLj256ELj1ELj100EEvPKT0_PS4_S4_.num_vgpr, 12
	.set _Z6kernelI14exclusive_scanILN6hipcub18BlockScanAlgorithmE0EEdLj256ELj1ELj100EEvPKT0_PS4_S4_.num_agpr, 0
	.set _Z6kernelI14exclusive_scanILN6hipcub18BlockScanAlgorithmE0EEdLj256ELj1ELj100EEvPKT0_PS4_S4_.numbered_sgpr, 31
	.set _Z6kernelI14exclusive_scanILN6hipcub18BlockScanAlgorithmE0EEdLj256ELj1ELj100EEvPKT0_PS4_S4_.num_named_barrier, 0
	.set _Z6kernelI14exclusive_scanILN6hipcub18BlockScanAlgorithmE0EEdLj256ELj1ELj100EEvPKT0_PS4_S4_.private_seg_size, 0
	.set _Z6kernelI14exclusive_scanILN6hipcub18BlockScanAlgorithmE0EEdLj256ELj1ELj100EEvPKT0_PS4_S4_.uses_vcc, 1
	.set _Z6kernelI14exclusive_scanILN6hipcub18BlockScanAlgorithmE0EEdLj256ELj1ELj100EEvPKT0_PS4_S4_.uses_flat_scratch, 0
	.set _Z6kernelI14exclusive_scanILN6hipcub18BlockScanAlgorithmE0EEdLj256ELj1ELj100EEvPKT0_PS4_S4_.has_dyn_sized_stack, 0
	.set _Z6kernelI14exclusive_scanILN6hipcub18BlockScanAlgorithmE0EEdLj256ELj1ELj100EEvPKT0_PS4_S4_.has_recursion, 0
	.set _Z6kernelI14exclusive_scanILN6hipcub18BlockScanAlgorithmE0EEdLj256ELj1ELj100EEvPKT0_PS4_S4_.has_indirect_call, 0
	.section	.AMDGPU.csdata,"",@progbits
; Kernel info:
; codeLenInByte = 744
; TotalNumSgprs: 35
; NumVgprs: 12
; ScratchSize: 0
; MemoryBound: 0
; FloatMode: 240
; IeeeMode: 1
; LDSByteSize: 32 bytes/workgroup (compile time only)
; SGPRBlocks: 4
; VGPRBlocks: 2
; NumSGPRsForWavesPerEU: 35
; NumVGPRsForWavesPerEU: 12
; Occupancy: 10
; WaveLimiterHint : 0
; COMPUTE_PGM_RSRC2:SCRATCH_EN: 0
; COMPUTE_PGM_RSRC2:USER_SGPR: 6
; COMPUTE_PGM_RSRC2:TRAP_HANDLER: 0
; COMPUTE_PGM_RSRC2:TGID_X_EN: 1
; COMPUTE_PGM_RSRC2:TGID_Y_EN: 0
; COMPUTE_PGM_RSRC2:TGID_Z_EN: 0
; COMPUTE_PGM_RSRC2:TIDIG_COMP_CNT: 0
	.section	.text._Z6kernelI14exclusive_scanILN6hipcub18BlockScanAlgorithmE0EEdLj256ELj3ELj100EEvPKT0_PS4_S4_,"axG",@progbits,_Z6kernelI14exclusive_scanILN6hipcub18BlockScanAlgorithmE0EEdLj256ELj3ELj100EEvPKT0_PS4_S4_,comdat
	.protected	_Z6kernelI14exclusive_scanILN6hipcub18BlockScanAlgorithmE0EEdLj256ELj3ELj100EEvPKT0_PS4_S4_ ; -- Begin function _Z6kernelI14exclusive_scanILN6hipcub18BlockScanAlgorithmE0EEdLj256ELj3ELj100EEvPKT0_PS4_S4_
	.globl	_Z6kernelI14exclusive_scanILN6hipcub18BlockScanAlgorithmE0EEdLj256ELj3ELj100EEvPKT0_PS4_S4_
	.p2align	8
	.type	_Z6kernelI14exclusive_scanILN6hipcub18BlockScanAlgorithmE0EEdLj256ELj3ELj100EEvPKT0_PS4_S4_,@function
_Z6kernelI14exclusive_scanILN6hipcub18BlockScanAlgorithmE0EEdLj256ELj3ELj100EEvPKT0_PS4_S4_: ; @_Z6kernelI14exclusive_scanILN6hipcub18BlockScanAlgorithmE0EEdLj256ELj3ELj100EEvPKT0_PS4_S4_
; %bb.0:
	s_load_dword s0, s[4:5], 0x24
	s_load_dwordx4 s[24:27], s[4:5], 0x0
	s_load_dwordx2 s[28:29], s[4:5], 0x10
	v_mov_b32_e32 v6, 0
	v_mov_b32_e32 v4, v6
	s_waitcnt lgkmcnt(0)
	s_and_b32 s0, s0, 0xffff
	s_mul_i32 s6, s6, s0
	v_add_u32_e32 v1, s6, v0
	v_lshl_add_u32 v5, v1, 1, v1
	v_lshlrev_b64 v[1:2], 3, v[5:6]
	v_mov_b32_e32 v3, s25
	v_add_co_u32_e32 v13, vcc, s24, v1
	v_addc_co_u32_e32 v14, vcc, v3, v2, vcc
	v_add_u32_e32 v3, 1, v5
	v_lshlrev_b64 v[3:4], 3, v[3:4]
	v_add_u32_e32 v5, 2, v5
	v_mov_b32_e32 v7, s25
	v_add_co_u32_e32 v15, vcc, s24, v3
	v_lshlrev_b64 v[5:6], 3, v[5:6]
	v_addc_co_u32_e32 v16, vcc, v7, v4, vcc
	v_add_co_u32_e32 v17, vcc, s24, v5
	v_addc_co_u32_e32 v18, vcc, v7, v6, vcc
	global_load_dwordx2 v[7:8], v[13:14], off
	global_load_dwordx2 v[9:10], v[15:16], off
	;; [unrolled: 1-line block ×3, first 2 shown]
	v_mbcnt_lo_u32_b32 v13, -1, 0
	v_mbcnt_hi_u32_b32 v13, -1, v13
	v_and_b32_e32 v14, 15, v13
	v_cmp_ne_u32_e32 vcc, 0, v14
	v_cmp_lt_u32_e64 s[0:1], 1, v14
	v_cmp_lt_u32_e64 s[2:3], 3, v14
	;; [unrolled: 1-line block ×3, first 2 shown]
	v_and_b32_e32 v14, 16, v13
	v_cmp_ne_u32_e64 s[6:7], 0, v14
	v_or_b32_e32 v14, 63, v0
	v_cmp_eq_u32_e64 s[10:11], v0, v14
	v_subrev_co_u32_e64 v14, s[16:17], 1, v13
	v_and_b32_e32 v15, 64, v13
	v_cmp_lt_i32_e64 s[18:19], v14, v15
	v_cndmask_b32_e64 v14, v14, v13, s[18:19]
	v_lshlrev_b32_e32 v17, 2, v14
	v_lshrrev_b32_e32 v14, 3, v0
	v_cmp_lt_u32_e64 s[8:9], 31, v13
	v_and_b32_e32 v18, 24, v14
	v_and_b32_e32 v13, 3, v13
	v_cmp_gt_u32_e64 s[12:13], 4, v0
	v_cmp_lt_u32_e64 s[14:15], 63, v0
	v_cmp_eq_u32_e64 s[18:19], 0, v0
	v_lshlrev_b32_e32 v0, 3, v0
	v_cmp_ne_u32_e64 s[20:21], 0, v13
	v_cmp_lt_u32_e64 s[22:23], 1, v13
	v_add_u32_e32 v19, -8, v18
	s_movk_i32 s33, 0x64
.LBB199_1:                              ; =>This Inner Loop Header: Depth=1
	s_waitcnt vmcnt(1)
	v_add_f64 v[13:14], v[7:8], v[9:10]
	s_waitcnt vmcnt(0)
	v_add_f64 v[11:12], v[11:12], v[13:14]
	s_nop 1
	v_mov_b32_dpp v13, v11 row_shr:1 row_mask:0xf bank_mask:0xf
	v_mov_b32_dpp v14, v12 row_shr:1 row_mask:0xf bank_mask:0xf
	s_and_saveexec_b64 s[24:25], vcc
; %bb.2:                                ;   in Loop: Header=BB199_1 Depth=1
	v_add_f64 v[11:12], v[11:12], v[13:14]
; %bb.3:                                ;   in Loop: Header=BB199_1 Depth=1
	s_or_b64 exec, exec, s[24:25]
	s_nop 0
	v_mov_b32_dpp v13, v11 row_shr:2 row_mask:0xf bank_mask:0xf
	v_mov_b32_dpp v14, v12 row_shr:2 row_mask:0xf bank_mask:0xf
	s_and_saveexec_b64 s[24:25], s[0:1]
; %bb.4:                                ;   in Loop: Header=BB199_1 Depth=1
	v_add_f64 v[11:12], v[11:12], v[13:14]
; %bb.5:                                ;   in Loop: Header=BB199_1 Depth=1
	s_or_b64 exec, exec, s[24:25]
	s_nop 0
	v_mov_b32_dpp v13, v11 row_shr:4 row_mask:0xf bank_mask:0xf
	v_mov_b32_dpp v14, v12 row_shr:4 row_mask:0xf bank_mask:0xf
	s_and_saveexec_b64 s[24:25], s[2:3]
	;; [unrolled: 8-line block ×3, first 2 shown]
; %bb.8:                                ;   in Loop: Header=BB199_1 Depth=1
	v_add_f64 v[11:12], v[11:12], v[13:14]
; %bb.9:                                ;   in Loop: Header=BB199_1 Depth=1
	s_or_b64 exec, exec, s[24:25]
	s_nop 0
	v_mov_b32_dpp v13, v11 row_bcast:15 row_mask:0xf bank_mask:0xf
	v_mov_b32_dpp v14, v12 row_bcast:15 row_mask:0xf bank_mask:0xf
	s_and_saveexec_b64 s[24:25], s[6:7]
; %bb.10:                               ;   in Loop: Header=BB199_1 Depth=1
	v_add_f64 v[11:12], v[11:12], v[13:14]
; %bb.11:                               ;   in Loop: Header=BB199_1 Depth=1
	s_or_b64 exec, exec, s[24:25]
	s_nop 0
	v_mov_b32_dpp v13, v11 row_bcast:31 row_mask:0xf bank_mask:0xf
	v_mov_b32_dpp v14, v12 row_bcast:31 row_mask:0xf bank_mask:0xf
	v_add_f64 v[13:14], v[11:12], v[13:14]
	v_cndmask_b32_e64 v12, v12, v14, s[8:9]
	v_cndmask_b32_e64 v11, v11, v13, s[8:9]
	s_and_saveexec_b64 s[24:25], s[10:11]
; %bb.12:                               ;   in Loop: Header=BB199_1 Depth=1
	ds_write_b64 v18, v[11:12]
; %bb.13:                               ;   in Loop: Header=BB199_1 Depth=1
	s_or_b64 exec, exec, s[24:25]
	s_waitcnt lgkmcnt(0)
	s_barrier
	s_and_saveexec_b64 s[24:25], s[12:13]
	s_cbranch_execz .LBB199_17
; %bb.14:                               ;   in Loop: Header=BB199_1 Depth=1
	ds_read_b64 v[13:14], v0
	s_waitcnt lgkmcnt(0)
	s_nop 0
	v_mov_b32_dpp v15, v13 row_shr:1 row_mask:0xf bank_mask:0xf
	v_mov_b32_dpp v16, v14 row_shr:1 row_mask:0xf bank_mask:0xf
	s_and_saveexec_b64 s[30:31], s[20:21]
; %bb.15:                               ;   in Loop: Header=BB199_1 Depth=1
	v_add_f64 v[13:14], v[13:14], v[15:16]
; %bb.16:                               ;   in Loop: Header=BB199_1 Depth=1
	s_or_b64 exec, exec, s[30:31]
	s_nop 0
	v_mov_b32_dpp v15, v13 row_shr:2 row_mask:0xf bank_mask:0xf
	v_mov_b32_dpp v16, v14 row_shr:2 row_mask:0xf bank_mask:0xf
	v_add_f64 v[15:16], v[13:14], v[15:16]
	v_cndmask_b32_e64 v14, v14, v16, s[22:23]
	v_cndmask_b32_e64 v13, v13, v15, s[22:23]
	ds_write_b64 v0, v[13:14]
.LBB199_17:                             ;   in Loop: Header=BB199_1 Depth=1
	s_or_b64 exec, exec, s[24:25]
	v_mov_b32_e32 v13, s28
	v_mov_b32_e32 v14, s29
	s_waitcnt lgkmcnt(0)
	s_barrier
	s_and_saveexec_b64 s[24:25], s[14:15]
	s_cbranch_execz .LBB199_19
; %bb.18:                               ;   in Loop: Header=BB199_1 Depth=1
	ds_read_b64 v[13:14], v19
	s_waitcnt lgkmcnt(0)
	v_add_f64 v[13:14], s[28:29], v[13:14]
.LBB199_19:                             ;   in Loop: Header=BB199_1 Depth=1
	s_or_b64 exec, exec, s[24:25]
	v_add_f64 v[11:12], v[11:12], v[13:14]
	v_mov_b32_e32 v15, s29
	v_mov_b32_e32 v20, s28
	s_add_i32 s33, s33, -1
	s_cmp_lg_u32 s33, 0
	ds_bpermute_b32 v11, v17, v11
	ds_bpermute_b32 v12, v17, v12
	s_waitcnt lgkmcnt(1)
	v_cndmask_b32_e64 v11, v11, v13, s[16:17]
	s_waitcnt lgkmcnt(0)
	v_cndmask_b32_e64 v12, v12, v14, s[16:17]
	v_cndmask_b32_e64 v16, v12, v15, s[18:19]
	;; [unrolled: 1-line block ×3, first 2 shown]
	v_add_f64 v[13:14], v[7:8], v[15:16]
	v_add_f64 v[11:12], v[9:10], v[13:14]
	s_cbranch_scc0 .LBB199_21
; %bb.20:                               ;   in Loop: Header=BB199_1 Depth=1
	v_mov_b32_e32 v7, v15
	v_mov_b32_e32 v9, v13
	;; [unrolled: 1-line block ×4, first 2 shown]
	s_branch .LBB199_1
.LBB199_21:
	v_mov_b32_e32 v7, s27
	v_add_co_u32_e32 v0, vcc, s26, v1
	v_addc_co_u32_e32 v1, vcc, v7, v2, vcc
	global_store_dwordx2 v[0:1], v[15:16], off
	v_mov_b32_e32 v1, s27
	v_add_co_u32_e32 v0, vcc, s26, v3
	v_addc_co_u32_e32 v1, vcc, v1, v4, vcc
	global_store_dwordx2 v[0:1], v[13:14], off
	;; [unrolled: 4-line block ×3, first 2 shown]
	s_endpgm
	.section	.rodata,"a",@progbits
	.p2align	6, 0x0
	.amdhsa_kernel _Z6kernelI14exclusive_scanILN6hipcub18BlockScanAlgorithmE0EEdLj256ELj3ELj100EEvPKT0_PS4_S4_
		.amdhsa_group_segment_fixed_size 32
		.amdhsa_private_segment_fixed_size 0
		.amdhsa_kernarg_size 280
		.amdhsa_user_sgpr_count 6
		.amdhsa_user_sgpr_private_segment_buffer 1
		.amdhsa_user_sgpr_dispatch_ptr 0
		.amdhsa_user_sgpr_queue_ptr 0
		.amdhsa_user_sgpr_kernarg_segment_ptr 1
		.amdhsa_user_sgpr_dispatch_id 0
		.amdhsa_user_sgpr_flat_scratch_init 0
		.amdhsa_user_sgpr_private_segment_size 0
		.amdhsa_uses_dynamic_stack 0
		.amdhsa_system_sgpr_private_segment_wavefront_offset 0
		.amdhsa_system_sgpr_workgroup_id_x 1
		.amdhsa_system_sgpr_workgroup_id_y 0
		.amdhsa_system_sgpr_workgroup_id_z 0
		.amdhsa_system_sgpr_workgroup_info 0
		.amdhsa_system_vgpr_workitem_id 0
		.amdhsa_next_free_vgpr 21
		.amdhsa_next_free_sgpr 34
		.amdhsa_reserve_vcc 1
		.amdhsa_reserve_flat_scratch 0
		.amdhsa_float_round_mode_32 0
		.amdhsa_float_round_mode_16_64 0
		.amdhsa_float_denorm_mode_32 3
		.amdhsa_float_denorm_mode_16_64 3
		.amdhsa_dx10_clamp 1
		.amdhsa_ieee_mode 1
		.amdhsa_fp16_overflow 0
		.amdhsa_exception_fp_ieee_invalid_op 0
		.amdhsa_exception_fp_denorm_src 0
		.amdhsa_exception_fp_ieee_div_zero 0
		.amdhsa_exception_fp_ieee_overflow 0
		.amdhsa_exception_fp_ieee_underflow 0
		.amdhsa_exception_fp_ieee_inexact 0
		.amdhsa_exception_int_div_zero 0
	.end_amdhsa_kernel
	.section	.text._Z6kernelI14exclusive_scanILN6hipcub18BlockScanAlgorithmE0EEdLj256ELj3ELj100EEvPKT0_PS4_S4_,"axG",@progbits,_Z6kernelI14exclusive_scanILN6hipcub18BlockScanAlgorithmE0EEdLj256ELj3ELj100EEvPKT0_PS4_S4_,comdat
.Lfunc_end199:
	.size	_Z6kernelI14exclusive_scanILN6hipcub18BlockScanAlgorithmE0EEdLj256ELj3ELj100EEvPKT0_PS4_S4_, .Lfunc_end199-_Z6kernelI14exclusive_scanILN6hipcub18BlockScanAlgorithmE0EEdLj256ELj3ELj100EEvPKT0_PS4_S4_
                                        ; -- End function
	.set _Z6kernelI14exclusive_scanILN6hipcub18BlockScanAlgorithmE0EEdLj256ELj3ELj100EEvPKT0_PS4_S4_.num_vgpr, 21
	.set _Z6kernelI14exclusive_scanILN6hipcub18BlockScanAlgorithmE0EEdLj256ELj3ELj100EEvPKT0_PS4_S4_.num_agpr, 0
	.set _Z6kernelI14exclusive_scanILN6hipcub18BlockScanAlgorithmE0EEdLj256ELj3ELj100EEvPKT0_PS4_S4_.numbered_sgpr, 34
	.set _Z6kernelI14exclusive_scanILN6hipcub18BlockScanAlgorithmE0EEdLj256ELj3ELj100EEvPKT0_PS4_S4_.num_named_barrier, 0
	.set _Z6kernelI14exclusive_scanILN6hipcub18BlockScanAlgorithmE0EEdLj256ELj3ELj100EEvPKT0_PS4_S4_.private_seg_size, 0
	.set _Z6kernelI14exclusive_scanILN6hipcub18BlockScanAlgorithmE0EEdLj256ELj3ELj100EEvPKT0_PS4_S4_.uses_vcc, 1
	.set _Z6kernelI14exclusive_scanILN6hipcub18BlockScanAlgorithmE0EEdLj256ELj3ELj100EEvPKT0_PS4_S4_.uses_flat_scratch, 0
	.set _Z6kernelI14exclusive_scanILN6hipcub18BlockScanAlgorithmE0EEdLj256ELj3ELj100EEvPKT0_PS4_S4_.has_dyn_sized_stack, 0
	.set _Z6kernelI14exclusive_scanILN6hipcub18BlockScanAlgorithmE0EEdLj256ELj3ELj100EEvPKT0_PS4_S4_.has_recursion, 0
	.set _Z6kernelI14exclusive_scanILN6hipcub18BlockScanAlgorithmE0EEdLj256ELj3ELj100EEvPKT0_PS4_S4_.has_indirect_call, 0
	.section	.AMDGPU.csdata,"",@progbits
; Kernel info:
; codeLenInByte = 940
; TotalNumSgprs: 38
; NumVgprs: 21
; ScratchSize: 0
; MemoryBound: 0
; FloatMode: 240
; IeeeMode: 1
; LDSByteSize: 32 bytes/workgroup (compile time only)
; SGPRBlocks: 4
; VGPRBlocks: 5
; NumSGPRsForWavesPerEU: 38
; NumVGPRsForWavesPerEU: 21
; Occupancy: 10
; WaveLimiterHint : 0
; COMPUTE_PGM_RSRC2:SCRATCH_EN: 0
; COMPUTE_PGM_RSRC2:USER_SGPR: 6
; COMPUTE_PGM_RSRC2:TRAP_HANDLER: 0
; COMPUTE_PGM_RSRC2:TGID_X_EN: 1
; COMPUTE_PGM_RSRC2:TGID_Y_EN: 0
; COMPUTE_PGM_RSRC2:TGID_Z_EN: 0
; COMPUTE_PGM_RSRC2:TIDIG_COMP_CNT: 0
	.section	.text._Z6kernelI14exclusive_scanILN6hipcub18BlockScanAlgorithmE0EEdLj256ELj4ELj100EEvPKT0_PS4_S4_,"axG",@progbits,_Z6kernelI14exclusive_scanILN6hipcub18BlockScanAlgorithmE0EEdLj256ELj4ELj100EEvPKT0_PS4_S4_,comdat
	.protected	_Z6kernelI14exclusive_scanILN6hipcub18BlockScanAlgorithmE0EEdLj256ELj4ELj100EEvPKT0_PS4_S4_ ; -- Begin function _Z6kernelI14exclusive_scanILN6hipcub18BlockScanAlgorithmE0EEdLj256ELj4ELj100EEvPKT0_PS4_S4_
	.globl	_Z6kernelI14exclusive_scanILN6hipcub18BlockScanAlgorithmE0EEdLj256ELj4ELj100EEvPKT0_PS4_S4_
	.p2align	8
	.type	_Z6kernelI14exclusive_scanILN6hipcub18BlockScanAlgorithmE0EEdLj256ELj4ELj100EEvPKT0_PS4_S4_,@function
_Z6kernelI14exclusive_scanILN6hipcub18BlockScanAlgorithmE0EEdLj256ELj4ELj100EEvPKT0_PS4_S4_: ; @_Z6kernelI14exclusive_scanILN6hipcub18BlockScanAlgorithmE0EEdLj256ELj4ELj100EEvPKT0_PS4_S4_
; %bb.0:
	s_load_dword s0, s[4:5], 0x24
	s_load_dwordx4 s[24:27], s[4:5], 0x0
	s_load_dwordx2 s[28:29], s[4:5], 0x10
	v_mov_b32_e32 v2, 0
	v_cmp_gt_u32_e64 s[12:13], 4, v0
	s_waitcnt lgkmcnt(0)
	s_and_b32 s0, s0, 0xffff
	s_mul_i32 s6, s6, s0
	v_add_lshl_u32 v1, s6, v0, 2
	v_lshlrev_b64 v[15:16], 3, v[1:2]
	v_mov_b32_e32 v1, s25
	v_add_co_u32_e32 v9, vcc, s24, v15
	v_addc_co_u32_e32 v10, vcc, v1, v16, vcc
	global_load_dwordx4 v[1:4], v[9:10], off offset:16
	global_load_dwordx4 v[5:8], v[9:10], off
	v_mbcnt_lo_u32_b32 v9, -1, 0
	v_mbcnt_hi_u32_b32 v9, -1, v9
	v_and_b32_e32 v10, 15, v9
	v_cmp_ne_u32_e32 vcc, 0, v10
	v_cmp_lt_u32_e64 s[0:1], 1, v10
	v_cmp_lt_u32_e64 s[2:3], 3, v10
	v_cmp_lt_u32_e64 s[4:5], 7, v10
	v_and_b32_e32 v10, 16, v9
	v_cmp_ne_u32_e64 s[6:7], 0, v10
	v_or_b32_e32 v10, 63, v0
	v_cmp_eq_u32_e64 s[10:11], v0, v10
	v_subrev_co_u32_e64 v10, s[16:17], 1, v9
	v_and_b32_e32 v11, 64, v9
	v_cmp_lt_i32_e64 s[18:19], v10, v11
	v_cndmask_b32_e64 v10, v10, v9, s[18:19]
	v_lshlrev_b32_e32 v17, 2, v10
	v_lshrrev_b32_e32 v10, 3, v0
	v_cmp_lt_u32_e64 s[8:9], 31, v9
	v_and_b32_e32 v18, 24, v10
	v_and_b32_e32 v9, 3, v9
	v_cmp_lt_u32_e64 s[14:15], 63, v0
	v_cmp_eq_u32_e64 s[18:19], 0, v0
	v_lshlrev_b32_e32 v0, 3, v0
	v_cmp_ne_u32_e64 s[20:21], 0, v9
	v_cmp_lt_u32_e64 s[22:23], 1, v9
	v_add_u32_e32 v19, -8, v18
	s_movk_i32 s33, 0x64
.LBB200_1:                              ; =>This Inner Loop Header: Depth=1
	s_waitcnt vmcnt(0)
	v_add_f64 v[9:10], v[5:6], v[7:8]
	v_add_f64 v[9:10], v[1:2], v[9:10]
	v_add_f64 v[3:4], v[3:4], v[9:10]
	s_nop 1
	v_mov_b32_dpp v9, v3 row_shr:1 row_mask:0xf bank_mask:0xf
	v_mov_b32_dpp v10, v4 row_shr:1 row_mask:0xf bank_mask:0xf
	s_and_saveexec_b64 s[24:25], vcc
; %bb.2:                                ;   in Loop: Header=BB200_1 Depth=1
	v_add_f64 v[3:4], v[3:4], v[9:10]
; %bb.3:                                ;   in Loop: Header=BB200_1 Depth=1
	s_or_b64 exec, exec, s[24:25]
	s_nop 0
	v_mov_b32_dpp v9, v3 row_shr:2 row_mask:0xf bank_mask:0xf
	v_mov_b32_dpp v10, v4 row_shr:2 row_mask:0xf bank_mask:0xf
	s_and_saveexec_b64 s[24:25], s[0:1]
; %bb.4:                                ;   in Loop: Header=BB200_1 Depth=1
	v_add_f64 v[3:4], v[3:4], v[9:10]
; %bb.5:                                ;   in Loop: Header=BB200_1 Depth=1
	s_or_b64 exec, exec, s[24:25]
	s_nop 0
	v_mov_b32_dpp v9, v3 row_shr:4 row_mask:0xf bank_mask:0xf
	v_mov_b32_dpp v10, v4 row_shr:4 row_mask:0xf bank_mask:0xf
	s_and_saveexec_b64 s[24:25], s[2:3]
	;; [unrolled: 8-line block ×3, first 2 shown]
; %bb.8:                                ;   in Loop: Header=BB200_1 Depth=1
	v_add_f64 v[3:4], v[3:4], v[9:10]
; %bb.9:                                ;   in Loop: Header=BB200_1 Depth=1
	s_or_b64 exec, exec, s[24:25]
	s_nop 0
	v_mov_b32_dpp v9, v3 row_bcast:15 row_mask:0xf bank_mask:0xf
	v_mov_b32_dpp v10, v4 row_bcast:15 row_mask:0xf bank_mask:0xf
	s_and_saveexec_b64 s[24:25], s[6:7]
; %bb.10:                               ;   in Loop: Header=BB200_1 Depth=1
	v_add_f64 v[3:4], v[3:4], v[9:10]
; %bb.11:                               ;   in Loop: Header=BB200_1 Depth=1
	s_or_b64 exec, exec, s[24:25]
	s_nop 0
	v_mov_b32_dpp v9, v3 row_bcast:31 row_mask:0xf bank_mask:0xf
	v_mov_b32_dpp v10, v4 row_bcast:31 row_mask:0xf bank_mask:0xf
	v_add_f64 v[9:10], v[3:4], v[9:10]
	v_cndmask_b32_e64 v4, v4, v10, s[8:9]
	v_cndmask_b32_e64 v3, v3, v9, s[8:9]
	s_and_saveexec_b64 s[24:25], s[10:11]
; %bb.12:                               ;   in Loop: Header=BB200_1 Depth=1
	ds_write_b64 v18, v[3:4]
; %bb.13:                               ;   in Loop: Header=BB200_1 Depth=1
	s_or_b64 exec, exec, s[24:25]
	s_waitcnt lgkmcnt(0)
	s_barrier
	s_and_saveexec_b64 s[24:25], s[12:13]
	s_cbranch_execz .LBB200_17
; %bb.14:                               ;   in Loop: Header=BB200_1 Depth=1
	ds_read_b64 v[9:10], v0
	s_waitcnt lgkmcnt(0)
	s_nop 0
	v_mov_b32_dpp v11, v9 row_shr:1 row_mask:0xf bank_mask:0xf
	v_mov_b32_dpp v12, v10 row_shr:1 row_mask:0xf bank_mask:0xf
	s_and_saveexec_b64 s[30:31], s[20:21]
; %bb.15:                               ;   in Loop: Header=BB200_1 Depth=1
	v_add_f64 v[9:10], v[9:10], v[11:12]
; %bb.16:                               ;   in Loop: Header=BB200_1 Depth=1
	s_or_b64 exec, exec, s[30:31]
	s_nop 0
	v_mov_b32_dpp v11, v9 row_shr:2 row_mask:0xf bank_mask:0xf
	v_mov_b32_dpp v12, v10 row_shr:2 row_mask:0xf bank_mask:0xf
	v_add_f64 v[11:12], v[9:10], v[11:12]
	v_cndmask_b32_e64 v10, v10, v12, s[22:23]
	v_cndmask_b32_e64 v9, v9, v11, s[22:23]
	ds_write_b64 v0, v[9:10]
.LBB200_17:                             ;   in Loop: Header=BB200_1 Depth=1
	s_or_b64 exec, exec, s[24:25]
	v_mov_b32_e32 v9, s28
	v_mov_b32_e32 v10, s29
	s_waitcnt lgkmcnt(0)
	s_barrier
	s_and_saveexec_b64 s[24:25], s[14:15]
	s_cbranch_execz .LBB200_19
; %bb.18:                               ;   in Loop: Header=BB200_1 Depth=1
	ds_read_b64 v[9:10], v19
	s_waitcnt lgkmcnt(0)
	v_add_f64 v[9:10], s[28:29], v[9:10]
.LBB200_19:                             ;   in Loop: Header=BB200_1 Depth=1
	s_or_b64 exec, exec, s[24:25]
	v_add_f64 v[3:4], v[3:4], v[9:10]
	v_mov_b32_e32 v11, s29
	v_mov_b32_e32 v13, s28
	s_add_i32 s33, s33, -1
	s_cmp_lg_u32 s33, 0
	ds_bpermute_b32 v3, v17, v3
	ds_bpermute_b32 v4, v17, v4
	s_waitcnt lgkmcnt(1)
	v_cndmask_b32_e64 v3, v3, v9, s[16:17]
	s_waitcnt lgkmcnt(0)
	v_cndmask_b32_e64 v4, v4, v10, s[16:17]
	v_cndmask_b32_e64 v12, v4, v11, s[18:19]
	;; [unrolled: 1-line block ×3, first 2 shown]
	v_add_f64 v[13:14], v[5:6], v[11:12]
	v_add_f64 v[9:10], v[7:8], v[13:14]
	;; [unrolled: 1-line block ×3, first 2 shown]
	s_cbranch_scc0 .LBB200_21
; %bb.20:                               ;   in Loop: Header=BB200_1 Depth=1
	v_mov_b32_e32 v5, v11
	v_mov_b32_e32 v7, v13
	;; [unrolled: 1-line block ×6, first 2 shown]
	s_branch .LBB200_1
.LBB200_21:
	v_mov_b32_e32 v1, s27
	v_add_co_u32_e32 v0, vcc, s26, v15
	v_addc_co_u32_e32 v1, vcc, v1, v16, vcc
	global_store_dwordx4 v[0:1], v[11:14], off
	s_nop 0
	v_mov_b32_e32 v11, v3
	v_mov_b32_e32 v12, v4
	global_store_dwordx4 v[0:1], v[9:12], off offset:16
	s_endpgm
	.section	.rodata,"a",@progbits
	.p2align	6, 0x0
	.amdhsa_kernel _Z6kernelI14exclusive_scanILN6hipcub18BlockScanAlgorithmE0EEdLj256ELj4ELj100EEvPKT0_PS4_S4_
		.amdhsa_group_segment_fixed_size 32
		.amdhsa_private_segment_fixed_size 0
		.amdhsa_kernarg_size 280
		.amdhsa_user_sgpr_count 6
		.amdhsa_user_sgpr_private_segment_buffer 1
		.amdhsa_user_sgpr_dispatch_ptr 0
		.amdhsa_user_sgpr_queue_ptr 0
		.amdhsa_user_sgpr_kernarg_segment_ptr 1
		.amdhsa_user_sgpr_dispatch_id 0
		.amdhsa_user_sgpr_flat_scratch_init 0
		.amdhsa_user_sgpr_private_segment_size 0
		.amdhsa_uses_dynamic_stack 0
		.amdhsa_system_sgpr_private_segment_wavefront_offset 0
		.amdhsa_system_sgpr_workgroup_id_x 1
		.amdhsa_system_sgpr_workgroup_id_y 0
		.amdhsa_system_sgpr_workgroup_id_z 0
		.amdhsa_system_sgpr_workgroup_info 0
		.amdhsa_system_vgpr_workitem_id 0
		.amdhsa_next_free_vgpr 20
		.amdhsa_next_free_sgpr 34
		.amdhsa_reserve_vcc 1
		.amdhsa_reserve_flat_scratch 0
		.amdhsa_float_round_mode_32 0
		.amdhsa_float_round_mode_16_64 0
		.amdhsa_float_denorm_mode_32 3
		.amdhsa_float_denorm_mode_16_64 3
		.amdhsa_dx10_clamp 1
		.amdhsa_ieee_mode 1
		.amdhsa_fp16_overflow 0
		.amdhsa_exception_fp_ieee_invalid_op 0
		.amdhsa_exception_fp_denorm_src 0
		.amdhsa_exception_fp_ieee_div_zero 0
		.amdhsa_exception_fp_ieee_overflow 0
		.amdhsa_exception_fp_ieee_underflow 0
		.amdhsa_exception_fp_ieee_inexact 0
		.amdhsa_exception_int_div_zero 0
	.end_amdhsa_kernel
	.section	.text._Z6kernelI14exclusive_scanILN6hipcub18BlockScanAlgorithmE0EEdLj256ELj4ELj100EEvPKT0_PS4_S4_,"axG",@progbits,_Z6kernelI14exclusive_scanILN6hipcub18BlockScanAlgorithmE0EEdLj256ELj4ELj100EEvPKT0_PS4_S4_,comdat
.Lfunc_end200:
	.size	_Z6kernelI14exclusive_scanILN6hipcub18BlockScanAlgorithmE0EEdLj256ELj4ELj100EEvPKT0_PS4_S4_, .Lfunc_end200-_Z6kernelI14exclusive_scanILN6hipcub18BlockScanAlgorithmE0EEdLj256ELj4ELj100EEvPKT0_PS4_S4_
                                        ; -- End function
	.set _Z6kernelI14exclusive_scanILN6hipcub18BlockScanAlgorithmE0EEdLj256ELj4ELj100EEvPKT0_PS4_S4_.num_vgpr, 20
	.set _Z6kernelI14exclusive_scanILN6hipcub18BlockScanAlgorithmE0EEdLj256ELj4ELj100EEvPKT0_PS4_S4_.num_agpr, 0
	.set _Z6kernelI14exclusive_scanILN6hipcub18BlockScanAlgorithmE0EEdLj256ELj4ELj100EEvPKT0_PS4_S4_.numbered_sgpr, 34
	.set _Z6kernelI14exclusive_scanILN6hipcub18BlockScanAlgorithmE0EEdLj256ELj4ELj100EEvPKT0_PS4_S4_.num_named_barrier, 0
	.set _Z6kernelI14exclusive_scanILN6hipcub18BlockScanAlgorithmE0EEdLj256ELj4ELj100EEvPKT0_PS4_S4_.private_seg_size, 0
	.set _Z6kernelI14exclusive_scanILN6hipcub18BlockScanAlgorithmE0EEdLj256ELj4ELj100EEvPKT0_PS4_S4_.uses_vcc, 1
	.set _Z6kernelI14exclusive_scanILN6hipcub18BlockScanAlgorithmE0EEdLj256ELj4ELj100EEvPKT0_PS4_S4_.uses_flat_scratch, 0
	.set _Z6kernelI14exclusive_scanILN6hipcub18BlockScanAlgorithmE0EEdLj256ELj4ELj100EEvPKT0_PS4_S4_.has_dyn_sized_stack, 0
	.set _Z6kernelI14exclusive_scanILN6hipcub18BlockScanAlgorithmE0EEdLj256ELj4ELj100EEvPKT0_PS4_S4_.has_recursion, 0
	.set _Z6kernelI14exclusive_scanILN6hipcub18BlockScanAlgorithmE0EEdLj256ELj4ELj100EEvPKT0_PS4_S4_.has_indirect_call, 0
	.section	.AMDGPU.csdata,"",@progbits
; Kernel info:
; codeLenInByte = 880
; TotalNumSgprs: 38
; NumVgprs: 20
; ScratchSize: 0
; MemoryBound: 0
; FloatMode: 240
; IeeeMode: 1
; LDSByteSize: 32 bytes/workgroup (compile time only)
; SGPRBlocks: 4
; VGPRBlocks: 4
; NumSGPRsForWavesPerEU: 38
; NumVGPRsForWavesPerEU: 20
; Occupancy: 10
; WaveLimiterHint : 0
; COMPUTE_PGM_RSRC2:SCRATCH_EN: 0
; COMPUTE_PGM_RSRC2:USER_SGPR: 6
; COMPUTE_PGM_RSRC2:TRAP_HANDLER: 0
; COMPUTE_PGM_RSRC2:TGID_X_EN: 1
; COMPUTE_PGM_RSRC2:TGID_Y_EN: 0
; COMPUTE_PGM_RSRC2:TGID_Z_EN: 0
; COMPUTE_PGM_RSRC2:TIDIG_COMP_CNT: 0
	.section	.text._Z6kernelI14exclusive_scanILN6hipcub18BlockScanAlgorithmE0EEdLj256ELj8ELj100EEvPKT0_PS4_S4_,"axG",@progbits,_Z6kernelI14exclusive_scanILN6hipcub18BlockScanAlgorithmE0EEdLj256ELj8ELj100EEvPKT0_PS4_S4_,comdat
	.protected	_Z6kernelI14exclusive_scanILN6hipcub18BlockScanAlgorithmE0EEdLj256ELj8ELj100EEvPKT0_PS4_S4_ ; -- Begin function _Z6kernelI14exclusive_scanILN6hipcub18BlockScanAlgorithmE0EEdLj256ELj8ELj100EEvPKT0_PS4_S4_
	.globl	_Z6kernelI14exclusive_scanILN6hipcub18BlockScanAlgorithmE0EEdLj256ELj8ELj100EEvPKT0_PS4_S4_
	.p2align	8
	.type	_Z6kernelI14exclusive_scanILN6hipcub18BlockScanAlgorithmE0EEdLj256ELj8ELj100EEvPKT0_PS4_S4_,@function
_Z6kernelI14exclusive_scanILN6hipcub18BlockScanAlgorithmE0EEdLj256ELj8ELj100EEvPKT0_PS4_S4_: ; @_Z6kernelI14exclusive_scanILN6hipcub18BlockScanAlgorithmE0EEdLj256ELj8ELj100EEvPKT0_PS4_S4_
; %bb.0:
	s_load_dword s0, s[4:5], 0x24
	s_load_dwordx4 s[24:27], s[4:5], 0x0
	s_load_dwordx2 s[28:29], s[4:5], 0x10
	v_mov_b32_e32 v2, 0
	v_cmp_gt_u32_e64 s[12:13], 4, v0
	s_waitcnt lgkmcnt(0)
	s_and_b32 s0, s0, 0xffff
	s_mul_i32 s6, s6, s0
	v_add_lshl_u32 v1, s6, v0, 3
	v_lshlrev_b64 v[21:22], 3, v[1:2]
	v_mov_b32_e32 v1, s25
	v_add_co_u32_e32 v17, vcc, s24, v21
	v_addc_co_u32_e32 v18, vcc, v1, v22, vcc
	global_load_dwordx4 v[1:4], v[17:18], off offset:48
	global_load_dwordx4 v[5:8], v[17:18], off offset:32
	global_load_dwordx4 v[9:12], v[17:18], off offset:16
	global_load_dwordx4 v[13:16], v[17:18], off
	v_mbcnt_lo_u32_b32 v17, -1, 0
	v_mbcnt_hi_u32_b32 v17, -1, v17
	v_and_b32_e32 v18, 15, v17
	v_cmp_ne_u32_e32 vcc, 0, v18
	v_cmp_lt_u32_e64 s[0:1], 1, v18
	v_cmp_lt_u32_e64 s[2:3], 3, v18
	;; [unrolled: 1-line block ×3, first 2 shown]
	v_and_b32_e32 v18, 16, v17
	v_cmp_ne_u32_e64 s[6:7], 0, v18
	v_or_b32_e32 v18, 63, v0
	v_cmp_eq_u32_e64 s[10:11], v0, v18
	v_subrev_co_u32_e64 v18, s[16:17], 1, v17
	v_and_b32_e32 v19, 64, v17
	v_cmp_lt_i32_e64 s[18:19], v18, v19
	v_cndmask_b32_e64 v18, v18, v17, s[18:19]
	v_lshlrev_b32_e32 v23, 2, v18
	v_lshrrev_b32_e32 v18, 3, v0
	v_cmp_lt_u32_e64 s[8:9], 31, v17
	v_and_b32_e32 v24, 24, v18
	v_and_b32_e32 v17, 3, v17
	v_cmp_lt_u32_e64 s[14:15], 63, v0
	v_cmp_eq_u32_e64 s[18:19], 0, v0
	v_lshlrev_b32_e32 v0, 3, v0
	v_cmp_ne_u32_e64 s[20:21], 0, v17
	v_cmp_lt_u32_e64 s[22:23], 1, v17
	v_add_u32_e32 v25, -8, v24
	s_movk_i32 s33, 0x64
.LBB201_1:                              ; =>This Inner Loop Header: Depth=1
	s_waitcnt vmcnt(0)
	v_add_f64 v[17:18], v[15:16], v[13:14]
	v_add_f64 v[17:18], v[9:10], v[17:18]
	v_add_f64 v[17:18], v[11:12], v[17:18]
	v_add_f64 v[17:18], v[5:6], v[17:18]
	v_add_f64 v[17:18], v[7:8], v[17:18]
	v_add_f64 v[17:18], v[1:2], v[17:18]
	v_add_f64 v[3:4], v[3:4], v[17:18]
	s_nop 1
	v_mov_b32_dpp v17, v3 row_shr:1 row_mask:0xf bank_mask:0xf
	v_mov_b32_dpp v18, v4 row_shr:1 row_mask:0xf bank_mask:0xf
	s_and_saveexec_b64 s[24:25], vcc
; %bb.2:                                ;   in Loop: Header=BB201_1 Depth=1
	v_add_f64 v[3:4], v[3:4], v[17:18]
; %bb.3:                                ;   in Loop: Header=BB201_1 Depth=1
	s_or_b64 exec, exec, s[24:25]
	s_nop 0
	v_mov_b32_dpp v17, v3 row_shr:2 row_mask:0xf bank_mask:0xf
	v_mov_b32_dpp v18, v4 row_shr:2 row_mask:0xf bank_mask:0xf
	s_and_saveexec_b64 s[24:25], s[0:1]
; %bb.4:                                ;   in Loop: Header=BB201_1 Depth=1
	v_add_f64 v[3:4], v[3:4], v[17:18]
; %bb.5:                                ;   in Loop: Header=BB201_1 Depth=1
	s_or_b64 exec, exec, s[24:25]
	s_nop 0
	v_mov_b32_dpp v17, v3 row_shr:4 row_mask:0xf bank_mask:0xf
	v_mov_b32_dpp v18, v4 row_shr:4 row_mask:0xf bank_mask:0xf
	s_and_saveexec_b64 s[24:25], s[2:3]
	;; [unrolled: 8-line block ×3, first 2 shown]
; %bb.8:                                ;   in Loop: Header=BB201_1 Depth=1
	v_add_f64 v[3:4], v[3:4], v[17:18]
; %bb.9:                                ;   in Loop: Header=BB201_1 Depth=1
	s_or_b64 exec, exec, s[24:25]
	s_nop 0
	v_mov_b32_dpp v17, v3 row_bcast:15 row_mask:0xf bank_mask:0xf
	v_mov_b32_dpp v18, v4 row_bcast:15 row_mask:0xf bank_mask:0xf
	s_and_saveexec_b64 s[24:25], s[6:7]
; %bb.10:                               ;   in Loop: Header=BB201_1 Depth=1
	v_add_f64 v[3:4], v[3:4], v[17:18]
; %bb.11:                               ;   in Loop: Header=BB201_1 Depth=1
	s_or_b64 exec, exec, s[24:25]
	s_nop 0
	v_mov_b32_dpp v17, v3 row_bcast:31 row_mask:0xf bank_mask:0xf
	v_mov_b32_dpp v18, v4 row_bcast:31 row_mask:0xf bank_mask:0xf
	v_add_f64 v[17:18], v[3:4], v[17:18]
	v_cndmask_b32_e64 v4, v4, v18, s[8:9]
	v_cndmask_b32_e64 v3, v3, v17, s[8:9]
	s_and_saveexec_b64 s[24:25], s[10:11]
; %bb.12:                               ;   in Loop: Header=BB201_1 Depth=1
	ds_write_b64 v24, v[3:4]
; %bb.13:                               ;   in Loop: Header=BB201_1 Depth=1
	s_or_b64 exec, exec, s[24:25]
	s_waitcnt lgkmcnt(0)
	s_barrier
	s_and_saveexec_b64 s[24:25], s[12:13]
	s_cbranch_execz .LBB201_17
; %bb.14:                               ;   in Loop: Header=BB201_1 Depth=1
	ds_read_b64 v[17:18], v0
	s_waitcnt lgkmcnt(0)
	s_nop 0
	v_mov_b32_dpp v19, v17 row_shr:1 row_mask:0xf bank_mask:0xf
	v_mov_b32_dpp v20, v18 row_shr:1 row_mask:0xf bank_mask:0xf
	s_and_saveexec_b64 s[30:31], s[20:21]
; %bb.15:                               ;   in Loop: Header=BB201_1 Depth=1
	v_add_f64 v[17:18], v[17:18], v[19:20]
; %bb.16:                               ;   in Loop: Header=BB201_1 Depth=1
	s_or_b64 exec, exec, s[30:31]
	s_nop 0
	v_mov_b32_dpp v19, v17 row_shr:2 row_mask:0xf bank_mask:0xf
	v_mov_b32_dpp v20, v18 row_shr:2 row_mask:0xf bank_mask:0xf
	v_add_f64 v[19:20], v[17:18], v[19:20]
	v_cndmask_b32_e64 v18, v18, v20, s[22:23]
	v_cndmask_b32_e64 v17, v17, v19, s[22:23]
	ds_write_b64 v0, v[17:18]
.LBB201_17:                             ;   in Loop: Header=BB201_1 Depth=1
	s_or_b64 exec, exec, s[24:25]
	v_mov_b32_e32 v17, s28
	v_mov_b32_e32 v18, s29
	s_waitcnt lgkmcnt(0)
	s_barrier
	s_and_saveexec_b64 s[24:25], s[14:15]
	s_cbranch_execz .LBB201_19
; %bb.18:                               ;   in Loop: Header=BB201_1 Depth=1
	ds_read_b64 v[17:18], v25
	s_waitcnt lgkmcnt(0)
	v_add_f64 v[17:18], s[28:29], v[17:18]
.LBB201_19:                             ;   in Loop: Header=BB201_1 Depth=1
	s_or_b64 exec, exec, s[24:25]
	v_add_f64 v[3:4], v[3:4], v[17:18]
	v_mov_b32_e32 v19, s29
	v_mov_b32_e32 v20, s28
	s_add_i32 s33, s33, -1
	s_cmp_lg_u32 s33, 0
	ds_bpermute_b32 v3, v23, v3
	ds_bpermute_b32 v4, v23, v4
	s_waitcnt lgkmcnt(1)
	v_cndmask_b32_e64 v3, v3, v17, s[16:17]
	s_waitcnt lgkmcnt(0)
	v_cndmask_b32_e64 v4, v4, v18, s[16:17]
	v_cndmask_b32_e64 v18, v4, v19, s[18:19]
	;; [unrolled: 1-line block ×3, first 2 shown]
	v_add_f64 v[19:20], v[13:14], v[17:18]
	v_add_f64 v[13:14], v[15:16], v[19:20]
	;; [unrolled: 1-line block ×7, first 2 shown]
	s_cbranch_scc0 .LBB201_21
; %bb.20:                               ;   in Loop: Header=BB201_1 Depth=1
	v_mov_b32_e32 v1, v5
	v_mov_b32_e32 v2, v6
	;; [unrolled: 1-line block ×14, first 2 shown]
	s_branch .LBB201_1
.LBB201_21:
	v_mov_b32_e32 v1, s27
	v_add_co_u32_e32 v0, vcc, s26, v21
	v_addc_co_u32_e32 v1, vcc, v1, v22, vcc
	v_mov_b32_e32 v7, v3
	v_mov_b32_e32 v8, v4
	global_store_dwordx4 v[0:1], v[17:20], off
	global_store_dwordx4 v[0:1], v[13:16], off offset:16
	global_store_dwordx4 v[0:1], v[9:12], off offset:32
	;; [unrolled: 1-line block ×3, first 2 shown]
	s_endpgm
	.section	.rodata,"a",@progbits
	.p2align	6, 0x0
	.amdhsa_kernel _Z6kernelI14exclusive_scanILN6hipcub18BlockScanAlgorithmE0EEdLj256ELj8ELj100EEvPKT0_PS4_S4_
		.amdhsa_group_segment_fixed_size 32
		.amdhsa_private_segment_fixed_size 0
		.amdhsa_kernarg_size 280
		.amdhsa_user_sgpr_count 6
		.amdhsa_user_sgpr_private_segment_buffer 1
		.amdhsa_user_sgpr_dispatch_ptr 0
		.amdhsa_user_sgpr_queue_ptr 0
		.amdhsa_user_sgpr_kernarg_segment_ptr 1
		.amdhsa_user_sgpr_dispatch_id 0
		.amdhsa_user_sgpr_flat_scratch_init 0
		.amdhsa_user_sgpr_private_segment_size 0
		.amdhsa_uses_dynamic_stack 0
		.amdhsa_system_sgpr_private_segment_wavefront_offset 0
		.amdhsa_system_sgpr_workgroup_id_x 1
		.amdhsa_system_sgpr_workgroup_id_y 0
		.amdhsa_system_sgpr_workgroup_id_z 0
		.amdhsa_system_sgpr_workgroup_info 0
		.amdhsa_system_vgpr_workitem_id 0
		.amdhsa_next_free_vgpr 26
		.amdhsa_next_free_sgpr 34
		.amdhsa_reserve_vcc 1
		.amdhsa_reserve_flat_scratch 0
		.amdhsa_float_round_mode_32 0
		.amdhsa_float_round_mode_16_64 0
		.amdhsa_float_denorm_mode_32 3
		.amdhsa_float_denorm_mode_16_64 3
		.amdhsa_dx10_clamp 1
		.amdhsa_ieee_mode 1
		.amdhsa_fp16_overflow 0
		.amdhsa_exception_fp_ieee_invalid_op 0
		.amdhsa_exception_fp_denorm_src 0
		.amdhsa_exception_fp_ieee_div_zero 0
		.amdhsa_exception_fp_ieee_overflow 0
		.amdhsa_exception_fp_ieee_underflow 0
		.amdhsa_exception_fp_ieee_inexact 0
		.amdhsa_exception_int_div_zero 0
	.end_amdhsa_kernel
	.section	.text._Z6kernelI14exclusive_scanILN6hipcub18BlockScanAlgorithmE0EEdLj256ELj8ELj100EEvPKT0_PS4_S4_,"axG",@progbits,_Z6kernelI14exclusive_scanILN6hipcub18BlockScanAlgorithmE0EEdLj256ELj8ELj100EEvPKT0_PS4_S4_,comdat
.Lfunc_end201:
	.size	_Z6kernelI14exclusive_scanILN6hipcub18BlockScanAlgorithmE0EEdLj256ELj8ELj100EEvPKT0_PS4_S4_, .Lfunc_end201-_Z6kernelI14exclusive_scanILN6hipcub18BlockScanAlgorithmE0EEdLj256ELj8ELj100EEvPKT0_PS4_S4_
                                        ; -- End function
	.set _Z6kernelI14exclusive_scanILN6hipcub18BlockScanAlgorithmE0EEdLj256ELj8ELj100EEvPKT0_PS4_S4_.num_vgpr, 26
	.set _Z6kernelI14exclusive_scanILN6hipcub18BlockScanAlgorithmE0EEdLj256ELj8ELj100EEvPKT0_PS4_S4_.num_agpr, 0
	.set _Z6kernelI14exclusive_scanILN6hipcub18BlockScanAlgorithmE0EEdLj256ELj8ELj100EEvPKT0_PS4_S4_.numbered_sgpr, 34
	.set _Z6kernelI14exclusive_scanILN6hipcub18BlockScanAlgorithmE0EEdLj256ELj8ELj100EEvPKT0_PS4_S4_.num_named_barrier, 0
	.set _Z6kernelI14exclusive_scanILN6hipcub18BlockScanAlgorithmE0EEdLj256ELj8ELj100EEvPKT0_PS4_S4_.private_seg_size, 0
	.set _Z6kernelI14exclusive_scanILN6hipcub18BlockScanAlgorithmE0EEdLj256ELj8ELj100EEvPKT0_PS4_S4_.uses_vcc, 1
	.set _Z6kernelI14exclusive_scanILN6hipcub18BlockScanAlgorithmE0EEdLj256ELj8ELj100EEvPKT0_PS4_S4_.uses_flat_scratch, 0
	.set _Z6kernelI14exclusive_scanILN6hipcub18BlockScanAlgorithmE0EEdLj256ELj8ELj100EEvPKT0_PS4_S4_.has_dyn_sized_stack, 0
	.set _Z6kernelI14exclusive_scanILN6hipcub18BlockScanAlgorithmE0EEdLj256ELj8ELj100EEvPKT0_PS4_S4_.has_recursion, 0
	.set _Z6kernelI14exclusive_scanILN6hipcub18BlockScanAlgorithmE0EEdLj256ELj8ELj100EEvPKT0_PS4_S4_.has_indirect_call, 0
	.section	.AMDGPU.csdata,"",@progbits
; Kernel info:
; codeLenInByte = 1004
; TotalNumSgprs: 38
; NumVgprs: 26
; ScratchSize: 0
; MemoryBound: 0
; FloatMode: 240
; IeeeMode: 1
; LDSByteSize: 32 bytes/workgroup (compile time only)
; SGPRBlocks: 4
; VGPRBlocks: 6
; NumSGPRsForWavesPerEU: 38
; NumVGPRsForWavesPerEU: 26
; Occupancy: 9
; WaveLimiterHint : 0
; COMPUTE_PGM_RSRC2:SCRATCH_EN: 0
; COMPUTE_PGM_RSRC2:USER_SGPR: 6
; COMPUTE_PGM_RSRC2:TRAP_HANDLER: 0
; COMPUTE_PGM_RSRC2:TGID_X_EN: 1
; COMPUTE_PGM_RSRC2:TGID_Y_EN: 0
; COMPUTE_PGM_RSRC2:TGID_Z_EN: 0
; COMPUTE_PGM_RSRC2:TIDIG_COMP_CNT: 0
	.section	.text._Z6kernelI14exclusive_scanILN6hipcub18BlockScanAlgorithmE0EEdLj256ELj11ELj100EEvPKT0_PS4_S4_,"axG",@progbits,_Z6kernelI14exclusive_scanILN6hipcub18BlockScanAlgorithmE0EEdLj256ELj11ELj100EEvPKT0_PS4_S4_,comdat
	.protected	_Z6kernelI14exclusive_scanILN6hipcub18BlockScanAlgorithmE0EEdLj256ELj11ELj100EEvPKT0_PS4_S4_ ; -- Begin function _Z6kernelI14exclusive_scanILN6hipcub18BlockScanAlgorithmE0EEdLj256ELj11ELj100EEvPKT0_PS4_S4_
	.globl	_Z6kernelI14exclusive_scanILN6hipcub18BlockScanAlgorithmE0EEdLj256ELj11ELj100EEvPKT0_PS4_S4_
	.p2align	8
	.type	_Z6kernelI14exclusive_scanILN6hipcub18BlockScanAlgorithmE0EEdLj256ELj11ELj100EEvPKT0_PS4_S4_,@function
_Z6kernelI14exclusive_scanILN6hipcub18BlockScanAlgorithmE0EEdLj256ELj11ELj100EEvPKT0_PS4_S4_: ; @_Z6kernelI14exclusive_scanILN6hipcub18BlockScanAlgorithmE0EEdLj256ELj11ELj100EEvPKT0_PS4_S4_
; %bb.0:
	s_load_dword s0, s[4:5], 0x24
	s_load_dwordx4 s[24:27], s[4:5], 0x0
	v_mov_b32_e32 v22, 0
	v_mov_b32_e32 v4, v22
	;; [unrolled: 1-line block ×3, first 2 shown]
	s_waitcnt lgkmcnt(0)
	s_and_b32 s0, s0, 0xffff
	s_mul_i32 s6, s6, s0
	v_add_u32_e32 v1, s6, v0
	v_mul_lo_u32 v21, v1, 11
	v_mov_b32_e32 v3, s25
	v_mov_b32_e32 v5, s25
	v_mov_b32_e32 v7, s25
	v_lshlrev_b64 v[1:2], 3, v[21:22]
	v_mov_b32_e32 v8, v22
	v_add_co_u32_e32 v39, vcc, s24, v1
	v_addc_co_u32_e32 v40, vcc, v3, v2, vcc
	v_add_u32_e32 v3, 1, v21
	v_lshlrev_b64 v[3:4], 3, v[3:4]
	v_mov_b32_e32 v9, s25
	v_add_co_u32_e32 v43, vcc, s24, v3
	v_addc_co_u32_e32 v44, vcc, v5, v4, vcc
	v_add_u32_e32 v5, 2, v21
	;; [unrolled: 5-line block ×6, first 2 shown]
	v_mov_b32_e32 v14, v22
	v_lshlrev_b64 v[13:14], 3, v[13:14]
	v_mov_b32_e32 v15, s25
	v_add_co_u32_e32 v53, vcc, s24, v13
	v_addc_co_u32_e32 v54, vcc, v15, v14, vcc
	v_add_u32_e32 v15, 7, v21
	v_mov_b32_e32 v16, v22
	v_lshlrev_b64 v[15:16], 3, v[15:16]
	v_mov_b32_e32 v17, s25
	v_add_co_u32_e32 v55, vcc, s24, v15
	v_addc_co_u32_e32 v56, vcc, v17, v16, vcc
	v_add_u32_e32 v17, 8, v21
	;; [unrolled: 6-line block ×3, first 2 shown]
	v_mov_b32_e32 v20, v22
	v_lshlrev_b64 v[19:20], 3, v[19:20]
	v_add_u32_e32 v21, 10, v21
	v_mov_b32_e32 v23, s25
	v_add_co_u32_e32 v59, vcc, s24, v19
	v_lshlrev_b64 v[21:22], 3, v[21:22]
	v_addc_co_u32_e32 v60, vcc, v23, v20, vcc
	v_add_co_u32_e32 v61, vcc, s24, v21
	v_addc_co_u32_e32 v62, vcc, v23, v22, vcc
	global_load_dwordx2 v[41:42], v[39:40], off
	global_load_dwordx2 v[37:38], v[43:44], off
	;; [unrolled: 1-line block ×9, first 2 shown]
                                        ; kill: killed $vgpr39 killed $vgpr40
                                        ; kill: killed $vgpr45 killed $vgpr46
                                        ; kill: killed $vgpr47 killed $vgpr48
                                        ; kill: killed $vgpr51 killed $vgpr52
                                        ; kill: killed $vgpr55 killed $vgpr56
                                        ; kill: killed $vgpr43 killed $vgpr44
                                        ; kill: killed $vgpr49 killed $vgpr50
                                        ; kill: killed $vgpr53 killed $vgpr54
                                        ; kill: killed $vgpr57 killed $vgpr58
	global_load_dwordx2 v[39:40], v[59:60], off
	global_load_dwordx2 v[43:44], v[61:62], off
	v_mbcnt_lo_u32_b32 v45, -1, 0
	v_mbcnt_hi_u32_b32 v45, -1, v45
	v_and_b32_e32 v46, 15, v45
	s_load_dwordx2 s[28:29], s[4:5], 0x10
	v_cmp_ne_u32_e32 vcc, 0, v46
	v_cmp_lt_u32_e64 s[0:1], 1, v46
	v_cmp_lt_u32_e64 s[2:3], 3, v46
	;; [unrolled: 1-line block ×3, first 2 shown]
	v_and_b32_e32 v46, 16, v45
	v_cmp_ne_u32_e64 s[6:7], 0, v46
	v_or_b32_e32 v46, 63, v0
	v_cmp_eq_u32_e64 s[8:9], v0, v46
	v_subrev_co_u32_e64 v46, s[10:11], 1, v45
	v_and_b32_e32 v47, 64, v45
	v_cmp_lt_i32_e64 s[14:15], v46, v47
	v_cmp_lt_u32_e64 s[12:13], 31, v45
	v_cndmask_b32_e64 v46, v46, v45, s[14:15]
	v_and_b32_e32 v45, 3, v45
	v_cmp_ne_u32_e64 s[14:15], 0, v45
	v_cmp_lt_u32_e64 s[16:17], 1, v45
	v_lshrrev_b32_e32 v45, 3, v0
	v_and_b32_e32 v50, 24, v45
	v_cmp_gt_u32_e64 s[18:19], 4, v0
	v_cmp_lt_u32_e64 s[20:21], 63, v0
	v_lshlrev_b32_e32 v49, 2, v46
	v_cmp_eq_u32_e64 s[22:23], 0, v0
	v_lshlrev_b32_e32 v0, 3, v0
	s_movk_i32 s33, 0x64
	v_add_u32_e32 v51, -8, v50
.LBB202_1:                              ; =>This Inner Loop Header: Depth=1
	s_waitcnt vmcnt(9)
	v_add_f64 v[45:46], v[37:38], v[41:42]
	s_waitcnt vmcnt(8)
	v_add_f64 v[45:46], v[35:36], v[45:46]
	;; [unrolled: 2-line block ×10, first 2 shown]
	s_nop 1
	v_mov_b32_dpp v45, v43 row_shr:1 row_mask:0xf bank_mask:0xf
	v_mov_b32_dpp v46, v44 row_shr:1 row_mask:0xf bank_mask:0xf
	s_and_saveexec_b64 s[24:25], vcc
; %bb.2:                                ;   in Loop: Header=BB202_1 Depth=1
	v_add_f64 v[43:44], v[43:44], v[45:46]
; %bb.3:                                ;   in Loop: Header=BB202_1 Depth=1
	s_or_b64 exec, exec, s[24:25]
	s_nop 0
	v_mov_b32_dpp v45, v43 row_shr:2 row_mask:0xf bank_mask:0xf
	v_mov_b32_dpp v46, v44 row_shr:2 row_mask:0xf bank_mask:0xf
	s_and_saveexec_b64 s[24:25], s[0:1]
; %bb.4:                                ;   in Loop: Header=BB202_1 Depth=1
	v_add_f64 v[43:44], v[43:44], v[45:46]
; %bb.5:                                ;   in Loop: Header=BB202_1 Depth=1
	s_or_b64 exec, exec, s[24:25]
	s_nop 0
	v_mov_b32_dpp v45, v43 row_shr:4 row_mask:0xf bank_mask:0xf
	v_mov_b32_dpp v46, v44 row_shr:4 row_mask:0xf bank_mask:0xf
	s_and_saveexec_b64 s[24:25], s[2:3]
	;; [unrolled: 8-line block ×3, first 2 shown]
; %bb.8:                                ;   in Loop: Header=BB202_1 Depth=1
	v_add_f64 v[43:44], v[43:44], v[45:46]
; %bb.9:                                ;   in Loop: Header=BB202_1 Depth=1
	s_or_b64 exec, exec, s[24:25]
	s_nop 0
	v_mov_b32_dpp v45, v43 row_bcast:15 row_mask:0xf bank_mask:0xf
	v_mov_b32_dpp v46, v44 row_bcast:15 row_mask:0xf bank_mask:0xf
	s_and_saveexec_b64 s[24:25], s[6:7]
; %bb.10:                               ;   in Loop: Header=BB202_1 Depth=1
	v_add_f64 v[43:44], v[43:44], v[45:46]
; %bb.11:                               ;   in Loop: Header=BB202_1 Depth=1
	s_or_b64 exec, exec, s[24:25]
	s_nop 0
	v_mov_b32_dpp v45, v43 row_bcast:31 row_mask:0xf bank_mask:0xf
	v_mov_b32_dpp v46, v44 row_bcast:31 row_mask:0xf bank_mask:0xf
	v_add_f64 v[45:46], v[43:44], v[45:46]
	v_cndmask_b32_e64 v44, v44, v46, s[12:13]
	v_cndmask_b32_e64 v43, v43, v45, s[12:13]
	s_and_saveexec_b64 s[24:25], s[8:9]
; %bb.12:                               ;   in Loop: Header=BB202_1 Depth=1
	ds_write_b64 v50, v[43:44]
; %bb.13:                               ;   in Loop: Header=BB202_1 Depth=1
	s_or_b64 exec, exec, s[24:25]
	s_waitcnt lgkmcnt(0)
	s_barrier
	s_and_saveexec_b64 s[24:25], s[18:19]
	s_cbranch_execz .LBB202_17
; %bb.14:                               ;   in Loop: Header=BB202_1 Depth=1
	ds_read_b64 v[45:46], v0
	s_waitcnt lgkmcnt(0)
	s_nop 0
	v_mov_b32_dpp v47, v45 row_shr:1 row_mask:0xf bank_mask:0xf
	v_mov_b32_dpp v48, v46 row_shr:1 row_mask:0xf bank_mask:0xf
	s_and_saveexec_b64 s[30:31], s[14:15]
; %bb.15:                               ;   in Loop: Header=BB202_1 Depth=1
	v_add_f64 v[45:46], v[45:46], v[47:48]
; %bb.16:                               ;   in Loop: Header=BB202_1 Depth=1
	s_or_b64 exec, exec, s[30:31]
	s_nop 0
	v_mov_b32_dpp v47, v45 row_shr:2 row_mask:0xf bank_mask:0xf
	v_mov_b32_dpp v48, v46 row_shr:2 row_mask:0xf bank_mask:0xf
	v_add_f64 v[47:48], v[45:46], v[47:48]
	v_cndmask_b32_e64 v46, v46, v48, s[16:17]
	v_cndmask_b32_e64 v45, v45, v47, s[16:17]
	ds_write_b64 v0, v[45:46]
.LBB202_17:                             ;   in Loop: Header=BB202_1 Depth=1
	s_or_b64 exec, exec, s[24:25]
	v_mov_b32_e32 v46, s29
	v_mov_b32_e32 v45, s28
	s_waitcnt lgkmcnt(0)
	s_barrier
	s_and_saveexec_b64 s[24:25], s[20:21]
	s_cbranch_execz .LBB202_19
; %bb.18:                               ;   in Loop: Header=BB202_1 Depth=1
	ds_read_b64 v[45:46], v51
	s_waitcnt lgkmcnt(0)
	v_add_f64 v[45:46], s[28:29], v[45:46]
.LBB202_19:                             ;   in Loop: Header=BB202_1 Depth=1
	s_or_b64 exec, exec, s[24:25]
	v_add_f64 v[43:44], v[43:44], v[45:46]
	v_mov_b32_e32 v47, s29
	v_mov_b32_e32 v48, s28
	s_add_i32 s33, s33, -1
	s_cmp_lg_u32 s33, 0
	ds_bpermute_b32 v43, v49, v43
	ds_bpermute_b32 v44, v49, v44
	s_waitcnt lgkmcnt(1)
	v_cndmask_b32_e64 v43, v43, v45, s[10:11]
	s_waitcnt lgkmcnt(0)
	v_cndmask_b32_e64 v44, v44, v46, s[10:11]
	v_cndmask_b32_e64 v46, v44, v47, s[22:23]
	;; [unrolled: 1-line block ×3, first 2 shown]
	v_add_f64 v[41:42], v[41:42], v[45:46]
	v_add_f64 v[37:38], v[37:38], v[41:42]
	;; [unrolled: 1-line block ×10, first 2 shown]
	s_cbranch_scc0 .LBB202_21
; %bb.20:                               ;   in Loop: Header=BB202_1 Depth=1
	v_mov_b32_e32 v40, v24
	v_mov_b32_e32 v39, v23
	;; [unrolled: 1-line block ×20, first 2 shown]
	s_branch .LBB202_1
.LBB202_21:
	v_mov_b32_e32 v39, s27
	v_add_co_u32_e32 v0, vcc, s26, v1
	v_addc_co_u32_e32 v1, vcc, v39, v2, vcc
	global_store_dwordx2 v[0:1], v[45:46], off
	v_mov_b32_e32 v1, s27
	v_add_co_u32_e32 v0, vcc, s26, v3
	v_addc_co_u32_e32 v1, vcc, v1, v4, vcc
	global_store_dwordx2 v[0:1], v[41:42], off
	;; [unrolled: 4-line block ×11, first 2 shown]
	s_endpgm
	.section	.rodata,"a",@progbits
	.p2align	6, 0x0
	.amdhsa_kernel _Z6kernelI14exclusive_scanILN6hipcub18BlockScanAlgorithmE0EEdLj256ELj11ELj100EEvPKT0_PS4_S4_
		.amdhsa_group_segment_fixed_size 32
		.amdhsa_private_segment_fixed_size 0
		.amdhsa_kernarg_size 280
		.amdhsa_user_sgpr_count 6
		.amdhsa_user_sgpr_private_segment_buffer 1
		.amdhsa_user_sgpr_dispatch_ptr 0
		.amdhsa_user_sgpr_queue_ptr 0
		.amdhsa_user_sgpr_kernarg_segment_ptr 1
		.amdhsa_user_sgpr_dispatch_id 0
		.amdhsa_user_sgpr_flat_scratch_init 0
		.amdhsa_user_sgpr_private_segment_size 0
		.amdhsa_uses_dynamic_stack 0
		.amdhsa_system_sgpr_private_segment_wavefront_offset 0
		.amdhsa_system_sgpr_workgroup_id_x 1
		.amdhsa_system_sgpr_workgroup_id_y 0
		.amdhsa_system_sgpr_workgroup_id_z 0
		.amdhsa_system_sgpr_workgroup_info 0
		.amdhsa_system_vgpr_workitem_id 0
		.amdhsa_next_free_vgpr 63
		.amdhsa_next_free_sgpr 34
		.amdhsa_reserve_vcc 1
		.amdhsa_reserve_flat_scratch 0
		.amdhsa_float_round_mode_32 0
		.amdhsa_float_round_mode_16_64 0
		.amdhsa_float_denorm_mode_32 3
		.amdhsa_float_denorm_mode_16_64 3
		.amdhsa_dx10_clamp 1
		.amdhsa_ieee_mode 1
		.amdhsa_fp16_overflow 0
		.amdhsa_exception_fp_ieee_invalid_op 0
		.amdhsa_exception_fp_denorm_src 0
		.amdhsa_exception_fp_ieee_div_zero 0
		.amdhsa_exception_fp_ieee_overflow 0
		.amdhsa_exception_fp_ieee_underflow 0
		.amdhsa_exception_fp_ieee_inexact 0
		.amdhsa_exception_int_div_zero 0
	.end_amdhsa_kernel
	.section	.text._Z6kernelI14exclusive_scanILN6hipcub18BlockScanAlgorithmE0EEdLj256ELj11ELj100EEvPKT0_PS4_S4_,"axG",@progbits,_Z6kernelI14exclusive_scanILN6hipcub18BlockScanAlgorithmE0EEdLj256ELj11ELj100EEvPKT0_PS4_S4_,comdat
.Lfunc_end202:
	.size	_Z6kernelI14exclusive_scanILN6hipcub18BlockScanAlgorithmE0EEdLj256ELj11ELj100EEvPKT0_PS4_S4_, .Lfunc_end202-_Z6kernelI14exclusive_scanILN6hipcub18BlockScanAlgorithmE0EEdLj256ELj11ELj100EEvPKT0_PS4_S4_
                                        ; -- End function
	.set _Z6kernelI14exclusive_scanILN6hipcub18BlockScanAlgorithmE0EEdLj256ELj11ELj100EEvPKT0_PS4_S4_.num_vgpr, 63
	.set _Z6kernelI14exclusive_scanILN6hipcub18BlockScanAlgorithmE0EEdLj256ELj11ELj100EEvPKT0_PS4_S4_.num_agpr, 0
	.set _Z6kernelI14exclusive_scanILN6hipcub18BlockScanAlgorithmE0EEdLj256ELj11ELj100EEvPKT0_PS4_S4_.numbered_sgpr, 34
	.set _Z6kernelI14exclusive_scanILN6hipcub18BlockScanAlgorithmE0EEdLj256ELj11ELj100EEvPKT0_PS4_S4_.num_named_barrier, 0
	.set _Z6kernelI14exclusive_scanILN6hipcub18BlockScanAlgorithmE0EEdLj256ELj11ELj100EEvPKT0_PS4_S4_.private_seg_size, 0
	.set _Z6kernelI14exclusive_scanILN6hipcub18BlockScanAlgorithmE0EEdLj256ELj11ELj100EEvPKT0_PS4_S4_.uses_vcc, 1
	.set _Z6kernelI14exclusive_scanILN6hipcub18BlockScanAlgorithmE0EEdLj256ELj11ELj100EEvPKT0_PS4_S4_.uses_flat_scratch, 0
	.set _Z6kernelI14exclusive_scanILN6hipcub18BlockScanAlgorithmE0EEdLj256ELj11ELj100EEvPKT0_PS4_S4_.has_dyn_sized_stack, 0
	.set _Z6kernelI14exclusive_scanILN6hipcub18BlockScanAlgorithmE0EEdLj256ELj11ELj100EEvPKT0_PS4_S4_.has_recursion, 0
	.set _Z6kernelI14exclusive_scanILN6hipcub18BlockScanAlgorithmE0EEdLj256ELj11ELj100EEvPKT0_PS4_S4_.has_indirect_call, 0
	.section	.AMDGPU.csdata,"",@progbits
; Kernel info:
; codeLenInByte = 1612
; TotalNumSgprs: 38
; NumVgprs: 63
; ScratchSize: 0
; MemoryBound: 0
; FloatMode: 240
; IeeeMode: 1
; LDSByteSize: 32 bytes/workgroup (compile time only)
; SGPRBlocks: 4
; VGPRBlocks: 15
; NumSGPRsForWavesPerEU: 38
; NumVGPRsForWavesPerEU: 63
; Occupancy: 4
; WaveLimiterHint : 0
; COMPUTE_PGM_RSRC2:SCRATCH_EN: 0
; COMPUTE_PGM_RSRC2:USER_SGPR: 6
; COMPUTE_PGM_RSRC2:TRAP_HANDLER: 0
; COMPUTE_PGM_RSRC2:TGID_X_EN: 1
; COMPUTE_PGM_RSRC2:TGID_Y_EN: 0
; COMPUTE_PGM_RSRC2:TGID_Z_EN: 0
; COMPUTE_PGM_RSRC2:TIDIG_COMP_CNT: 0
	.section	.text._Z6kernelI14exclusive_scanILN6hipcub18BlockScanAlgorithmE0EEdLj256ELj16ELj100EEvPKT0_PS4_S4_,"axG",@progbits,_Z6kernelI14exclusive_scanILN6hipcub18BlockScanAlgorithmE0EEdLj256ELj16ELj100EEvPKT0_PS4_S4_,comdat
	.protected	_Z6kernelI14exclusive_scanILN6hipcub18BlockScanAlgorithmE0EEdLj256ELj16ELj100EEvPKT0_PS4_S4_ ; -- Begin function _Z6kernelI14exclusive_scanILN6hipcub18BlockScanAlgorithmE0EEdLj256ELj16ELj100EEvPKT0_PS4_S4_
	.globl	_Z6kernelI14exclusive_scanILN6hipcub18BlockScanAlgorithmE0EEdLj256ELj16ELj100EEvPKT0_PS4_S4_
	.p2align	8
	.type	_Z6kernelI14exclusive_scanILN6hipcub18BlockScanAlgorithmE0EEdLj256ELj16ELj100EEvPKT0_PS4_S4_,@function
_Z6kernelI14exclusive_scanILN6hipcub18BlockScanAlgorithmE0EEdLj256ELj16ELj100EEvPKT0_PS4_S4_: ; @_Z6kernelI14exclusive_scanILN6hipcub18BlockScanAlgorithmE0EEdLj256ELj16ELj100EEvPKT0_PS4_S4_
; %bb.0:
	s_load_dword s0, s[4:5], 0x24
	s_load_dwordx4 s[24:27], s[4:5], 0x0
	s_load_dwordx2 s[28:29], s[4:5], 0x10
	v_mov_b32_e32 v2, 0
	v_cmp_gt_u32_e64 s[12:13], 4, v0
	s_waitcnt lgkmcnt(0)
	s_and_b32 s0, s0, 0xffff
	s_mul_i32 s6, s6, s0
	v_add_lshl_u32 v1, s6, v0, 4
	v_lshlrev_b64 v[45:46], 3, v[1:2]
	v_mov_b32_e32 v1, s25
	v_add_co_u32_e32 v33, vcc, s24, v45
	v_addc_co_u32_e32 v34, vcc, v1, v46, vcc
	global_load_dwordx4 v[1:4], v[33:34], off offset:48
	global_load_dwordx4 v[5:8], v[33:34], off offset:32
	;; [unrolled: 1-line block ×3, first 2 shown]
	global_load_dwordx4 v[29:32], v[33:34], off
	global_load_dwordx4 v[9:12], v[33:34], off offset:112
	global_load_dwordx4 v[13:16], v[33:34], off offset:96
	;; [unrolled: 1-line block ×4, first 2 shown]
	v_mbcnt_lo_u32_b32 v33, -1, 0
	v_mbcnt_hi_u32_b32 v33, -1, v33
	v_and_b32_e32 v34, 15, v33
	v_cmp_ne_u32_e32 vcc, 0, v34
	v_cmp_lt_u32_e64 s[0:1], 1, v34
	v_cmp_lt_u32_e64 s[2:3], 3, v34
	;; [unrolled: 1-line block ×3, first 2 shown]
	v_and_b32_e32 v34, 16, v33
	v_cmp_ne_u32_e64 s[6:7], 0, v34
	v_or_b32_e32 v34, 63, v0
	v_cmp_eq_u32_e64 s[10:11], v0, v34
	v_subrev_co_u32_e64 v34, s[16:17], 1, v33
	v_and_b32_e32 v35, 64, v33
	v_cmp_lt_i32_e64 s[18:19], v34, v35
	v_cndmask_b32_e64 v34, v34, v33, s[18:19]
	v_lshlrev_b32_e32 v47, 2, v34
	v_lshrrev_b32_e32 v34, 3, v0
	v_cmp_lt_u32_e64 s[14:15], 63, v0
	v_cmp_eq_u32_e64 s[18:19], 0, v0
	v_and_b32_e32 v48, 24, v34
	v_lshlrev_b32_e32 v49, 3, v0
	v_and_b32_e32 v0, 3, v33
	v_cmp_lt_u32_e64 s[8:9], 31, v33
	v_cmp_ne_u32_e64 s[20:21], 0, v0
	v_cmp_lt_u32_e64 s[22:23], 1, v0
	v_add_u32_e32 v50, -8, v48
	s_movk_i32 s33, 0x64
.LBB203_1:                              ; =>This Inner Loop Header: Depth=1
	s_waitcnt vmcnt(4)
	v_add_f64 v[33:34], v[31:32], v[29:30]
	v_add_f64 v[33:34], v[25:26], v[33:34]
	;; [unrolled: 1-line block ×7, first 2 shown]
	s_waitcnt vmcnt(0)
	v_add_f64 v[33:34], v[21:22], v[33:34]
	v_add_f64 v[33:34], v[23:24], v[33:34]
	;; [unrolled: 1-line block ×8, first 2 shown]
	s_nop 1
	v_mov_b32_dpp v33, v11 row_shr:1 row_mask:0xf bank_mask:0xf
	v_mov_b32_dpp v34, v12 row_shr:1 row_mask:0xf bank_mask:0xf
	s_and_saveexec_b64 s[24:25], vcc
; %bb.2:                                ;   in Loop: Header=BB203_1 Depth=1
	v_add_f64 v[11:12], v[11:12], v[33:34]
; %bb.3:                                ;   in Loop: Header=BB203_1 Depth=1
	s_or_b64 exec, exec, s[24:25]
	s_nop 0
	v_mov_b32_dpp v33, v11 row_shr:2 row_mask:0xf bank_mask:0xf
	v_mov_b32_dpp v34, v12 row_shr:2 row_mask:0xf bank_mask:0xf
	s_and_saveexec_b64 s[24:25], s[0:1]
; %bb.4:                                ;   in Loop: Header=BB203_1 Depth=1
	v_add_f64 v[11:12], v[11:12], v[33:34]
; %bb.5:                                ;   in Loop: Header=BB203_1 Depth=1
	s_or_b64 exec, exec, s[24:25]
	s_nop 0
	v_mov_b32_dpp v33, v11 row_shr:4 row_mask:0xf bank_mask:0xf
	v_mov_b32_dpp v34, v12 row_shr:4 row_mask:0xf bank_mask:0xf
	s_and_saveexec_b64 s[24:25], s[2:3]
	;; [unrolled: 8-line block ×3, first 2 shown]
; %bb.8:                                ;   in Loop: Header=BB203_1 Depth=1
	v_add_f64 v[11:12], v[11:12], v[33:34]
; %bb.9:                                ;   in Loop: Header=BB203_1 Depth=1
	s_or_b64 exec, exec, s[24:25]
	s_nop 0
	v_mov_b32_dpp v33, v11 row_bcast:15 row_mask:0xf bank_mask:0xf
	v_mov_b32_dpp v34, v12 row_bcast:15 row_mask:0xf bank_mask:0xf
	s_and_saveexec_b64 s[24:25], s[6:7]
; %bb.10:                               ;   in Loop: Header=BB203_1 Depth=1
	v_add_f64 v[11:12], v[11:12], v[33:34]
; %bb.11:                               ;   in Loop: Header=BB203_1 Depth=1
	s_or_b64 exec, exec, s[24:25]
	s_nop 0
	v_mov_b32_dpp v33, v11 row_bcast:31 row_mask:0xf bank_mask:0xf
	v_mov_b32_dpp v34, v12 row_bcast:31 row_mask:0xf bank_mask:0xf
	v_add_f64 v[33:34], v[11:12], v[33:34]
	v_cndmask_b32_e64 v12, v12, v34, s[8:9]
	v_cndmask_b32_e64 v11, v11, v33, s[8:9]
	s_and_saveexec_b64 s[24:25], s[10:11]
; %bb.12:                               ;   in Loop: Header=BB203_1 Depth=1
	ds_write_b64 v48, v[11:12]
; %bb.13:                               ;   in Loop: Header=BB203_1 Depth=1
	s_or_b64 exec, exec, s[24:25]
	s_waitcnt lgkmcnt(0)
	s_barrier
	s_and_saveexec_b64 s[24:25], s[12:13]
	s_cbranch_execz .LBB203_17
; %bb.14:                               ;   in Loop: Header=BB203_1 Depth=1
	ds_read_b64 v[33:34], v49
	s_waitcnt lgkmcnt(0)
	s_nop 0
	v_mov_b32_dpp v35, v33 row_shr:1 row_mask:0xf bank_mask:0xf
	v_mov_b32_dpp v36, v34 row_shr:1 row_mask:0xf bank_mask:0xf
	s_and_saveexec_b64 s[30:31], s[20:21]
; %bb.15:                               ;   in Loop: Header=BB203_1 Depth=1
	v_add_f64 v[33:34], v[33:34], v[35:36]
; %bb.16:                               ;   in Loop: Header=BB203_1 Depth=1
	s_or_b64 exec, exec, s[30:31]
	s_nop 0
	v_mov_b32_dpp v35, v33 row_shr:2 row_mask:0xf bank_mask:0xf
	v_mov_b32_dpp v36, v34 row_shr:2 row_mask:0xf bank_mask:0xf
	v_add_f64 v[35:36], v[33:34], v[35:36]
	v_cndmask_b32_e64 v34, v34, v36, s[22:23]
	v_cndmask_b32_e64 v33, v33, v35, s[22:23]
	ds_write_b64 v49, v[33:34]
.LBB203_17:                             ;   in Loop: Header=BB203_1 Depth=1
	s_or_b64 exec, exec, s[24:25]
	v_mov_b32_e32 v34, s29
	v_mov_b32_e32 v33, s28
	s_waitcnt lgkmcnt(0)
	s_barrier
	s_and_saveexec_b64 s[24:25], s[14:15]
	s_cbranch_execz .LBB203_19
; %bb.18:                               ;   in Loop: Header=BB203_1 Depth=1
	ds_read_b64 v[33:34], v50
	s_waitcnt lgkmcnt(0)
	v_add_f64 v[33:34], s[28:29], v[33:34]
.LBB203_19:                             ;   in Loop: Header=BB203_1 Depth=1
	s_or_b64 exec, exec, s[24:25]
	v_add_f64 v[11:12], v[11:12], v[33:34]
	v_mov_b32_e32 v35, s28
	s_add_i32 s33, s33, -1
	s_cmp_lg_u32 s33, 0
	ds_bpermute_b32 v0, v47, v11
	ds_bpermute_b32 v11, v47, v12
	v_mov_b32_e32 v12, s29
	s_waitcnt lgkmcnt(1)
	v_cndmask_b32_e64 v0, v0, v33, s[16:17]
	s_waitcnt lgkmcnt(0)
	v_cndmask_b32_e64 v11, v11, v34, s[16:17]
	v_cndmask_b32_e64 v34, v11, v12, s[18:19]
	;; [unrolled: 1-line block ×3, first 2 shown]
	v_add_f64 v[35:36], v[29:30], v[33:34]
	v_add_f64 v[41:42], v[31:32], v[35:36]
	;; [unrolled: 1-line block ×15, first 2 shown]
	s_cbranch_scc0 .LBB203_21
; %bb.20:                               ;   in Loop: Header=BB203_1 Depth=1
	v_mov_b32_e32 v10, v1
	v_mov_b32_e32 v16, v5
	;; [unrolled: 1-line block ×30, first 2 shown]
	s_branch .LBB203_1
.LBB203_21:
	v_mov_b32_e32 v7, s27
	v_add_co_u32_e32 v6, vcc, s26, v45
	v_addc_co_u32_e32 v7, vcc, v7, v46, vcc
	global_store_dwordx4 v[6:7], v[33:36], off
	global_store_dwordx4 v[6:7], v[41:44], off offset:16
	global_store_dwordx4 v[6:7], v[37:40], off offset:32
	;; [unrolled: 1-line block ×6, first 2 shown]
	s_nop 0
	v_mov_b32_e32 v2, v11
	v_mov_b32_e32 v3, v12
	global_store_dwordx4 v[6:7], v[0:3], off offset:112
	s_endpgm
	.section	.rodata,"a",@progbits
	.p2align	6, 0x0
	.amdhsa_kernel _Z6kernelI14exclusive_scanILN6hipcub18BlockScanAlgorithmE0EEdLj256ELj16ELj100EEvPKT0_PS4_S4_
		.amdhsa_group_segment_fixed_size 32
		.amdhsa_private_segment_fixed_size 0
		.amdhsa_kernarg_size 280
		.amdhsa_user_sgpr_count 6
		.amdhsa_user_sgpr_private_segment_buffer 1
		.amdhsa_user_sgpr_dispatch_ptr 0
		.amdhsa_user_sgpr_queue_ptr 0
		.amdhsa_user_sgpr_kernarg_segment_ptr 1
		.amdhsa_user_sgpr_dispatch_id 0
		.amdhsa_user_sgpr_flat_scratch_init 0
		.amdhsa_user_sgpr_private_segment_size 0
		.amdhsa_uses_dynamic_stack 0
		.amdhsa_system_sgpr_private_segment_wavefront_offset 0
		.amdhsa_system_sgpr_workgroup_id_x 1
		.amdhsa_system_sgpr_workgroup_id_y 0
		.amdhsa_system_sgpr_workgroup_id_z 0
		.amdhsa_system_sgpr_workgroup_info 0
		.amdhsa_system_vgpr_workitem_id 0
		.amdhsa_next_free_vgpr 51
		.amdhsa_next_free_sgpr 34
		.amdhsa_reserve_vcc 1
		.amdhsa_reserve_flat_scratch 0
		.amdhsa_float_round_mode_32 0
		.amdhsa_float_round_mode_16_64 0
		.amdhsa_float_denorm_mode_32 3
		.amdhsa_float_denorm_mode_16_64 3
		.amdhsa_dx10_clamp 1
		.amdhsa_ieee_mode 1
		.amdhsa_fp16_overflow 0
		.amdhsa_exception_fp_ieee_invalid_op 0
		.amdhsa_exception_fp_denorm_src 0
		.amdhsa_exception_fp_ieee_div_zero 0
		.amdhsa_exception_fp_ieee_overflow 0
		.amdhsa_exception_fp_ieee_underflow 0
		.amdhsa_exception_fp_ieee_inexact 0
		.amdhsa_exception_int_div_zero 0
	.end_amdhsa_kernel
	.section	.text._Z6kernelI14exclusive_scanILN6hipcub18BlockScanAlgorithmE0EEdLj256ELj16ELj100EEvPKT0_PS4_S4_,"axG",@progbits,_Z6kernelI14exclusive_scanILN6hipcub18BlockScanAlgorithmE0EEdLj256ELj16ELj100EEvPKT0_PS4_S4_,comdat
.Lfunc_end203:
	.size	_Z6kernelI14exclusive_scanILN6hipcub18BlockScanAlgorithmE0EEdLj256ELj16ELj100EEvPKT0_PS4_S4_, .Lfunc_end203-_Z6kernelI14exclusive_scanILN6hipcub18BlockScanAlgorithmE0EEdLj256ELj16ELj100EEvPKT0_PS4_S4_
                                        ; -- End function
	.set _Z6kernelI14exclusive_scanILN6hipcub18BlockScanAlgorithmE0EEdLj256ELj16ELj100EEvPKT0_PS4_S4_.num_vgpr, 51
	.set _Z6kernelI14exclusive_scanILN6hipcub18BlockScanAlgorithmE0EEdLj256ELj16ELj100EEvPKT0_PS4_S4_.num_agpr, 0
	.set _Z6kernelI14exclusive_scanILN6hipcub18BlockScanAlgorithmE0EEdLj256ELj16ELj100EEvPKT0_PS4_S4_.numbered_sgpr, 34
	.set _Z6kernelI14exclusive_scanILN6hipcub18BlockScanAlgorithmE0EEdLj256ELj16ELj100EEvPKT0_PS4_S4_.num_named_barrier, 0
	.set _Z6kernelI14exclusive_scanILN6hipcub18BlockScanAlgorithmE0EEdLj256ELj16ELj100EEvPKT0_PS4_S4_.private_seg_size, 0
	.set _Z6kernelI14exclusive_scanILN6hipcub18BlockScanAlgorithmE0EEdLj256ELj16ELj100EEvPKT0_PS4_S4_.uses_vcc, 1
	.set _Z6kernelI14exclusive_scanILN6hipcub18BlockScanAlgorithmE0EEdLj256ELj16ELj100EEvPKT0_PS4_S4_.uses_flat_scratch, 0
	.set _Z6kernelI14exclusive_scanILN6hipcub18BlockScanAlgorithmE0EEdLj256ELj16ELj100EEvPKT0_PS4_S4_.has_dyn_sized_stack, 0
	.set _Z6kernelI14exclusive_scanILN6hipcub18BlockScanAlgorithmE0EEdLj256ELj16ELj100EEvPKT0_PS4_S4_.has_recursion, 0
	.set _Z6kernelI14exclusive_scanILN6hipcub18BlockScanAlgorithmE0EEdLj256ELj16ELj100EEvPKT0_PS4_S4_.has_indirect_call, 0
	.section	.AMDGPU.csdata,"",@progbits
; Kernel info:
; codeLenInByte = 1268
; TotalNumSgprs: 38
; NumVgprs: 51
; ScratchSize: 0
; MemoryBound: 0
; FloatMode: 240
; IeeeMode: 1
; LDSByteSize: 32 bytes/workgroup (compile time only)
; SGPRBlocks: 4
; VGPRBlocks: 12
; NumSGPRsForWavesPerEU: 38
; NumVGPRsForWavesPerEU: 51
; Occupancy: 4
; WaveLimiterHint : 0
; COMPUTE_PGM_RSRC2:SCRATCH_EN: 0
; COMPUTE_PGM_RSRC2:USER_SGPR: 6
; COMPUTE_PGM_RSRC2:TRAP_HANDLER: 0
; COMPUTE_PGM_RSRC2:TGID_X_EN: 1
; COMPUTE_PGM_RSRC2:TGID_Y_EN: 0
; COMPUTE_PGM_RSRC2:TGID_Z_EN: 0
; COMPUTE_PGM_RSRC2:TIDIG_COMP_CNT: 0
	.section	.text._Z6kernelI14exclusive_scanILN6hipcub18BlockScanAlgorithmE0EEhLj256ELj1ELj100EEvPKT0_PS4_S4_,"axG",@progbits,_Z6kernelI14exclusive_scanILN6hipcub18BlockScanAlgorithmE0EEhLj256ELj1ELj100EEvPKT0_PS4_S4_,comdat
	.protected	_Z6kernelI14exclusive_scanILN6hipcub18BlockScanAlgorithmE0EEhLj256ELj1ELj100EEvPKT0_PS4_S4_ ; -- Begin function _Z6kernelI14exclusive_scanILN6hipcub18BlockScanAlgorithmE0EEhLj256ELj1ELj100EEvPKT0_PS4_S4_
	.globl	_Z6kernelI14exclusive_scanILN6hipcub18BlockScanAlgorithmE0EEhLj256ELj1ELj100EEvPKT0_PS4_S4_
	.p2align	8
	.type	_Z6kernelI14exclusive_scanILN6hipcub18BlockScanAlgorithmE0EEhLj256ELj1ELj100EEvPKT0_PS4_S4_,@function
_Z6kernelI14exclusive_scanILN6hipcub18BlockScanAlgorithmE0EEhLj256ELj1ELj100EEvPKT0_PS4_S4_: ; @_Z6kernelI14exclusive_scanILN6hipcub18BlockScanAlgorithmE0EEhLj256ELj1ELj100EEvPKT0_PS4_S4_
; %bb.0:
	s_load_dword s0, s[4:5], 0x24
	s_load_dwordx4 s[20:23], s[4:5], 0x0
	s_load_dword s26, s[4:5], 0x10
	v_mbcnt_lo_u32_b32 v2, -1, 0
	v_mbcnt_hi_u32_b32 v4, -1, v2
	s_waitcnt lgkmcnt(0)
	s_and_b32 s0, s0, 0xffff
	s_mul_i32 s6, s6, s0
	v_add_u32_e32 v1, s6, v0
	global_load_ubyte v5, v1, s[20:21]
	v_or_b32_e32 v3, 63, v0
	v_and_b32_e32 v2, 15, v4
	v_cmp_eq_u32_e64 s[10:11], v0, v3
	v_subrev_co_u32_e64 v3, s[16:17], 1, v4
	v_and_b32_e32 v6, 64, v4
	v_cmp_eq_u32_e32 vcc, 0, v2
	v_cmp_lt_u32_e64 s[0:1], 1, v2
	v_cmp_lt_u32_e64 s[2:3], 3, v2
	;; [unrolled: 1-line block ×3, first 2 shown]
	v_and_b32_e32 v2, 16, v4
	v_cmp_lt_i32_e64 s[18:19], v3, v6
	v_cmp_eq_u32_e64 s[6:7], 0, v2
	v_cmp_lt_u32_e64 s[8:9], 31, v4
	v_lshrrev_b32_e32 v2, 6, v0
	v_cndmask_b32_e64 v3, v3, v4, s[18:19]
	v_and_b32_e32 v4, 3, v4
	v_cmp_gt_u32_e64 s[12:13], 4, v0
	v_cmp_lt_u32_e64 s[14:15], 63, v0
	v_lshlrev_b32_e32 v3, 2, v3
	v_cmp_eq_u32_e64 s[18:19], 0, v4
	v_cmp_lt_u32_e64 s[20:21], 1, v4
	v_add_u32_e32 v4, -1, v2
	s_movk_i32 s27, 0x64
	s_branch .LBB204_2
.LBB204_1:                              ;   in Loop: Header=BB204_2 Depth=1
	s_or_b64 exec, exec, s[24:25]
	v_add_u16_e32 v5, v6, v5
	v_and_b32_e32 v5, 0xff, v5
	ds_bpermute_b32 v5, v3, v5
	s_add_i32 s27, s27, -1
	s_cmp_lg_u32 s27, 0
	s_waitcnt lgkmcnt(0)
	v_cndmask_b32_e64 v5, v5, v6, s[16:17]
	s_cbranch_scc0 .LBB204_8
.LBB204_2:                              ; =>This Inner Loop Header: Depth=1
	s_waitcnt vmcnt(0)
	v_and_b32_e32 v6, 0xff, v5
	s_nop 1
	v_mov_b32_dpp v6, v6 row_shr:1 row_mask:0xf bank_mask:0xf
	v_cndmask_b32_e64 v6, v6, 0, vcc
	v_add_u16_e32 v5, v6, v5
	v_and_b32_e32 v6, 0xff, v5
	s_nop 1
	v_mov_b32_dpp v6, v6 row_shr:2 row_mask:0xf bank_mask:0xf
	v_cndmask_b32_e64 v6, 0, v6, s[0:1]
	v_add_u16_e32 v5, v5, v6
	v_and_b32_e32 v6, 0xff, v5
	s_nop 1
	v_mov_b32_dpp v6, v6 row_shr:4 row_mask:0xf bank_mask:0xf
	v_cndmask_b32_e64 v6, 0, v6, s[2:3]
	;; [unrolled: 5-line block ×3, first 2 shown]
	v_add_u16_e32 v5, v5, v6
	v_and_b32_e32 v6, 0xff, v5
	s_nop 1
	v_mov_b32_dpp v6, v6 row_bcast:15 row_mask:0xf bank_mask:0xf
	v_cndmask_b32_e64 v6, v6, 0, s[6:7]
	v_add_u16_e32 v5, v5, v6
	v_and_b32_e32 v6, 0xff, v5
	s_nop 1
	v_mov_b32_dpp v6, v6 row_bcast:31 row_mask:0xf bank_mask:0xf
	v_cndmask_b32_e64 v6, 0, v6, s[8:9]
	v_add_u16_e32 v5, v5, v6
	s_and_saveexec_b64 s[24:25], s[10:11]
; %bb.3:                                ;   in Loop: Header=BB204_2 Depth=1
	ds_write_b8 v2, v5
; %bb.4:                                ;   in Loop: Header=BB204_2 Depth=1
	s_or_b64 exec, exec, s[24:25]
	s_waitcnt lgkmcnt(0)
	s_barrier
	s_and_saveexec_b64 s[24:25], s[12:13]
	s_cbranch_execz .LBB204_6
; %bb.5:                                ;   in Loop: Header=BB204_2 Depth=1
	ds_read_u8 v6, v0
	s_waitcnt lgkmcnt(0)
	v_and_b32_e32 v7, 0xff, v6
	s_nop 1
	v_mov_b32_dpp v7, v7 row_shr:1 row_mask:0xf bank_mask:0xf
	v_cndmask_b32_e64 v7, v7, 0, s[18:19]
	v_add_u16_e32 v6, v7, v6
	v_and_b32_e32 v7, 0xff, v6
	s_nop 1
	v_mov_b32_dpp v7, v7 row_shr:2 row_mask:0xf bank_mask:0xf
	v_cndmask_b32_e64 v7, 0, v7, s[20:21]
	v_add_u16_e32 v6, v6, v7
	ds_write_b8 v0, v6
.LBB204_6:                              ;   in Loop: Header=BB204_2 Depth=1
	s_or_b64 exec, exec, s[24:25]
	v_mov_b32_e32 v6, s26
	s_waitcnt lgkmcnt(0)
	s_barrier
	s_and_saveexec_b64 s[24:25], s[14:15]
	s_cbranch_execz .LBB204_1
; %bb.7:                                ;   in Loop: Header=BB204_2 Depth=1
	ds_read_u8 v6, v4
	s_waitcnt lgkmcnt(0)
	v_add_u16_e32 v6, s26, v6
	s_branch .LBB204_1
.LBB204_8:
	v_mov_b32_e32 v2, s23
	v_add_co_u32_e32 v0, vcc, s22, v1
	v_addc_co_u32_e32 v1, vcc, 0, v2, vcc
	global_store_byte v[0:1], v5, off
	s_endpgm
	.section	.rodata,"a",@progbits
	.p2align	6, 0x0
	.amdhsa_kernel _Z6kernelI14exclusive_scanILN6hipcub18BlockScanAlgorithmE0EEhLj256ELj1ELj100EEvPKT0_PS4_S4_
		.amdhsa_group_segment_fixed_size 4
		.amdhsa_private_segment_fixed_size 0
		.amdhsa_kernarg_size 280
		.amdhsa_user_sgpr_count 6
		.amdhsa_user_sgpr_private_segment_buffer 1
		.amdhsa_user_sgpr_dispatch_ptr 0
		.amdhsa_user_sgpr_queue_ptr 0
		.amdhsa_user_sgpr_kernarg_segment_ptr 1
		.amdhsa_user_sgpr_dispatch_id 0
		.amdhsa_user_sgpr_flat_scratch_init 0
		.amdhsa_user_sgpr_private_segment_size 0
		.amdhsa_uses_dynamic_stack 0
		.amdhsa_system_sgpr_private_segment_wavefront_offset 0
		.amdhsa_system_sgpr_workgroup_id_x 1
		.amdhsa_system_sgpr_workgroup_id_y 0
		.amdhsa_system_sgpr_workgroup_id_z 0
		.amdhsa_system_sgpr_workgroup_info 0
		.amdhsa_system_vgpr_workitem_id 0
		.amdhsa_next_free_vgpr 8
		.amdhsa_next_free_sgpr 28
		.amdhsa_reserve_vcc 1
		.amdhsa_reserve_flat_scratch 0
		.amdhsa_float_round_mode_32 0
		.amdhsa_float_round_mode_16_64 0
		.amdhsa_float_denorm_mode_32 3
		.amdhsa_float_denorm_mode_16_64 3
		.amdhsa_dx10_clamp 1
		.amdhsa_ieee_mode 1
		.amdhsa_fp16_overflow 0
		.amdhsa_exception_fp_ieee_invalid_op 0
		.amdhsa_exception_fp_denorm_src 0
		.amdhsa_exception_fp_ieee_div_zero 0
		.amdhsa_exception_fp_ieee_overflow 0
		.amdhsa_exception_fp_ieee_underflow 0
		.amdhsa_exception_fp_ieee_inexact 0
		.amdhsa_exception_int_div_zero 0
	.end_amdhsa_kernel
	.section	.text._Z6kernelI14exclusive_scanILN6hipcub18BlockScanAlgorithmE0EEhLj256ELj1ELj100EEvPKT0_PS4_S4_,"axG",@progbits,_Z6kernelI14exclusive_scanILN6hipcub18BlockScanAlgorithmE0EEhLj256ELj1ELj100EEvPKT0_PS4_S4_,comdat
.Lfunc_end204:
	.size	_Z6kernelI14exclusive_scanILN6hipcub18BlockScanAlgorithmE0EEhLj256ELj1ELj100EEvPKT0_PS4_S4_, .Lfunc_end204-_Z6kernelI14exclusive_scanILN6hipcub18BlockScanAlgorithmE0EEhLj256ELj1ELj100EEvPKT0_PS4_S4_
                                        ; -- End function
	.set _Z6kernelI14exclusive_scanILN6hipcub18BlockScanAlgorithmE0EEhLj256ELj1ELj100EEvPKT0_PS4_S4_.num_vgpr, 8
	.set _Z6kernelI14exclusive_scanILN6hipcub18BlockScanAlgorithmE0EEhLj256ELj1ELj100EEvPKT0_PS4_S4_.num_agpr, 0
	.set _Z6kernelI14exclusive_scanILN6hipcub18BlockScanAlgorithmE0EEhLj256ELj1ELj100EEvPKT0_PS4_S4_.numbered_sgpr, 28
	.set _Z6kernelI14exclusive_scanILN6hipcub18BlockScanAlgorithmE0EEhLj256ELj1ELj100EEvPKT0_PS4_S4_.num_named_barrier, 0
	.set _Z6kernelI14exclusive_scanILN6hipcub18BlockScanAlgorithmE0EEhLj256ELj1ELj100EEvPKT0_PS4_S4_.private_seg_size, 0
	.set _Z6kernelI14exclusive_scanILN6hipcub18BlockScanAlgorithmE0EEhLj256ELj1ELj100EEvPKT0_PS4_S4_.uses_vcc, 1
	.set _Z6kernelI14exclusive_scanILN6hipcub18BlockScanAlgorithmE0EEhLj256ELj1ELj100EEvPKT0_PS4_S4_.uses_flat_scratch, 0
	.set _Z6kernelI14exclusive_scanILN6hipcub18BlockScanAlgorithmE0EEhLj256ELj1ELj100EEvPKT0_PS4_S4_.has_dyn_sized_stack, 0
	.set _Z6kernelI14exclusive_scanILN6hipcub18BlockScanAlgorithmE0EEhLj256ELj1ELj100EEvPKT0_PS4_S4_.has_recursion, 0
	.set _Z6kernelI14exclusive_scanILN6hipcub18BlockScanAlgorithmE0EEhLj256ELj1ELj100EEvPKT0_PS4_S4_.has_indirect_call, 0
	.section	.AMDGPU.csdata,"",@progbits
; Kernel info:
; codeLenInByte = 644
; TotalNumSgprs: 32
; NumVgprs: 8
; ScratchSize: 0
; MemoryBound: 0
; FloatMode: 240
; IeeeMode: 1
; LDSByteSize: 4 bytes/workgroup (compile time only)
; SGPRBlocks: 3
; VGPRBlocks: 1
; NumSGPRsForWavesPerEU: 32
; NumVGPRsForWavesPerEU: 8
; Occupancy: 10
; WaveLimiterHint : 0
; COMPUTE_PGM_RSRC2:SCRATCH_EN: 0
; COMPUTE_PGM_RSRC2:USER_SGPR: 6
; COMPUTE_PGM_RSRC2:TRAP_HANDLER: 0
; COMPUTE_PGM_RSRC2:TGID_X_EN: 1
; COMPUTE_PGM_RSRC2:TGID_Y_EN: 0
; COMPUTE_PGM_RSRC2:TGID_Z_EN: 0
; COMPUTE_PGM_RSRC2:TIDIG_COMP_CNT: 0
	.section	.text._Z6kernelI14exclusive_scanILN6hipcub18BlockScanAlgorithmE0EEhLj256ELj3ELj100EEvPKT0_PS4_S4_,"axG",@progbits,_Z6kernelI14exclusive_scanILN6hipcub18BlockScanAlgorithmE0EEhLj256ELj3ELj100EEvPKT0_PS4_S4_,comdat
	.protected	_Z6kernelI14exclusive_scanILN6hipcub18BlockScanAlgorithmE0EEhLj256ELj3ELj100EEvPKT0_PS4_S4_ ; -- Begin function _Z6kernelI14exclusive_scanILN6hipcub18BlockScanAlgorithmE0EEhLj256ELj3ELj100EEvPKT0_PS4_S4_
	.globl	_Z6kernelI14exclusive_scanILN6hipcub18BlockScanAlgorithmE0EEhLj256ELj3ELj100EEvPKT0_PS4_S4_
	.p2align	8
	.type	_Z6kernelI14exclusive_scanILN6hipcub18BlockScanAlgorithmE0EEhLj256ELj3ELj100EEvPKT0_PS4_S4_,@function
_Z6kernelI14exclusive_scanILN6hipcub18BlockScanAlgorithmE0EEhLj256ELj3ELj100EEvPKT0_PS4_S4_: ; @_Z6kernelI14exclusive_scanILN6hipcub18BlockScanAlgorithmE0EEhLj256ELj3ELj100EEvPKT0_PS4_S4_
; %bb.0:
	s_load_dword s0, s[4:5], 0x24
	s_load_dwordx4 s[24:27], s[4:5], 0x0
	s_load_dword s28, s[4:5], 0x10
	v_mbcnt_lo_u32_b32 v6, -1, 0
	v_mbcnt_hi_u32_b32 v8, -1, v6
	s_waitcnt lgkmcnt(0)
	s_and_b32 s0, s0, 0xffff
	s_mul_i32 s6, s6, s0
	v_add_u32_e32 v1, s6, v0
	v_lshl_add_u32 v3, v1, 1, v1
	v_add_u32_e32 v2, 1, v3
	v_add_u32_e32 v1, 2, v3
	global_load_ubyte v4, v3, s[24:25]
	global_load_ubyte v9, v1, s[24:25]
	;; [unrolled: 1-line block ×3, first 2 shown]
	v_or_b32_e32 v7, 63, v0
	v_and_b32_e32 v6, 15, v8
	v_cmp_eq_u32_e64 s[10:11], v0, v7
	v_subrev_co_u32_e64 v7, s[16:17], 1, v8
	v_and_b32_e32 v10, 64, v8
	v_cmp_eq_u32_e32 vcc, 0, v6
	v_cmp_lt_u32_e64 s[0:1], 1, v6
	v_cmp_lt_u32_e64 s[2:3], 3, v6
	;; [unrolled: 1-line block ×3, first 2 shown]
	v_and_b32_e32 v6, 16, v8
	v_cmp_lt_i32_e64 s[18:19], v7, v10
	v_cmp_eq_u32_e64 s[6:7], 0, v6
	v_cmp_lt_u32_e64 s[8:9], 31, v8
	v_lshrrev_b32_e32 v6, 6, v0
	v_cndmask_b32_e64 v7, v7, v8, s[18:19]
	v_and_b32_e32 v8, 3, v8
	v_cmp_gt_u32_e64 s[12:13], 4, v0
	v_cmp_lt_u32_e64 s[14:15], 63, v0
	v_lshlrev_b32_e32 v7, 2, v7
	v_cmp_eq_u32_e64 s[18:19], 0, v0
	v_cmp_eq_u32_e64 s[20:21], 0, v8
	v_cmp_lt_u32_e64 s[22:23], 1, v8
	v_add_u32_e32 v8, -1, v6
	s_movk_i32 s29, 0x64
	s_branch .LBB205_2
.LBB205_1:                              ;   in Loop: Header=BB205_2 Depth=1
	s_or_b64 exec, exec, s[24:25]
	v_add_u16_e32 v9, v10, v9
	v_and_b32_e32 v9, 0xff, v9
	ds_bpermute_b32 v9, v7, v9
	v_mov_b32_e32 v11, s28
	s_add_i32 s29, s29, -1
	s_cmp_lg_u32 s29, 0
	s_waitcnt lgkmcnt(0)
	v_cndmask_b32_e64 v9, v9, v10, s[16:17]
	v_cndmask_b32_e64 v11, v9, v11, s[18:19]
	v_add_u16_e32 v10, v11, v4
	v_mov_b32_e32 v4, v11
	v_add_u16_e32 v9, v10, v5
	v_mov_b32_e32 v5, v10
	s_cbranch_scc0 .LBB205_8
.LBB205_2:                              ; =>This Inner Loop Header: Depth=1
	s_waitcnt vmcnt(0)
	v_add_u16_e32 v10, v5, v4
	v_add_u16_e32 v9, v10, v9
	v_and_b32_e32 v10, 0xff, v9
	s_nop 1
	v_mov_b32_dpp v10, v10 row_shr:1 row_mask:0xf bank_mask:0xf
	v_cndmask_b32_e64 v10, v10, 0, vcc
	v_add_u16_e32 v9, v10, v9
	v_and_b32_e32 v10, 0xff, v9
	s_nop 1
	v_mov_b32_dpp v10, v10 row_shr:2 row_mask:0xf bank_mask:0xf
	v_cndmask_b32_e64 v10, 0, v10, s[0:1]
	v_add_u16_e32 v9, v9, v10
	v_and_b32_e32 v10, 0xff, v9
	s_nop 1
	v_mov_b32_dpp v10, v10 row_shr:4 row_mask:0xf bank_mask:0xf
	v_cndmask_b32_e64 v10, 0, v10, s[2:3]
	;; [unrolled: 5-line block ×3, first 2 shown]
	v_add_u16_e32 v9, v9, v10
	v_and_b32_e32 v10, 0xff, v9
	s_nop 1
	v_mov_b32_dpp v10, v10 row_bcast:15 row_mask:0xf bank_mask:0xf
	v_cndmask_b32_e64 v10, v10, 0, s[6:7]
	v_add_u16_e32 v9, v9, v10
	v_and_b32_e32 v10, 0xff, v9
	s_nop 1
	v_mov_b32_dpp v10, v10 row_bcast:31 row_mask:0xf bank_mask:0xf
	v_cndmask_b32_e64 v10, 0, v10, s[8:9]
	v_add_u16_e32 v9, v9, v10
	s_and_saveexec_b64 s[24:25], s[10:11]
; %bb.3:                                ;   in Loop: Header=BB205_2 Depth=1
	ds_write_b8 v6, v9
; %bb.4:                                ;   in Loop: Header=BB205_2 Depth=1
	s_or_b64 exec, exec, s[24:25]
	s_waitcnt lgkmcnt(0)
	s_barrier
	s_and_saveexec_b64 s[24:25], s[12:13]
	s_cbranch_execz .LBB205_6
; %bb.5:                                ;   in Loop: Header=BB205_2 Depth=1
	ds_read_u8 v10, v0
	s_waitcnt lgkmcnt(0)
	v_and_b32_e32 v11, 0xff, v10
	s_nop 1
	v_mov_b32_dpp v11, v11 row_shr:1 row_mask:0xf bank_mask:0xf
	v_cndmask_b32_e64 v11, v11, 0, s[20:21]
	v_add_u16_e32 v10, v11, v10
	v_and_b32_e32 v11, 0xff, v10
	s_nop 1
	v_mov_b32_dpp v11, v11 row_shr:2 row_mask:0xf bank_mask:0xf
	v_cndmask_b32_e64 v11, 0, v11, s[22:23]
	v_add_u16_e32 v10, v10, v11
	ds_write_b8 v0, v10
.LBB205_6:                              ;   in Loop: Header=BB205_2 Depth=1
	s_or_b64 exec, exec, s[24:25]
	v_mov_b32_e32 v10, s28
	s_waitcnt lgkmcnt(0)
	s_barrier
	s_and_saveexec_b64 s[24:25], s[14:15]
	s_cbranch_execz .LBB205_1
; %bb.7:                                ;   in Loop: Header=BB205_2 Depth=1
	ds_read_u8 v10, v8
	s_waitcnt lgkmcnt(0)
	v_add_u16_e32 v10, s28, v10
	s_branch .LBB205_1
.LBB205_8:
	v_mov_b32_e32 v0, s27
	v_add_co_u32_e32 v3, vcc, s26, v3
	v_addc_co_u32_e32 v4, vcc, 0, v0, vcc
	v_add_co_u32_e32 v2, vcc, s26, v2
	global_store_byte v[3:4], v11, off
	v_addc_co_u32_e32 v3, vcc, 0, v0, vcc
	global_store_byte v[2:3], v10, off
	v_mov_b32_e32 v2, s27
	v_add_co_u32_e32 v0, vcc, s26, v1
	v_addc_co_u32_e32 v1, vcc, 0, v2, vcc
	global_store_byte v[0:1], v9, off
	s_endpgm
	.section	.rodata,"a",@progbits
	.p2align	6, 0x0
	.amdhsa_kernel _Z6kernelI14exclusive_scanILN6hipcub18BlockScanAlgorithmE0EEhLj256ELj3ELj100EEvPKT0_PS4_S4_
		.amdhsa_group_segment_fixed_size 4
		.amdhsa_private_segment_fixed_size 0
		.amdhsa_kernarg_size 280
		.amdhsa_user_sgpr_count 6
		.amdhsa_user_sgpr_private_segment_buffer 1
		.amdhsa_user_sgpr_dispatch_ptr 0
		.amdhsa_user_sgpr_queue_ptr 0
		.amdhsa_user_sgpr_kernarg_segment_ptr 1
		.amdhsa_user_sgpr_dispatch_id 0
		.amdhsa_user_sgpr_flat_scratch_init 0
		.amdhsa_user_sgpr_private_segment_size 0
		.amdhsa_uses_dynamic_stack 0
		.amdhsa_system_sgpr_private_segment_wavefront_offset 0
		.amdhsa_system_sgpr_workgroup_id_x 1
		.amdhsa_system_sgpr_workgroup_id_y 0
		.amdhsa_system_sgpr_workgroup_id_z 0
		.amdhsa_system_sgpr_workgroup_info 0
		.amdhsa_system_vgpr_workitem_id 0
		.amdhsa_next_free_vgpr 12
		.amdhsa_next_free_sgpr 30
		.amdhsa_reserve_vcc 1
		.amdhsa_reserve_flat_scratch 0
		.amdhsa_float_round_mode_32 0
		.amdhsa_float_round_mode_16_64 0
		.amdhsa_float_denorm_mode_32 3
		.amdhsa_float_denorm_mode_16_64 3
		.amdhsa_dx10_clamp 1
		.amdhsa_ieee_mode 1
		.amdhsa_fp16_overflow 0
		.amdhsa_exception_fp_ieee_invalid_op 0
		.amdhsa_exception_fp_denorm_src 0
		.amdhsa_exception_fp_ieee_div_zero 0
		.amdhsa_exception_fp_ieee_overflow 0
		.amdhsa_exception_fp_ieee_underflow 0
		.amdhsa_exception_fp_ieee_inexact 0
		.amdhsa_exception_int_div_zero 0
	.end_amdhsa_kernel
	.section	.text._Z6kernelI14exclusive_scanILN6hipcub18BlockScanAlgorithmE0EEhLj256ELj3ELj100EEvPKT0_PS4_S4_,"axG",@progbits,_Z6kernelI14exclusive_scanILN6hipcub18BlockScanAlgorithmE0EEhLj256ELj3ELj100EEvPKT0_PS4_S4_,comdat
.Lfunc_end205:
	.size	_Z6kernelI14exclusive_scanILN6hipcub18BlockScanAlgorithmE0EEhLj256ELj3ELj100EEvPKT0_PS4_S4_, .Lfunc_end205-_Z6kernelI14exclusive_scanILN6hipcub18BlockScanAlgorithmE0EEhLj256ELj3ELj100EEvPKT0_PS4_S4_
                                        ; -- End function
	.set _Z6kernelI14exclusive_scanILN6hipcub18BlockScanAlgorithmE0EEhLj256ELj3ELj100EEvPKT0_PS4_S4_.num_vgpr, 12
	.set _Z6kernelI14exclusive_scanILN6hipcub18BlockScanAlgorithmE0EEhLj256ELj3ELj100EEvPKT0_PS4_S4_.num_agpr, 0
	.set _Z6kernelI14exclusive_scanILN6hipcub18BlockScanAlgorithmE0EEhLj256ELj3ELj100EEvPKT0_PS4_S4_.numbered_sgpr, 30
	.set _Z6kernelI14exclusive_scanILN6hipcub18BlockScanAlgorithmE0EEhLj256ELj3ELj100EEvPKT0_PS4_S4_.num_named_barrier, 0
	.set _Z6kernelI14exclusive_scanILN6hipcub18BlockScanAlgorithmE0EEhLj256ELj3ELj100EEvPKT0_PS4_S4_.private_seg_size, 0
	.set _Z6kernelI14exclusive_scanILN6hipcub18BlockScanAlgorithmE0EEhLj256ELj3ELj100EEvPKT0_PS4_S4_.uses_vcc, 1
	.set _Z6kernelI14exclusive_scanILN6hipcub18BlockScanAlgorithmE0EEhLj256ELj3ELj100EEvPKT0_PS4_S4_.uses_flat_scratch, 0
	.set _Z6kernelI14exclusive_scanILN6hipcub18BlockScanAlgorithmE0EEhLj256ELj3ELj100EEvPKT0_PS4_S4_.has_dyn_sized_stack, 0
	.set _Z6kernelI14exclusive_scanILN6hipcub18BlockScanAlgorithmE0EEhLj256ELj3ELj100EEvPKT0_PS4_S4_.has_recursion, 0
	.set _Z6kernelI14exclusive_scanILN6hipcub18BlockScanAlgorithmE0EEhLj256ELj3ELj100EEvPKT0_PS4_S4_.has_indirect_call, 0
	.section	.AMDGPU.csdata,"",@progbits
; Kernel info:
; codeLenInByte = 756
; TotalNumSgprs: 34
; NumVgprs: 12
; ScratchSize: 0
; MemoryBound: 0
; FloatMode: 240
; IeeeMode: 1
; LDSByteSize: 4 bytes/workgroup (compile time only)
; SGPRBlocks: 4
; VGPRBlocks: 2
; NumSGPRsForWavesPerEU: 34
; NumVGPRsForWavesPerEU: 12
; Occupancy: 10
; WaveLimiterHint : 0
; COMPUTE_PGM_RSRC2:SCRATCH_EN: 0
; COMPUTE_PGM_RSRC2:USER_SGPR: 6
; COMPUTE_PGM_RSRC2:TRAP_HANDLER: 0
; COMPUTE_PGM_RSRC2:TGID_X_EN: 1
; COMPUTE_PGM_RSRC2:TGID_Y_EN: 0
; COMPUTE_PGM_RSRC2:TGID_Z_EN: 0
; COMPUTE_PGM_RSRC2:TIDIG_COMP_CNT: 0
	.section	.text._Z6kernelI14exclusive_scanILN6hipcub18BlockScanAlgorithmE0EEhLj256ELj4ELj100EEvPKT0_PS4_S4_,"axG",@progbits,_Z6kernelI14exclusive_scanILN6hipcub18BlockScanAlgorithmE0EEhLj256ELj4ELj100EEvPKT0_PS4_S4_,comdat
	.protected	_Z6kernelI14exclusive_scanILN6hipcub18BlockScanAlgorithmE0EEhLj256ELj4ELj100EEvPKT0_PS4_S4_ ; -- Begin function _Z6kernelI14exclusive_scanILN6hipcub18BlockScanAlgorithmE0EEhLj256ELj4ELj100EEvPKT0_PS4_S4_
	.globl	_Z6kernelI14exclusive_scanILN6hipcub18BlockScanAlgorithmE0EEhLj256ELj4ELj100EEvPKT0_PS4_S4_
	.p2align	8
	.type	_Z6kernelI14exclusive_scanILN6hipcub18BlockScanAlgorithmE0EEhLj256ELj4ELj100EEvPKT0_PS4_S4_,@function
_Z6kernelI14exclusive_scanILN6hipcub18BlockScanAlgorithmE0EEhLj256ELj4ELj100EEvPKT0_PS4_S4_: ; @_Z6kernelI14exclusive_scanILN6hipcub18BlockScanAlgorithmE0EEhLj256ELj4ELj100EEvPKT0_PS4_S4_
; %bb.0:
	s_load_dword s0, s[4:5], 0x24
	s_load_dwordx4 s[24:27], s[4:5], 0x0
	s_load_dword s28, s[4:5], 0x10
	v_mbcnt_lo_u32_b32 v3, -1, 0
	v_mbcnt_hi_u32_b32 v5, -1, v3
	s_waitcnt lgkmcnt(0)
	s_and_b32 s0, s0, 0xffff
	s_mul_i32 s6, s6, s0
	v_add_lshl_u32 v1, s6, v0, 2
	global_load_dword v2, v1, s[24:25]
	v_subrev_co_u32_e64 v8, s[8:9], 1, v5
	v_and_b32_e32 v9, 64, v5
	v_cmp_lt_i32_e64 s[20:21], v8, v9
	v_lshrrev_b32_e32 v3, 6, v0
	v_or_b32_e32 v4, 63, v0
	v_and_b32_e32 v6, 15, v5
	v_and_b32_e32 v7, 16, v5
	v_cmp_lt_u32_e64 s[4:5], 31, v5
	v_and_b32_e32 v10, 3, v5
	v_cndmask_b32_e64 v5, v8, v5, s[20:21]
	v_cmp_gt_u32_e32 vcc, 4, v0
	v_cmp_lt_u32_e64 s[0:1], 63, v0
	v_cmp_eq_u32_e64 s[2:3], 0, v0
	v_cmp_eq_u32_e64 s[6:7], v0, v4
	v_add_u32_e32 v4, -1, v3
	v_cmp_eq_u32_e64 s[10:11], 0, v6
	v_cmp_lt_u32_e64 s[12:13], 1, v6
	v_cmp_lt_u32_e64 s[14:15], 3, v6
	;; [unrolled: 1-line block ×3, first 2 shown]
	v_cmp_eq_u32_e64 s[18:19], 0, v7
	v_cmp_eq_u32_e64 s[20:21], 0, v10
	v_cmp_lt_u32_e64 s[22:23], 1, v10
	v_lshlrev_b32_e32 v5, 2, v5
	s_movk_i32 s29, 0x64
	s_waitcnt vmcnt(0)
	v_lshrrev_b32_e32 v8, 24, v2
	v_lshrrev_b32_e32 v6, 16, v2
	;; [unrolled: 1-line block ×3, first 2 shown]
.LBB206_1:                              ; =>This Inner Loop Header: Depth=1
	v_add_u16_e32 v9, v7, v2
	v_add_u16_e32 v9, v9, v6
	;; [unrolled: 1-line block ×3, first 2 shown]
	v_and_b32_e32 v9, 0xff, v8
	s_nop 1
	v_mov_b32_dpp v9, v9 row_shr:1 row_mask:0xf bank_mask:0xf
	v_cndmask_b32_e64 v9, v9, 0, s[10:11]
	v_add_u16_e32 v8, v8, v9
	v_and_b32_e32 v9, 0xff, v8
	s_nop 1
	v_mov_b32_dpp v9, v9 row_shr:2 row_mask:0xf bank_mask:0xf
	v_cndmask_b32_e64 v9, 0, v9, s[12:13]
	v_add_u16_e32 v8, v8, v9
	;; [unrolled: 5-line block ×4, first 2 shown]
	v_and_b32_e32 v9, 0xff, v8
	s_nop 1
	v_mov_b32_dpp v9, v9 row_bcast:15 row_mask:0xf bank_mask:0xf
	v_cndmask_b32_e64 v9, v9, 0, s[18:19]
	v_add_u16_e32 v8, v8, v9
	v_and_b32_e32 v9, 0xff, v8
	s_nop 1
	v_mov_b32_dpp v9, v9 row_bcast:31 row_mask:0xf bank_mask:0xf
	v_cndmask_b32_e64 v9, 0, v9, s[4:5]
	v_add_u16_e32 v8, v8, v9
	s_and_saveexec_b64 s[24:25], s[6:7]
; %bb.2:                                ;   in Loop: Header=BB206_1 Depth=1
	ds_write_b8 v3, v8
; %bb.3:                                ;   in Loop: Header=BB206_1 Depth=1
	s_or_b64 exec, exec, s[24:25]
	s_waitcnt lgkmcnt(0)
	s_barrier
	s_and_saveexec_b64 s[24:25], vcc
	s_cbranch_execz .LBB206_5
; %bb.4:                                ;   in Loop: Header=BB206_1 Depth=1
	ds_read_u8 v9, v0
	s_waitcnt lgkmcnt(0)
	v_and_b32_e32 v10, 0xff, v9
	s_nop 1
	v_mov_b32_dpp v10, v10 row_shr:1 row_mask:0xf bank_mask:0xf
	v_cndmask_b32_e64 v10, v10, 0, s[20:21]
	v_add_u16_e32 v9, v10, v9
	v_and_b32_e32 v10, 0xff, v9
	s_nop 1
	v_mov_b32_dpp v10, v10 row_shr:2 row_mask:0xf bank_mask:0xf
	v_cndmask_b32_e64 v10, 0, v10, s[22:23]
	v_add_u16_e32 v9, v9, v10
	ds_write_b8 v0, v9
.LBB206_5:                              ;   in Loop: Header=BB206_1 Depth=1
	s_or_b64 exec, exec, s[24:25]
	v_mov_b32_e32 v9, s28
	s_waitcnt lgkmcnt(0)
	s_barrier
	s_and_saveexec_b64 s[24:25], s[0:1]
	s_cbranch_execz .LBB206_7
; %bb.6:                                ;   in Loop: Header=BB206_1 Depth=1
	ds_read_u8 v9, v4
	s_waitcnt lgkmcnt(0)
	v_add_u16_e32 v9, s28, v9
.LBB206_7:                              ;   in Loop: Header=BB206_1 Depth=1
	s_or_b64 exec, exec, s[24:25]
	v_add_u16_e32 v8, v9, v8
	v_and_b32_e32 v8, 0xff, v8
	ds_bpermute_b32 v8, v5, v8
	v_mov_b32_e32 v10, s28
	s_add_i32 s29, s29, -1
	s_cmp_lg_u32 s29, 0
	s_waitcnt lgkmcnt(0)
	v_cndmask_b32_e64 v8, v8, v9, s[8:9]
	v_cndmask_b32_e64 v10, v8, v10, s[2:3]
	v_add_u16_e32 v11, v10, v2
	v_add_u16_e32 v9, v11, v7
	;; [unrolled: 1-line block ×3, first 2 shown]
	s_cbranch_scc0 .LBB206_9
; %bb.8:                                ;   in Loop: Header=BB206_1 Depth=1
	v_mov_b32_e32 v2, v10
	v_mov_b32_e32 v7, v11
	;; [unrolled: 1-line block ×3, first 2 shown]
	s_branch .LBB206_1
.LBB206_9:
	v_lshlrev_b16_e32 v0, 8, v11
	v_lshlrev_b16_e32 v2, 8, v8
	v_or_b32_sdwa v0, v10, v0 dst_sel:DWORD dst_unused:UNUSED_PAD src0_sel:BYTE_0 src1_sel:DWORD
	v_or_b32_sdwa v2, v9, v2 dst_sel:WORD_1 dst_unused:UNUSED_PAD src0_sel:BYTE_0 src1_sel:DWORD
	v_or_b32_sdwa v2, v0, v2 dst_sel:DWORD dst_unused:UNUSED_PAD src0_sel:WORD_0 src1_sel:DWORD
	v_mov_b32_e32 v3, s27
	v_add_co_u32_e32 v0, vcc, s26, v1
	v_addc_co_u32_e32 v1, vcc, 0, v3, vcc
	global_store_dword v[0:1], v2, off
	s_endpgm
	.section	.rodata,"a",@progbits
	.p2align	6, 0x0
	.amdhsa_kernel _Z6kernelI14exclusive_scanILN6hipcub18BlockScanAlgorithmE0EEhLj256ELj4ELj100EEvPKT0_PS4_S4_
		.amdhsa_group_segment_fixed_size 4
		.amdhsa_private_segment_fixed_size 0
		.amdhsa_kernarg_size 280
		.amdhsa_user_sgpr_count 6
		.amdhsa_user_sgpr_private_segment_buffer 1
		.amdhsa_user_sgpr_dispatch_ptr 0
		.amdhsa_user_sgpr_queue_ptr 0
		.amdhsa_user_sgpr_kernarg_segment_ptr 1
		.amdhsa_user_sgpr_dispatch_id 0
		.amdhsa_user_sgpr_flat_scratch_init 0
		.amdhsa_user_sgpr_private_segment_size 0
		.amdhsa_uses_dynamic_stack 0
		.amdhsa_system_sgpr_private_segment_wavefront_offset 0
		.amdhsa_system_sgpr_workgroup_id_x 1
		.amdhsa_system_sgpr_workgroup_id_y 0
		.amdhsa_system_sgpr_workgroup_id_z 0
		.amdhsa_system_sgpr_workgroup_info 0
		.amdhsa_system_vgpr_workitem_id 0
		.amdhsa_next_free_vgpr 12
		.amdhsa_next_free_sgpr 30
		.amdhsa_reserve_vcc 1
		.amdhsa_reserve_flat_scratch 0
		.amdhsa_float_round_mode_32 0
		.amdhsa_float_round_mode_16_64 0
		.amdhsa_float_denorm_mode_32 3
		.amdhsa_float_denorm_mode_16_64 3
		.amdhsa_dx10_clamp 1
		.amdhsa_ieee_mode 1
		.amdhsa_fp16_overflow 0
		.amdhsa_exception_fp_ieee_invalid_op 0
		.amdhsa_exception_fp_denorm_src 0
		.amdhsa_exception_fp_ieee_div_zero 0
		.amdhsa_exception_fp_ieee_overflow 0
		.amdhsa_exception_fp_ieee_underflow 0
		.amdhsa_exception_fp_ieee_inexact 0
		.amdhsa_exception_int_div_zero 0
	.end_amdhsa_kernel
	.section	.text._Z6kernelI14exclusive_scanILN6hipcub18BlockScanAlgorithmE0EEhLj256ELj4ELj100EEvPKT0_PS4_S4_,"axG",@progbits,_Z6kernelI14exclusive_scanILN6hipcub18BlockScanAlgorithmE0EEhLj256ELj4ELj100EEvPKT0_PS4_S4_,comdat
.Lfunc_end206:
	.size	_Z6kernelI14exclusive_scanILN6hipcub18BlockScanAlgorithmE0EEhLj256ELj4ELj100EEvPKT0_PS4_S4_, .Lfunc_end206-_Z6kernelI14exclusive_scanILN6hipcub18BlockScanAlgorithmE0EEhLj256ELj4ELj100EEvPKT0_PS4_S4_
                                        ; -- End function
	.set _Z6kernelI14exclusive_scanILN6hipcub18BlockScanAlgorithmE0EEhLj256ELj4ELj100EEvPKT0_PS4_S4_.num_vgpr, 12
	.set _Z6kernelI14exclusive_scanILN6hipcub18BlockScanAlgorithmE0EEhLj256ELj4ELj100EEvPKT0_PS4_S4_.num_agpr, 0
	.set _Z6kernelI14exclusive_scanILN6hipcub18BlockScanAlgorithmE0EEhLj256ELj4ELj100EEvPKT0_PS4_S4_.numbered_sgpr, 30
	.set _Z6kernelI14exclusive_scanILN6hipcub18BlockScanAlgorithmE0EEhLj256ELj4ELj100EEvPKT0_PS4_S4_.num_named_barrier, 0
	.set _Z6kernelI14exclusive_scanILN6hipcub18BlockScanAlgorithmE0EEhLj256ELj4ELj100EEvPKT0_PS4_S4_.private_seg_size, 0
	.set _Z6kernelI14exclusive_scanILN6hipcub18BlockScanAlgorithmE0EEhLj256ELj4ELj100EEvPKT0_PS4_S4_.uses_vcc, 1
	.set _Z6kernelI14exclusive_scanILN6hipcub18BlockScanAlgorithmE0EEhLj256ELj4ELj100EEvPKT0_PS4_S4_.uses_flat_scratch, 0
	.set _Z6kernelI14exclusive_scanILN6hipcub18BlockScanAlgorithmE0EEhLj256ELj4ELj100EEvPKT0_PS4_S4_.has_dyn_sized_stack, 0
	.set _Z6kernelI14exclusive_scanILN6hipcub18BlockScanAlgorithmE0EEhLj256ELj4ELj100EEvPKT0_PS4_S4_.has_recursion, 0
	.set _Z6kernelI14exclusive_scanILN6hipcub18BlockScanAlgorithmE0EEhLj256ELj4ELj100EEvPKT0_PS4_S4_.has_indirect_call, 0
	.section	.AMDGPU.csdata,"",@progbits
; Kernel info:
; codeLenInByte = 744
; TotalNumSgprs: 34
; NumVgprs: 12
; ScratchSize: 0
; MemoryBound: 0
; FloatMode: 240
; IeeeMode: 1
; LDSByteSize: 4 bytes/workgroup (compile time only)
; SGPRBlocks: 4
; VGPRBlocks: 2
; NumSGPRsForWavesPerEU: 34
; NumVGPRsForWavesPerEU: 12
; Occupancy: 10
; WaveLimiterHint : 0
; COMPUTE_PGM_RSRC2:SCRATCH_EN: 0
; COMPUTE_PGM_RSRC2:USER_SGPR: 6
; COMPUTE_PGM_RSRC2:TRAP_HANDLER: 0
; COMPUTE_PGM_RSRC2:TGID_X_EN: 1
; COMPUTE_PGM_RSRC2:TGID_Y_EN: 0
; COMPUTE_PGM_RSRC2:TGID_Z_EN: 0
; COMPUTE_PGM_RSRC2:TIDIG_COMP_CNT: 0
	.section	.text._Z6kernelI14exclusive_scanILN6hipcub18BlockScanAlgorithmE0EEhLj256ELj8ELj100EEvPKT0_PS4_S4_,"axG",@progbits,_Z6kernelI14exclusive_scanILN6hipcub18BlockScanAlgorithmE0EEhLj256ELj8ELj100EEvPKT0_PS4_S4_,comdat
	.protected	_Z6kernelI14exclusive_scanILN6hipcub18BlockScanAlgorithmE0EEhLj256ELj8ELj100EEvPKT0_PS4_S4_ ; -- Begin function _Z6kernelI14exclusive_scanILN6hipcub18BlockScanAlgorithmE0EEhLj256ELj8ELj100EEvPKT0_PS4_S4_
	.globl	_Z6kernelI14exclusive_scanILN6hipcub18BlockScanAlgorithmE0EEhLj256ELj8ELj100EEvPKT0_PS4_S4_
	.p2align	8
	.type	_Z6kernelI14exclusive_scanILN6hipcub18BlockScanAlgorithmE0EEhLj256ELj8ELj100EEvPKT0_PS4_S4_,@function
_Z6kernelI14exclusive_scanILN6hipcub18BlockScanAlgorithmE0EEhLj256ELj8ELj100EEvPKT0_PS4_S4_: ; @_Z6kernelI14exclusive_scanILN6hipcub18BlockScanAlgorithmE0EEhLj256ELj8ELj100EEvPKT0_PS4_S4_
; %bb.0:
	s_load_dword s0, s[4:5], 0x24
	s_load_dwordx4 s[24:27], s[4:5], 0x0
	s_load_dword s28, s[4:5], 0x10
	v_mbcnt_lo_u32_b32 v4, -1, 0
	v_mbcnt_hi_u32_b32 v6, -1, v4
	s_waitcnt lgkmcnt(0)
	s_and_b32 s0, s0, 0xffff
	s_mul_i32 s6, s6, s0
	v_add_lshl_u32 v3, s6, v0, 3
	global_load_dwordx2 v[1:2], v3, s[24:25]
	v_or_b32_e32 v5, 63, v0
	v_and_b32_e32 v4, 15, v6
	v_cmp_eq_u32_e64 s[10:11], v0, v5
	v_subrev_co_u32_e64 v5, s[16:17], 1, v6
	v_and_b32_e32 v7, 64, v6
	v_cmp_eq_u32_e32 vcc, 0, v4
	v_cmp_lt_u32_e64 s[0:1], 1, v4
	v_cmp_lt_u32_e64 s[2:3], 3, v4
	;; [unrolled: 1-line block ×3, first 2 shown]
	v_and_b32_e32 v4, 16, v6
	v_cmp_lt_i32_e64 s[18:19], v5, v7
	v_cmp_eq_u32_e64 s[6:7], 0, v4
	v_cmp_lt_u32_e64 s[8:9], 31, v6
	v_lshrrev_b32_e32 v4, 6, v0
	v_cndmask_b32_e64 v5, v5, v6, s[18:19]
	v_and_b32_e32 v6, 3, v6
	v_cmp_gt_u32_e64 s[12:13], 4, v0
	v_cmp_lt_u32_e64 s[14:15], 63, v0
	v_lshlrev_b32_e32 v5, 2, v5
	v_cmp_eq_u32_e64 s[18:19], 0, v0
	v_cmp_eq_u32_e64 s[20:21], 0, v6
	v_cmp_lt_u32_e64 s[22:23], 1, v6
	v_add_u32_e32 v6, -1, v4
	s_movk_i32 s29, 0x64
	s_branch .LBB207_2
.LBB207_1:                              ;   in Loop: Header=BB207_2 Depth=1
	s_or_b64 exec, exec, s[24:25]
	v_add_u16_e32 v9, v10, v9
	v_and_b32_e32 v9, 0xff, v9
	ds_bpermute_b32 v9, v5, v9
	v_mov_b32_e32 v11, s28
	s_add_i32 s29, s29, -1
	s_cmp_lg_u32 s29, 0
	s_waitcnt lgkmcnt(0)
	v_cndmask_b32_e64 v9, v9, v10, s[16:17]
	v_cndmask_b32_e64 v9, v9, v11, s[18:19]
	v_add_u16_e32 v10, v9, v1
	v_add_u16_e32 v8, v10, v8
	v_lshlrev_b16_e32 v12, 8, v10
	v_add_u16_sdwa v11, v8, v1 dst_sel:DWORD dst_unused:UNUSED_PAD src0_sel:DWORD src1_sel:WORD_1
	v_or_b32_sdwa v15, v9, v12 dst_sel:DWORD dst_unused:UNUSED_PAD src0_sel:BYTE_0 src1_sel:DWORD
	v_add_u16_sdwa v12, v11, v1 dst_sel:DWORD dst_unused:UNUSED_PAD src0_sel:DWORD src1_sel:BYTE_3
	v_add_u16_e32 v13, v12, v2
	v_lshlrev_b16_e32 v1, 8, v11
	v_add_u16_e32 v7, v13, v7
	v_add_u16_sdwa v14, v7, v2 dst_sel:DWORD dst_unused:UNUSED_PAD src0_sel:DWORD src1_sel:WORD_1
	v_or_b32_sdwa v1, v8, v1 dst_sel:WORD_1 dst_unused:UNUSED_PAD src0_sel:BYTE_0 src1_sel:DWORD
	v_or_b32_sdwa v1, v15, v1 dst_sel:DWORD dst_unused:UNUSED_PAD src0_sel:WORD_0 src1_sel:DWORD
	v_lshlrev_b16_e32 v2, 8, v13
	v_lshlrev_b16_e32 v15, 8, v14
	v_or_b32_sdwa v2, v12, v2 dst_sel:DWORD dst_unused:UNUSED_PAD src0_sel:BYTE_0 src1_sel:DWORD
	v_or_b32_sdwa v15, v7, v15 dst_sel:WORD_1 dst_unused:UNUSED_PAD src0_sel:BYTE_0 src1_sel:DWORD
	v_or_b32_sdwa v2, v2, v15 dst_sel:DWORD dst_unused:UNUSED_PAD src0_sel:WORD_0 src1_sel:DWORD
	s_cbranch_scc0 .LBB207_8
.LBB207_2:                              ; =>This Inner Loop Header: Depth=1
	s_waitcnt vmcnt(0)
	v_lshrrev_b32_e32 v8, 8, v1
	v_add_u16_e32 v9, v8, v1
	v_add_u16_sdwa v9, v9, v1 dst_sel:DWORD dst_unused:UNUSED_PAD src0_sel:DWORD src1_sel:WORD_1
	v_add_u16_sdwa v9, v9, v1 dst_sel:DWORD dst_unused:UNUSED_PAD src0_sel:DWORD src1_sel:BYTE_3
	v_lshrrev_b32_e32 v7, 8, v2
	v_add_u16_e32 v9, v9, v2
	v_add_u16_e32 v9, v9, v7
	v_add_u16_sdwa v9, v9, v2 dst_sel:DWORD dst_unused:UNUSED_PAD src0_sel:DWORD src1_sel:WORD_1
	v_add_u16_sdwa v9, v9, v2 dst_sel:DWORD dst_unused:UNUSED_PAD src0_sel:DWORD src1_sel:BYTE_3
	v_and_b32_e32 v10, 0xff, v9
	s_nop 1
	v_mov_b32_dpp v10, v10 row_shr:1 row_mask:0xf bank_mask:0xf
	v_cndmask_b32_e64 v10, v10, 0, vcc
	v_add_u16_e32 v9, v9, v10
	v_and_b32_e32 v10, 0xff, v9
	s_nop 1
	v_mov_b32_dpp v10, v10 row_shr:2 row_mask:0xf bank_mask:0xf
	v_cndmask_b32_e64 v10, 0, v10, s[0:1]
	v_add_u16_e32 v9, v9, v10
	v_and_b32_e32 v10, 0xff, v9
	s_nop 1
	v_mov_b32_dpp v10, v10 row_shr:4 row_mask:0xf bank_mask:0xf
	v_cndmask_b32_e64 v10, 0, v10, s[2:3]
	;; [unrolled: 5-line block ×3, first 2 shown]
	v_add_u16_e32 v9, v9, v10
	v_and_b32_e32 v10, 0xff, v9
	s_nop 1
	v_mov_b32_dpp v10, v10 row_bcast:15 row_mask:0xf bank_mask:0xf
	v_cndmask_b32_e64 v10, v10, 0, s[6:7]
	v_add_u16_e32 v9, v9, v10
	v_and_b32_e32 v10, 0xff, v9
	s_nop 1
	v_mov_b32_dpp v10, v10 row_bcast:31 row_mask:0xf bank_mask:0xf
	v_cndmask_b32_e64 v10, 0, v10, s[8:9]
	v_add_u16_e32 v9, v9, v10
	s_and_saveexec_b64 s[24:25], s[10:11]
; %bb.3:                                ;   in Loop: Header=BB207_2 Depth=1
	ds_write_b8 v4, v9
; %bb.4:                                ;   in Loop: Header=BB207_2 Depth=1
	s_or_b64 exec, exec, s[24:25]
	s_waitcnt lgkmcnt(0)
	s_barrier
	s_and_saveexec_b64 s[24:25], s[12:13]
	s_cbranch_execz .LBB207_6
; %bb.5:                                ;   in Loop: Header=BB207_2 Depth=1
	ds_read_u8 v10, v0
	s_waitcnt lgkmcnt(0)
	v_and_b32_e32 v11, 0xff, v10
	s_nop 1
	v_mov_b32_dpp v11, v11 row_shr:1 row_mask:0xf bank_mask:0xf
	v_cndmask_b32_e64 v11, v11, 0, s[20:21]
	v_add_u16_e32 v10, v11, v10
	v_and_b32_e32 v11, 0xff, v10
	s_nop 1
	v_mov_b32_dpp v11, v11 row_shr:2 row_mask:0xf bank_mask:0xf
	v_cndmask_b32_e64 v11, 0, v11, s[22:23]
	v_add_u16_e32 v10, v10, v11
	ds_write_b8 v0, v10
.LBB207_6:                              ;   in Loop: Header=BB207_2 Depth=1
	s_or_b64 exec, exec, s[24:25]
	v_mov_b32_e32 v10, s28
	s_waitcnt lgkmcnt(0)
	s_barrier
	s_and_saveexec_b64 s[24:25], s[14:15]
	s_cbranch_execz .LBB207_1
; %bb.7:                                ;   in Loop: Header=BB207_2 Depth=1
	ds_read_u8 v10, v6
	s_waitcnt lgkmcnt(0)
	v_add_u16_e32 v10, s28, v10
	s_branch .LBB207_1
.LBB207_8:
	s_mov_b32 s0, 0xc0c0004
	v_add_co_u32_e32 v0, vcc, s26, v3
	v_perm_b32 v2, v12, v13, s0
	v_perm_b32 v3, v7, v14, s0
	v_mov_b32_e32 v1, s27
	v_lshl_or_b32 v3, v3, 16, v2
	v_perm_b32 v2, v9, v10, s0
	v_perm_b32 v4, v8, v11, s0
	v_addc_co_u32_e32 v1, vcc, 0, v1, vcc
	v_lshl_or_b32 v2, v4, 16, v2
	global_store_dwordx2 v[0:1], v[2:3], off
	s_endpgm
	.section	.rodata,"a",@progbits
	.p2align	6, 0x0
	.amdhsa_kernel _Z6kernelI14exclusive_scanILN6hipcub18BlockScanAlgorithmE0EEhLj256ELj8ELj100EEvPKT0_PS4_S4_
		.amdhsa_group_segment_fixed_size 4
		.amdhsa_private_segment_fixed_size 0
		.amdhsa_kernarg_size 280
		.amdhsa_user_sgpr_count 6
		.amdhsa_user_sgpr_private_segment_buffer 1
		.amdhsa_user_sgpr_dispatch_ptr 0
		.amdhsa_user_sgpr_queue_ptr 0
		.amdhsa_user_sgpr_kernarg_segment_ptr 1
		.amdhsa_user_sgpr_dispatch_id 0
		.amdhsa_user_sgpr_flat_scratch_init 0
		.amdhsa_user_sgpr_private_segment_size 0
		.amdhsa_uses_dynamic_stack 0
		.amdhsa_system_sgpr_private_segment_wavefront_offset 0
		.amdhsa_system_sgpr_workgroup_id_x 1
		.amdhsa_system_sgpr_workgroup_id_y 0
		.amdhsa_system_sgpr_workgroup_id_z 0
		.amdhsa_system_sgpr_workgroup_info 0
		.amdhsa_system_vgpr_workitem_id 0
		.amdhsa_next_free_vgpr 16
		.amdhsa_next_free_sgpr 30
		.amdhsa_reserve_vcc 1
		.amdhsa_reserve_flat_scratch 0
		.amdhsa_float_round_mode_32 0
		.amdhsa_float_round_mode_16_64 0
		.amdhsa_float_denorm_mode_32 3
		.amdhsa_float_denorm_mode_16_64 3
		.amdhsa_dx10_clamp 1
		.amdhsa_ieee_mode 1
		.amdhsa_fp16_overflow 0
		.amdhsa_exception_fp_ieee_invalid_op 0
		.amdhsa_exception_fp_denorm_src 0
		.amdhsa_exception_fp_ieee_div_zero 0
		.amdhsa_exception_fp_ieee_overflow 0
		.amdhsa_exception_fp_ieee_underflow 0
		.amdhsa_exception_fp_ieee_inexact 0
		.amdhsa_exception_int_div_zero 0
	.end_amdhsa_kernel
	.section	.text._Z6kernelI14exclusive_scanILN6hipcub18BlockScanAlgorithmE0EEhLj256ELj8ELj100EEvPKT0_PS4_S4_,"axG",@progbits,_Z6kernelI14exclusive_scanILN6hipcub18BlockScanAlgorithmE0EEhLj256ELj8ELj100EEvPKT0_PS4_S4_,comdat
.Lfunc_end207:
	.size	_Z6kernelI14exclusive_scanILN6hipcub18BlockScanAlgorithmE0EEhLj256ELj8ELj100EEvPKT0_PS4_S4_, .Lfunc_end207-_Z6kernelI14exclusive_scanILN6hipcub18BlockScanAlgorithmE0EEhLj256ELj8ELj100EEvPKT0_PS4_S4_
                                        ; -- End function
	.set _Z6kernelI14exclusive_scanILN6hipcub18BlockScanAlgorithmE0EEhLj256ELj8ELj100EEvPKT0_PS4_S4_.num_vgpr, 16
	.set _Z6kernelI14exclusive_scanILN6hipcub18BlockScanAlgorithmE0EEhLj256ELj8ELj100EEvPKT0_PS4_S4_.num_agpr, 0
	.set _Z6kernelI14exclusive_scanILN6hipcub18BlockScanAlgorithmE0EEhLj256ELj8ELj100EEvPKT0_PS4_S4_.numbered_sgpr, 30
	.set _Z6kernelI14exclusive_scanILN6hipcub18BlockScanAlgorithmE0EEhLj256ELj8ELj100EEvPKT0_PS4_S4_.num_named_barrier, 0
	.set _Z6kernelI14exclusive_scanILN6hipcub18BlockScanAlgorithmE0EEhLj256ELj8ELj100EEvPKT0_PS4_S4_.private_seg_size, 0
	.set _Z6kernelI14exclusive_scanILN6hipcub18BlockScanAlgorithmE0EEhLj256ELj8ELj100EEvPKT0_PS4_S4_.uses_vcc, 1
	.set _Z6kernelI14exclusive_scanILN6hipcub18BlockScanAlgorithmE0EEhLj256ELj8ELj100EEvPKT0_PS4_S4_.uses_flat_scratch, 0
	.set _Z6kernelI14exclusive_scanILN6hipcub18BlockScanAlgorithmE0EEhLj256ELj8ELj100EEvPKT0_PS4_S4_.has_dyn_sized_stack, 0
	.set _Z6kernelI14exclusive_scanILN6hipcub18BlockScanAlgorithmE0EEhLj256ELj8ELj100EEvPKT0_PS4_S4_.has_recursion, 0
	.set _Z6kernelI14exclusive_scanILN6hipcub18BlockScanAlgorithmE0EEhLj256ELj8ELj100EEvPKT0_PS4_S4_.has_indirect_call, 0
	.section	.AMDGPU.csdata,"",@progbits
; Kernel info:
; codeLenInByte = 880
; TotalNumSgprs: 34
; NumVgprs: 16
; ScratchSize: 0
; MemoryBound: 0
; FloatMode: 240
; IeeeMode: 1
; LDSByteSize: 4 bytes/workgroup (compile time only)
; SGPRBlocks: 4
; VGPRBlocks: 3
; NumSGPRsForWavesPerEU: 34
; NumVGPRsForWavesPerEU: 16
; Occupancy: 10
; WaveLimiterHint : 0
; COMPUTE_PGM_RSRC2:SCRATCH_EN: 0
; COMPUTE_PGM_RSRC2:USER_SGPR: 6
; COMPUTE_PGM_RSRC2:TRAP_HANDLER: 0
; COMPUTE_PGM_RSRC2:TGID_X_EN: 1
; COMPUTE_PGM_RSRC2:TGID_Y_EN: 0
; COMPUTE_PGM_RSRC2:TGID_Z_EN: 0
; COMPUTE_PGM_RSRC2:TIDIG_COMP_CNT: 0
	.section	.text._Z6kernelI14exclusive_scanILN6hipcub18BlockScanAlgorithmE0EEhLj256ELj11ELj100EEvPKT0_PS4_S4_,"axG",@progbits,_Z6kernelI14exclusive_scanILN6hipcub18BlockScanAlgorithmE0EEhLj256ELj11ELj100EEvPKT0_PS4_S4_,comdat
	.protected	_Z6kernelI14exclusive_scanILN6hipcub18BlockScanAlgorithmE0EEhLj256ELj11ELj100EEvPKT0_PS4_S4_ ; -- Begin function _Z6kernelI14exclusive_scanILN6hipcub18BlockScanAlgorithmE0EEhLj256ELj11ELj100EEvPKT0_PS4_S4_
	.globl	_Z6kernelI14exclusive_scanILN6hipcub18BlockScanAlgorithmE0EEhLj256ELj11ELj100EEvPKT0_PS4_S4_
	.p2align	8
	.type	_Z6kernelI14exclusive_scanILN6hipcub18BlockScanAlgorithmE0EEhLj256ELj11ELj100EEvPKT0_PS4_S4_,@function
_Z6kernelI14exclusive_scanILN6hipcub18BlockScanAlgorithmE0EEhLj256ELj11ELj100EEvPKT0_PS4_S4_: ; @_Z6kernelI14exclusive_scanILN6hipcub18BlockScanAlgorithmE0EEhLj256ELj11ELj100EEvPKT0_PS4_S4_
; %bb.0:
	s_load_dword s0, s[4:5], 0x24
	s_load_dword s28, s[4:5], 0x10
	s_load_dwordx4 s[24:27], s[4:5], 0x0
	v_mbcnt_lo_u32_b32 v12, -1, 0
	v_mbcnt_hi_u32_b32 v17, -1, v12
	s_waitcnt lgkmcnt(0)
	s_and_b32 s0, s0, 0xffff
	s_mul_i32 s6, s6, s0
	v_add_u32_e32 v1, s6, v0
	v_mul_lo_u32 v8, v1, 11
	v_and_b32_e32 v26, 15, v17
	v_subrev_co_u32_e64 v27, s[8:9], 1, v17
	v_add_u32_e32 v7, 1, v8
	v_add_u32_e32 v6, 2, v8
	;; [unrolled: 1-line block ×7, first 2 shown]
	global_load_ubyte v18, v8, s[24:25]
	global_load_ubyte v19, v7, s[24:25]
	;; [unrolled: 1-line block ×8, first 2 shown]
	v_add_u32_e32 v11, 8, v8
	v_add_u32_e32 v10, 9, v8
	;; [unrolled: 1-line block ×3, first 2 shown]
	global_load_ubyte v13, v11, s[24:25]
	global_load_ubyte v14, v10, s[24:25]
	;; [unrolled: 1-line block ×3, first 2 shown]
	v_cmp_eq_u32_e64 s[10:11], 0, v26
	v_cmp_lt_u32_e64 s[12:13], 1, v26
	v_cmp_lt_u32_e64 s[14:15], 3, v26
	;; [unrolled: 1-line block ×3, first 2 shown]
	v_and_b32_e32 v26, 64, v17
	s_mov_b32 s24, 0xc0c0004
	v_or_b32_e32 v16, 63, v0
	v_cmp_lt_i32_e64 s[20:21], v27, v26
	v_lshrrev_b32_e32 v12, 6, v0
	v_cmp_eq_u32_e64 s[4:5], v0, v16
	v_and_b32_e32 v16, 16, v17
	v_cmp_lt_u32_e64 s[6:7], 31, v17
	v_and_b32_e32 v28, 3, v17
	v_cndmask_b32_e64 v17, v27, v17, s[20:21]
	v_cmp_gt_u32_e32 vcc, 4, v0
	v_cmp_lt_u32_e64 s[0:1], 63, v0
	v_cmp_eq_u32_e64 s[2:3], 0, v0
	v_cmp_eq_u32_e64 s[18:19], 0, v16
	v_add_u32_e32 v16, -1, v12
	v_cmp_eq_u32_e64 s[20:21], 0, v28
	v_cmp_lt_u32_e64 s[22:23], 1, v28
	v_lshlrev_b32_e32 v17, 2, v17
	s_movk_i32 s29, 0x64
	s_waitcnt vmcnt(9)
	v_perm_b32 v18, v18, v19, s24
	s_waitcnt vmcnt(7)
	v_perm_b32 v19, v20, v21, s24
	v_lshl_or_b32 v18, v19, 16, v18
	s_waitcnt vmcnt(5)
	v_perm_b32 v20, v23, v22, s24
	s_waitcnt vmcnt(3)
	v_perm_b32 v21, v25, v24, s24
	v_lshl_or_b32 v19, v21, 16, v20
.LBB208_1:                              ; =>This Inner Loop Header: Depth=1
	v_lshrrev_b32_e32 v21, 8, v18
	v_add_u16_e32 v22, v21, v18
	v_add_u16_sdwa v22, v22, v18 dst_sel:DWORD dst_unused:UNUSED_PAD src0_sel:DWORD src1_sel:WORD_1
	v_add_u16_sdwa v22, v22, v18 dst_sel:DWORD dst_unused:UNUSED_PAD src0_sel:DWORD src1_sel:BYTE_3
	v_lshrrev_b32_e32 v20, 8, v19
	v_add_u16_e32 v22, v22, v19
	v_add_u16_e32 v22, v22, v20
	v_add_u16_sdwa v22, v22, v19 dst_sel:DWORD dst_unused:UNUSED_PAD src0_sel:DWORD src1_sel:WORD_1
	v_add_u16_sdwa v22, v22, v19 dst_sel:DWORD dst_unused:UNUSED_PAD src0_sel:DWORD src1_sel:BYTE_3
	s_waitcnt vmcnt(2)
	v_add_u16_e32 v22, v22, v13
	s_waitcnt vmcnt(1)
	v_add_u16_e32 v22, v22, v14
	;; [unrolled: 2-line block ×3, first 2 shown]
	v_and_b32_e32 v22, 0xff, v15
	s_nop 1
	v_mov_b32_dpp v22, v22 row_shr:1 row_mask:0xf bank_mask:0xf
	v_cndmask_b32_e64 v22, v22, 0, s[10:11]
	v_add_u16_e32 v15, v15, v22
	v_and_b32_e32 v22, 0xff, v15
	s_nop 1
	v_mov_b32_dpp v22, v22 row_shr:2 row_mask:0xf bank_mask:0xf
	v_cndmask_b32_e64 v22, 0, v22, s[12:13]
	v_add_u16_e32 v15, v15, v22
	;; [unrolled: 5-line block ×4, first 2 shown]
	v_and_b32_e32 v22, 0xff, v15
	s_nop 1
	v_mov_b32_dpp v22, v22 row_bcast:15 row_mask:0xf bank_mask:0xf
	v_cndmask_b32_e64 v22, v22, 0, s[18:19]
	v_add_u16_e32 v15, v15, v22
	v_and_b32_e32 v22, 0xff, v15
	s_nop 1
	v_mov_b32_dpp v22, v22 row_bcast:31 row_mask:0xf bank_mask:0xf
	v_cndmask_b32_e64 v22, 0, v22, s[6:7]
	v_add_u16_e32 v15, v15, v22
	s_and_saveexec_b64 s[24:25], s[4:5]
; %bb.2:                                ;   in Loop: Header=BB208_1 Depth=1
	ds_write_b8 v12, v15
; %bb.3:                                ;   in Loop: Header=BB208_1 Depth=1
	s_or_b64 exec, exec, s[24:25]
	s_waitcnt lgkmcnt(0)
	s_barrier
	s_and_saveexec_b64 s[24:25], vcc
	s_cbranch_execz .LBB208_5
; %bb.4:                                ;   in Loop: Header=BB208_1 Depth=1
	ds_read_u8 v22, v0
	s_waitcnt lgkmcnt(0)
	v_and_b32_e32 v23, 0xff, v22
	s_nop 1
	v_mov_b32_dpp v23, v23 row_shr:1 row_mask:0xf bank_mask:0xf
	v_cndmask_b32_e64 v23, v23, 0, s[20:21]
	v_add_u16_e32 v22, v23, v22
	v_and_b32_e32 v23, 0xff, v22
	s_nop 1
	v_mov_b32_dpp v23, v23 row_shr:2 row_mask:0xf bank_mask:0xf
	v_cndmask_b32_e64 v23, 0, v23, s[22:23]
	v_add_u16_e32 v22, v22, v23
	ds_write_b8 v0, v22
.LBB208_5:                              ;   in Loop: Header=BB208_1 Depth=1
	s_or_b64 exec, exec, s[24:25]
	v_mov_b32_e32 v22, s28
	s_waitcnt lgkmcnt(0)
	s_barrier
	s_and_saveexec_b64 s[24:25], s[0:1]
	s_cbranch_execz .LBB208_7
; %bb.6:                                ;   in Loop: Header=BB208_1 Depth=1
	ds_read_u8 v22, v16
	s_waitcnt lgkmcnt(0)
	v_add_u16_e32 v22, s28, v22
.LBB208_7:                              ;   in Loop: Header=BB208_1 Depth=1
	s_or_b64 exec, exec, s[24:25]
	v_add_u16_e32 v15, v22, v15
	v_and_b32_e32 v15, 0xff, v15
	ds_bpermute_b32 v15, v17, v15
	v_mov_b32_e32 v23, s28
	s_add_i32 s29, s29, -1
	s_cmp_lg_u32 s29, 0
	s_waitcnt lgkmcnt(0)
	v_cndmask_b32_e64 v15, v15, v22, s[8:9]
	v_cndmask_b32_e64 v29, v15, v23, s[2:3]
	v_add_u16_e32 v28, v29, v18
	v_add_u16_e32 v26, v28, v21
	v_add_u16_sdwa v27, v26, v18 dst_sel:DWORD dst_unused:UNUSED_PAD src0_sel:DWORD src1_sel:WORD_1
	v_add_u16_sdwa v25, v27, v18 dst_sel:DWORD dst_unused:UNUSED_PAD src0_sel:DWORD src1_sel:BYTE_3
	v_add_u16_e32 v24, v25, v19
	v_add_u16_e32 v23, v24, v20
	v_add_u16_sdwa v22, v23, v19 dst_sel:DWORD dst_unused:UNUSED_PAD src0_sel:DWORD src1_sel:WORD_1
	v_lshlrev_b16_e32 v15, 8, v28
	v_lshlrev_b16_e32 v18, 8, v27
	v_add_u16_sdwa v21, v22, v19 dst_sel:DWORD dst_unused:UNUSED_PAD src0_sel:DWORD src1_sel:BYTE_3
	v_or_b32_sdwa v30, v29, v15 dst_sel:DWORD dst_unused:UNUSED_PAD src0_sel:BYTE_0 src1_sel:DWORD
	v_add_u16_e32 v20, v21, v13
	v_or_b32_sdwa v13, v26, v18 dst_sel:WORD_1 dst_unused:UNUSED_PAD src0_sel:BYTE_0 src1_sel:DWORD
	v_add_u16_e32 v15, v20, v14
	v_or_b32_sdwa v18, v30, v13 dst_sel:DWORD dst_unused:UNUSED_PAD src0_sel:WORD_0 src1_sel:DWORD
	v_lshlrev_b16_e32 v13, 8, v24
	v_lshlrev_b16_e32 v14, 8, v22
	v_or_b32_sdwa v13, v25, v13 dst_sel:DWORD dst_unused:UNUSED_PAD src0_sel:BYTE_0 src1_sel:DWORD
	v_or_b32_sdwa v14, v23, v14 dst_sel:WORD_1 dst_unused:UNUSED_PAD src0_sel:BYTE_0 src1_sel:DWORD
	v_or_b32_sdwa v19, v13, v14 dst_sel:DWORD dst_unused:UNUSED_PAD src0_sel:WORD_0 src1_sel:DWORD
	s_cbranch_scc0 .LBB208_9
; %bb.8:                                ;   in Loop: Header=BB208_1 Depth=1
	v_mov_b32_e32 v13, v21
	v_mov_b32_e32 v14, v20
	s_branch .LBB208_1
.LBB208_9:
	v_mov_b32_e32 v0, s27
	v_add_co_u32_e32 v12, vcc, s26, v8
	v_addc_co_u32_e32 v13, vcc, 0, v0, vcc
	v_add_co_u32_e32 v7, vcc, s26, v7
	v_addc_co_u32_e32 v8, vcc, 0, v0, vcc
	v_add_co_u32_e32 v6, vcc, s26, v6
	global_store_byte v[7:8], v28, off
	v_addc_co_u32_e32 v7, vcc, 0, v0, vcc
	v_add_co_u32_e32 v5, vcc, s26, v5
	global_store_byte v[6:7], v26, off
	;; [unrolled: 3-line block ×5, first 2 shown]
	v_addc_co_u32_e32 v3, vcc, 0, v0, vcc
	global_store_byte v[2:3], v23, off
	v_mov_b32_e32 v2, s27
	v_add_co_u32_e32 v0, vcc, s26, v1
	v_addc_co_u32_e32 v1, vcc, 0, v2, vcc
	global_store_byte v[0:1], v22, off
	v_mov_b32_e32 v1, s27
	v_add_co_u32_e32 v0, vcc, s26, v11
	;; [unrolled: 4-line block ×4, first 2 shown]
	v_addc_co_u32_e32 v1, vcc, 0, v1, vcc
	global_store_byte v[12:13], v29, off
	global_store_byte v[0:1], v15, off
	s_endpgm
	.section	.rodata,"a",@progbits
	.p2align	6, 0x0
	.amdhsa_kernel _Z6kernelI14exclusive_scanILN6hipcub18BlockScanAlgorithmE0EEhLj256ELj11ELj100EEvPKT0_PS4_S4_
		.amdhsa_group_segment_fixed_size 4
		.amdhsa_private_segment_fixed_size 0
		.amdhsa_kernarg_size 280
		.amdhsa_user_sgpr_count 6
		.amdhsa_user_sgpr_private_segment_buffer 1
		.amdhsa_user_sgpr_dispatch_ptr 0
		.amdhsa_user_sgpr_queue_ptr 0
		.amdhsa_user_sgpr_kernarg_segment_ptr 1
		.amdhsa_user_sgpr_dispatch_id 0
		.amdhsa_user_sgpr_flat_scratch_init 0
		.amdhsa_user_sgpr_private_segment_size 0
		.amdhsa_uses_dynamic_stack 0
		.amdhsa_system_sgpr_private_segment_wavefront_offset 0
		.amdhsa_system_sgpr_workgroup_id_x 1
		.amdhsa_system_sgpr_workgroup_id_y 0
		.amdhsa_system_sgpr_workgroup_id_z 0
		.amdhsa_system_sgpr_workgroup_info 0
		.amdhsa_system_vgpr_workitem_id 0
		.amdhsa_next_free_vgpr 31
		.amdhsa_next_free_sgpr 30
		.amdhsa_reserve_vcc 1
		.amdhsa_reserve_flat_scratch 0
		.amdhsa_float_round_mode_32 0
		.amdhsa_float_round_mode_16_64 0
		.amdhsa_float_denorm_mode_32 3
		.amdhsa_float_denorm_mode_16_64 3
		.amdhsa_dx10_clamp 1
		.amdhsa_ieee_mode 1
		.amdhsa_fp16_overflow 0
		.amdhsa_exception_fp_ieee_invalid_op 0
		.amdhsa_exception_fp_denorm_src 0
		.amdhsa_exception_fp_ieee_div_zero 0
		.amdhsa_exception_fp_ieee_overflow 0
		.amdhsa_exception_fp_ieee_underflow 0
		.amdhsa_exception_fp_ieee_inexact 0
		.amdhsa_exception_int_div_zero 0
	.end_amdhsa_kernel
	.section	.text._Z6kernelI14exclusive_scanILN6hipcub18BlockScanAlgorithmE0EEhLj256ELj11ELj100EEvPKT0_PS4_S4_,"axG",@progbits,_Z6kernelI14exclusive_scanILN6hipcub18BlockScanAlgorithmE0EEhLj256ELj11ELj100EEvPKT0_PS4_S4_,comdat
.Lfunc_end208:
	.size	_Z6kernelI14exclusive_scanILN6hipcub18BlockScanAlgorithmE0EEhLj256ELj11ELj100EEvPKT0_PS4_S4_, .Lfunc_end208-_Z6kernelI14exclusive_scanILN6hipcub18BlockScanAlgorithmE0EEhLj256ELj11ELj100EEvPKT0_PS4_S4_
                                        ; -- End function
	.set _Z6kernelI14exclusive_scanILN6hipcub18BlockScanAlgorithmE0EEhLj256ELj11ELj100EEvPKT0_PS4_S4_.num_vgpr, 31
	.set _Z6kernelI14exclusive_scanILN6hipcub18BlockScanAlgorithmE0EEhLj256ELj11ELj100EEvPKT0_PS4_S4_.num_agpr, 0
	.set _Z6kernelI14exclusive_scanILN6hipcub18BlockScanAlgorithmE0EEhLj256ELj11ELj100EEvPKT0_PS4_S4_.numbered_sgpr, 30
	.set _Z6kernelI14exclusive_scanILN6hipcub18BlockScanAlgorithmE0EEhLj256ELj11ELj100EEvPKT0_PS4_S4_.num_named_barrier, 0
	.set _Z6kernelI14exclusive_scanILN6hipcub18BlockScanAlgorithmE0EEhLj256ELj11ELj100EEvPKT0_PS4_S4_.private_seg_size, 0
	.set _Z6kernelI14exclusive_scanILN6hipcub18BlockScanAlgorithmE0EEhLj256ELj11ELj100EEvPKT0_PS4_S4_.uses_vcc, 1
	.set _Z6kernelI14exclusive_scanILN6hipcub18BlockScanAlgorithmE0EEhLj256ELj11ELj100EEvPKT0_PS4_S4_.uses_flat_scratch, 0
	.set _Z6kernelI14exclusive_scanILN6hipcub18BlockScanAlgorithmE0EEhLj256ELj11ELj100EEvPKT0_PS4_S4_.has_dyn_sized_stack, 0
	.set _Z6kernelI14exclusive_scanILN6hipcub18BlockScanAlgorithmE0EEhLj256ELj11ELj100EEvPKT0_PS4_S4_.has_recursion, 0
	.set _Z6kernelI14exclusive_scanILN6hipcub18BlockScanAlgorithmE0EEhLj256ELj11ELj100EEvPKT0_PS4_S4_.has_indirect_call, 0
	.section	.AMDGPU.csdata,"",@progbits
; Kernel info:
; codeLenInByte = 1236
; TotalNumSgprs: 34
; NumVgprs: 31
; ScratchSize: 0
; MemoryBound: 0
; FloatMode: 240
; IeeeMode: 1
; LDSByteSize: 4 bytes/workgroup (compile time only)
; SGPRBlocks: 4
; VGPRBlocks: 7
; NumSGPRsForWavesPerEU: 34
; NumVGPRsForWavesPerEU: 31
; Occupancy: 8
; WaveLimiterHint : 0
; COMPUTE_PGM_RSRC2:SCRATCH_EN: 0
; COMPUTE_PGM_RSRC2:USER_SGPR: 6
; COMPUTE_PGM_RSRC2:TRAP_HANDLER: 0
; COMPUTE_PGM_RSRC2:TGID_X_EN: 1
; COMPUTE_PGM_RSRC2:TGID_Y_EN: 0
; COMPUTE_PGM_RSRC2:TGID_Z_EN: 0
; COMPUTE_PGM_RSRC2:TIDIG_COMP_CNT: 0
	.section	.text._Z6kernelI14exclusive_scanILN6hipcub18BlockScanAlgorithmE0EEhLj256ELj16ELj100EEvPKT0_PS4_S4_,"axG",@progbits,_Z6kernelI14exclusive_scanILN6hipcub18BlockScanAlgorithmE0EEhLj256ELj16ELj100EEvPKT0_PS4_S4_,comdat
	.protected	_Z6kernelI14exclusive_scanILN6hipcub18BlockScanAlgorithmE0EEhLj256ELj16ELj100EEvPKT0_PS4_S4_ ; -- Begin function _Z6kernelI14exclusive_scanILN6hipcub18BlockScanAlgorithmE0EEhLj256ELj16ELj100EEvPKT0_PS4_S4_
	.globl	_Z6kernelI14exclusive_scanILN6hipcub18BlockScanAlgorithmE0EEhLj256ELj16ELj100EEvPKT0_PS4_S4_
	.p2align	8
	.type	_Z6kernelI14exclusive_scanILN6hipcub18BlockScanAlgorithmE0EEhLj256ELj16ELj100EEvPKT0_PS4_S4_,@function
_Z6kernelI14exclusive_scanILN6hipcub18BlockScanAlgorithmE0EEhLj256ELj16ELj100EEvPKT0_PS4_S4_: ; @_Z6kernelI14exclusive_scanILN6hipcub18BlockScanAlgorithmE0EEhLj256ELj16ELj100EEvPKT0_PS4_S4_
; %bb.0:
	s_load_dword s0, s[4:5], 0x24
	s_load_dwordx4 s[24:27], s[4:5], 0x0
	s_load_dword s28, s[4:5], 0x10
	v_mbcnt_lo_u32_b32 v6, -1, 0
	v_mbcnt_hi_u32_b32 v8, -1, v6
	s_waitcnt lgkmcnt(0)
	s_and_b32 s0, s0, 0xffff
	s_mul_i32 s6, s6, s0
	v_add_lshl_u32 v5, s6, v0, 4
	global_load_dwordx4 v[1:4], v5, s[24:25]
	v_or_b32_e32 v7, 63, v0
	v_and_b32_e32 v6, 15, v8
	v_cmp_eq_u32_e64 s[10:11], v0, v7
	v_subrev_co_u32_e64 v7, s[16:17], 1, v8
	v_and_b32_e32 v9, 64, v8
	v_cmp_eq_u32_e32 vcc, 0, v6
	v_cmp_lt_u32_e64 s[0:1], 1, v6
	v_cmp_lt_u32_e64 s[2:3], 3, v6
	;; [unrolled: 1-line block ×3, first 2 shown]
	v_and_b32_e32 v6, 16, v8
	v_cmp_lt_i32_e64 s[18:19], v7, v9
	v_cmp_eq_u32_e64 s[6:7], 0, v6
	v_cmp_lt_u32_e64 s[8:9], 31, v8
	v_lshrrev_b32_e32 v6, 6, v0
	v_cndmask_b32_e64 v7, v7, v8, s[18:19]
	v_and_b32_e32 v8, 3, v8
	v_cmp_gt_u32_e64 s[12:13], 4, v0
	v_cmp_lt_u32_e64 s[14:15], 63, v0
	v_lshlrev_b32_e32 v7, 2, v7
	v_cmp_eq_u32_e64 s[18:19], 0, v0
	v_cmp_eq_u32_e64 s[20:21], 0, v8
	v_cmp_lt_u32_e64 s[22:23], 1, v8
	v_add_u32_e32 v8, -1, v6
	s_movk_i32 s29, 0x64
	s_branch .LBB209_2
.LBB209_1:                              ;   in Loop: Header=BB209_2 Depth=1
	s_or_b64 exec, exec, s[24:25]
	v_add_u16_e32 v13, v14, v13
	v_and_b32_e32 v13, 0xff, v13
	ds_bpermute_b32 v13, v7, v13
	v_mov_b32_e32 v15, s28
	s_add_i32 s29, s29, -1
	s_cmp_lg_u32 s29, 0
	s_waitcnt lgkmcnt(0)
	v_cndmask_b32_e64 v13, v13, v14, s[16:17]
	v_cndmask_b32_e64 v13, v13, v15, s[18:19]
	v_add_u16_e32 v14, v13, v1
	v_add_u16_e32 v12, v14, v12
	v_add_u16_sdwa v15, v12, v1 dst_sel:DWORD dst_unused:UNUSED_PAD src0_sel:DWORD src1_sel:WORD_1
	v_lshlrev_b16_e32 v16, 8, v14
	v_lshlrev_b16_e32 v18, 8, v15
	v_or_b32_sdwa v17, v13, v16 dst_sel:DWORD dst_unused:UNUSED_PAD src0_sel:BYTE_0 src1_sel:DWORD
	v_add_u16_sdwa v16, v15, v1 dst_sel:DWORD dst_unused:UNUSED_PAD src0_sel:DWORD src1_sel:BYTE_3
	v_or_b32_sdwa v1, v12, v18 dst_sel:WORD_1 dst_unused:UNUSED_PAD src0_sel:BYTE_0 src1_sel:DWORD
	v_or_b32_sdwa v1, v17, v1 dst_sel:DWORD dst_unused:UNUSED_PAD src0_sel:WORD_0 src1_sel:DWORD
	v_add_u16_e32 v17, v16, v2
	v_add_u16_e32 v11, v17, v11
	v_lshlrev_b16_e32 v18, 8, v17
	v_or_b32_sdwa v20, v16, v18 dst_sel:DWORD dst_unused:UNUSED_PAD src0_sel:BYTE_0 src1_sel:DWORD
	v_add_u16_sdwa v18, v11, v2 dst_sel:DWORD dst_unused:UNUSED_PAD src0_sel:DWORD src1_sel:WORD_1
	v_lshlrev_b16_e32 v19, 8, v18
	v_or_b32_sdwa v21, v11, v19 dst_sel:WORD_1 dst_unused:UNUSED_PAD src0_sel:BYTE_0 src1_sel:DWORD
	v_add_u16_sdwa v19, v18, v2 dst_sel:DWORD dst_unused:UNUSED_PAD src0_sel:DWORD src1_sel:BYTE_3
	v_or_b32_sdwa v2, v20, v21 dst_sel:DWORD dst_unused:UNUSED_PAD src0_sel:WORD_0 src1_sel:DWORD
	v_add_u16_e32 v20, v19, v3
	v_add_u16_e32 v10, v20, v10
	v_lshlrev_b16_e32 v21, 8, v20
	v_or_b32_sdwa v23, v19, v21 dst_sel:DWORD dst_unused:UNUSED_PAD src0_sel:BYTE_0 src1_sel:DWORD
	v_add_u16_sdwa v21, v10, v3 dst_sel:DWORD dst_unused:UNUSED_PAD src0_sel:DWORD src1_sel:WORD_1
	v_lshlrev_b16_e32 v22, 8, v21
	v_or_b32_sdwa v24, v10, v22 dst_sel:WORD_1 dst_unused:UNUSED_PAD src0_sel:BYTE_0 src1_sel:DWORD
	v_add_u16_sdwa v22, v21, v3 dst_sel:DWORD dst_unused:UNUSED_PAD src0_sel:DWORD src1_sel:BYTE_3
	v_or_b32_sdwa v3, v23, v24 dst_sel:DWORD dst_unused:UNUSED_PAD src0_sel:WORD_0 src1_sel:DWORD
	v_add_u16_e32 v23, v22, v4
	v_add_u16_e32 v9, v23, v9
	v_lshlrev_b16_e32 v24, 8, v23
	v_or_b32_sdwa v25, v22, v24 dst_sel:DWORD dst_unused:UNUSED_PAD src0_sel:BYTE_0 src1_sel:DWORD
	v_add_u16_sdwa v24, v9, v4 dst_sel:DWORD dst_unused:UNUSED_PAD src0_sel:DWORD src1_sel:WORD_1
	v_lshlrev_b16_e32 v4, 8, v24
	v_or_b32_sdwa v4, v9, v4 dst_sel:WORD_1 dst_unused:UNUSED_PAD src0_sel:BYTE_0 src1_sel:DWORD
	v_or_b32_sdwa v4, v25, v4 dst_sel:DWORD dst_unused:UNUSED_PAD src0_sel:WORD_0 src1_sel:DWORD
	s_cbranch_scc0 .LBB209_8
.LBB209_2:                              ; =>This Inner Loop Header: Depth=1
	s_waitcnt vmcnt(0)
	v_lshrrev_b32_e32 v12, 8, v1
	v_add_u16_e32 v13, v12, v1
	v_add_u16_sdwa v13, v13, v1 dst_sel:DWORD dst_unused:UNUSED_PAD src0_sel:DWORD src1_sel:WORD_1
	v_add_u16_sdwa v13, v13, v1 dst_sel:DWORD dst_unused:UNUSED_PAD src0_sel:DWORD src1_sel:BYTE_3
	v_lshrrev_b32_e32 v11, 8, v2
	v_add_u16_e32 v13, v13, v2
	v_add_u16_e32 v13, v13, v11
	v_add_u16_sdwa v13, v13, v2 dst_sel:DWORD dst_unused:UNUSED_PAD src0_sel:DWORD src1_sel:WORD_1
	v_add_u16_sdwa v13, v13, v2 dst_sel:DWORD dst_unused:UNUSED_PAD src0_sel:DWORD src1_sel:BYTE_3
	v_lshrrev_b32_e32 v10, 8, v3
	v_add_u16_e32 v13, v13, v3
	;; [unrolled: 5-line block ×3, first 2 shown]
	v_add_u16_e32 v13, v13, v9
	v_add_u16_sdwa v13, v13, v4 dst_sel:DWORD dst_unused:UNUSED_PAD src0_sel:DWORD src1_sel:WORD_1
	v_add_u16_sdwa v13, v13, v4 dst_sel:DWORD dst_unused:UNUSED_PAD src0_sel:DWORD src1_sel:BYTE_3
	v_and_b32_e32 v14, 0xff, v13
	s_nop 1
	v_mov_b32_dpp v14, v14 row_shr:1 row_mask:0xf bank_mask:0xf
	v_cndmask_b32_e64 v14, v14, 0, vcc
	v_add_u16_e32 v13, v13, v14
	v_and_b32_e32 v14, 0xff, v13
	s_nop 1
	v_mov_b32_dpp v14, v14 row_shr:2 row_mask:0xf bank_mask:0xf
	v_cndmask_b32_e64 v14, 0, v14, s[0:1]
	v_add_u16_e32 v13, v13, v14
	v_and_b32_e32 v14, 0xff, v13
	s_nop 1
	v_mov_b32_dpp v14, v14 row_shr:4 row_mask:0xf bank_mask:0xf
	v_cndmask_b32_e64 v14, 0, v14, s[2:3]
	;; [unrolled: 5-line block ×3, first 2 shown]
	v_add_u16_e32 v13, v13, v14
	v_and_b32_e32 v14, 0xff, v13
	s_nop 1
	v_mov_b32_dpp v14, v14 row_bcast:15 row_mask:0xf bank_mask:0xf
	v_cndmask_b32_e64 v14, v14, 0, s[6:7]
	v_add_u16_e32 v13, v13, v14
	v_and_b32_e32 v14, 0xff, v13
	s_nop 1
	v_mov_b32_dpp v14, v14 row_bcast:31 row_mask:0xf bank_mask:0xf
	v_cndmask_b32_e64 v14, 0, v14, s[8:9]
	v_add_u16_e32 v13, v13, v14
	s_and_saveexec_b64 s[24:25], s[10:11]
; %bb.3:                                ;   in Loop: Header=BB209_2 Depth=1
	ds_write_b8 v6, v13
; %bb.4:                                ;   in Loop: Header=BB209_2 Depth=1
	s_or_b64 exec, exec, s[24:25]
	s_waitcnt lgkmcnt(0)
	s_barrier
	s_and_saveexec_b64 s[24:25], s[12:13]
	s_cbranch_execz .LBB209_6
; %bb.5:                                ;   in Loop: Header=BB209_2 Depth=1
	ds_read_u8 v14, v0
	s_waitcnt lgkmcnt(0)
	v_and_b32_e32 v15, 0xff, v14
	s_nop 1
	v_mov_b32_dpp v15, v15 row_shr:1 row_mask:0xf bank_mask:0xf
	v_cndmask_b32_e64 v15, v15, 0, s[20:21]
	v_add_u16_e32 v14, v15, v14
	v_and_b32_e32 v15, 0xff, v14
	s_nop 1
	v_mov_b32_dpp v15, v15 row_shr:2 row_mask:0xf bank_mask:0xf
	v_cndmask_b32_e64 v15, 0, v15, s[22:23]
	v_add_u16_e32 v14, v14, v15
	ds_write_b8 v0, v14
.LBB209_6:                              ;   in Loop: Header=BB209_2 Depth=1
	s_or_b64 exec, exec, s[24:25]
	v_mov_b32_e32 v14, s28
	s_waitcnt lgkmcnt(0)
	s_barrier
	s_and_saveexec_b64 s[24:25], s[14:15]
	s_cbranch_execz .LBB209_1
; %bb.7:                                ;   in Loop: Header=BB209_2 Depth=1
	ds_read_u8 v14, v8
	s_waitcnt lgkmcnt(0)
	v_add_u16_e32 v14, s28, v14
	s_branch .LBB209_1
.LBB209_8:
	v_mov_b32_e32 v0, s27
	v_add_co_u32_e32 v4, vcc, s26, v5
	s_mov_b32 s0, 0xc0c0004
	v_addc_co_u32_e32 v5, vcc, 0, v0, vcc
	v_perm_b32 v0, v22, v23, s0
	v_perm_b32 v1, v9, v24, s0
	v_lshl_or_b32 v3, v1, 16, v0
	v_perm_b32 v0, v19, v20, s0
	v_perm_b32 v1, v10, v21, s0
	v_lshl_or_b32 v2, v1, 16, v0
	;; [unrolled: 3-line block ×4, first 2 shown]
	global_store_dwordx4 v[4:5], v[0:3], off
	s_endpgm
	.section	.rodata,"a",@progbits
	.p2align	6, 0x0
	.amdhsa_kernel _Z6kernelI14exclusive_scanILN6hipcub18BlockScanAlgorithmE0EEhLj256ELj16ELj100EEvPKT0_PS4_S4_
		.amdhsa_group_segment_fixed_size 4
		.amdhsa_private_segment_fixed_size 0
		.amdhsa_kernarg_size 280
		.amdhsa_user_sgpr_count 6
		.amdhsa_user_sgpr_private_segment_buffer 1
		.amdhsa_user_sgpr_dispatch_ptr 0
		.amdhsa_user_sgpr_queue_ptr 0
		.amdhsa_user_sgpr_kernarg_segment_ptr 1
		.amdhsa_user_sgpr_dispatch_id 0
		.amdhsa_user_sgpr_flat_scratch_init 0
		.amdhsa_user_sgpr_private_segment_size 0
		.amdhsa_uses_dynamic_stack 0
		.amdhsa_system_sgpr_private_segment_wavefront_offset 0
		.amdhsa_system_sgpr_workgroup_id_x 1
		.amdhsa_system_sgpr_workgroup_id_y 0
		.amdhsa_system_sgpr_workgroup_id_z 0
		.amdhsa_system_sgpr_workgroup_info 0
		.amdhsa_system_vgpr_workitem_id 0
		.amdhsa_next_free_vgpr 26
		.amdhsa_next_free_sgpr 30
		.amdhsa_reserve_vcc 1
		.amdhsa_reserve_flat_scratch 0
		.amdhsa_float_round_mode_32 0
		.amdhsa_float_round_mode_16_64 0
		.amdhsa_float_denorm_mode_32 3
		.amdhsa_float_denorm_mode_16_64 3
		.amdhsa_dx10_clamp 1
		.amdhsa_ieee_mode 1
		.amdhsa_fp16_overflow 0
		.amdhsa_exception_fp_ieee_invalid_op 0
		.amdhsa_exception_fp_denorm_src 0
		.amdhsa_exception_fp_ieee_div_zero 0
		.amdhsa_exception_fp_ieee_overflow 0
		.amdhsa_exception_fp_ieee_underflow 0
		.amdhsa_exception_fp_ieee_inexact 0
		.amdhsa_exception_int_div_zero 0
	.end_amdhsa_kernel
	.section	.text._Z6kernelI14exclusive_scanILN6hipcub18BlockScanAlgorithmE0EEhLj256ELj16ELj100EEvPKT0_PS4_S4_,"axG",@progbits,_Z6kernelI14exclusive_scanILN6hipcub18BlockScanAlgorithmE0EEhLj256ELj16ELj100EEvPKT0_PS4_S4_,comdat
.Lfunc_end209:
	.size	_Z6kernelI14exclusive_scanILN6hipcub18BlockScanAlgorithmE0EEhLj256ELj16ELj100EEvPKT0_PS4_S4_, .Lfunc_end209-_Z6kernelI14exclusive_scanILN6hipcub18BlockScanAlgorithmE0EEhLj256ELj16ELj100EEvPKT0_PS4_S4_
                                        ; -- End function
	.set _Z6kernelI14exclusive_scanILN6hipcub18BlockScanAlgorithmE0EEhLj256ELj16ELj100EEvPKT0_PS4_S4_.num_vgpr, 26
	.set _Z6kernelI14exclusive_scanILN6hipcub18BlockScanAlgorithmE0EEhLj256ELj16ELj100EEvPKT0_PS4_S4_.num_agpr, 0
	.set _Z6kernelI14exclusive_scanILN6hipcub18BlockScanAlgorithmE0EEhLj256ELj16ELj100EEvPKT0_PS4_S4_.numbered_sgpr, 30
	.set _Z6kernelI14exclusive_scanILN6hipcub18BlockScanAlgorithmE0EEhLj256ELj16ELj100EEvPKT0_PS4_S4_.num_named_barrier, 0
	.set _Z6kernelI14exclusive_scanILN6hipcub18BlockScanAlgorithmE0EEhLj256ELj16ELj100EEvPKT0_PS4_S4_.private_seg_size, 0
	.set _Z6kernelI14exclusive_scanILN6hipcub18BlockScanAlgorithmE0EEhLj256ELj16ELj100EEvPKT0_PS4_S4_.uses_vcc, 1
	.set _Z6kernelI14exclusive_scanILN6hipcub18BlockScanAlgorithmE0EEhLj256ELj16ELj100EEvPKT0_PS4_S4_.uses_flat_scratch, 0
	.set _Z6kernelI14exclusive_scanILN6hipcub18BlockScanAlgorithmE0EEhLj256ELj16ELj100EEvPKT0_PS4_S4_.has_dyn_sized_stack, 0
	.set _Z6kernelI14exclusive_scanILN6hipcub18BlockScanAlgorithmE0EEhLj256ELj16ELj100EEvPKT0_PS4_S4_.has_recursion, 0
	.set _Z6kernelI14exclusive_scanILN6hipcub18BlockScanAlgorithmE0EEhLj256ELj16ELj100EEvPKT0_PS4_S4_.has_indirect_call, 0
	.section	.AMDGPU.csdata,"",@progbits
; Kernel info:
; codeLenInByte = 1096
; TotalNumSgprs: 34
; NumVgprs: 26
; ScratchSize: 0
; MemoryBound: 0
; FloatMode: 240
; IeeeMode: 1
; LDSByteSize: 4 bytes/workgroup (compile time only)
; SGPRBlocks: 4
; VGPRBlocks: 6
; NumSGPRsForWavesPerEU: 34
; NumVGPRsForWavesPerEU: 26
; Occupancy: 9
; WaveLimiterHint : 0
; COMPUTE_PGM_RSRC2:SCRATCH_EN: 0
; COMPUTE_PGM_RSRC2:USER_SGPR: 6
; COMPUTE_PGM_RSRC2:TRAP_HANDLER: 0
; COMPUTE_PGM_RSRC2:TGID_X_EN: 1
; COMPUTE_PGM_RSRC2:TGID_Y_EN: 0
; COMPUTE_PGM_RSRC2:TGID_Z_EN: 0
; COMPUTE_PGM_RSRC2:TIDIG_COMP_CNT: 0
	.section	.text._Z6kernelI14exclusive_scanILN6hipcub18BlockScanAlgorithmE0EEN15benchmark_utils11custom_typeIffEELj256ELj1ELj100EEvPKT0_PS7_S7_,"axG",@progbits,_Z6kernelI14exclusive_scanILN6hipcub18BlockScanAlgorithmE0EEN15benchmark_utils11custom_typeIffEELj256ELj1ELj100EEvPKT0_PS7_S7_,comdat
	.protected	_Z6kernelI14exclusive_scanILN6hipcub18BlockScanAlgorithmE0EEN15benchmark_utils11custom_typeIffEELj256ELj1ELj100EEvPKT0_PS7_S7_ ; -- Begin function _Z6kernelI14exclusive_scanILN6hipcub18BlockScanAlgorithmE0EEN15benchmark_utils11custom_typeIffEELj256ELj1ELj100EEvPKT0_PS7_S7_
	.globl	_Z6kernelI14exclusive_scanILN6hipcub18BlockScanAlgorithmE0EEN15benchmark_utils11custom_typeIffEELj256ELj1ELj100EEvPKT0_PS7_S7_
	.p2align	8
	.type	_Z6kernelI14exclusive_scanILN6hipcub18BlockScanAlgorithmE0EEN15benchmark_utils11custom_typeIffEELj256ELj1ELj100EEvPKT0_PS7_S7_,@function
_Z6kernelI14exclusive_scanILN6hipcub18BlockScanAlgorithmE0EEN15benchmark_utils11custom_typeIffEELj256ELj1ELj100EEvPKT0_PS7_S7_: ; @_Z6kernelI14exclusive_scanILN6hipcub18BlockScanAlgorithmE0EEN15benchmark_utils11custom_typeIffEELj256ELj1ELj100EEvPKT0_PS7_S7_
; %bb.0:
	s_load_dword s0, s[4:5], 0x24
	s_load_dwordx4 s[20:23], s[4:5], 0x0
	s_load_dwordx2 s[24:25], s[4:5], 0x10
	v_mov_b32_e32 v2, 0
	v_mbcnt_lo_u32_b32 v5, -1, 0
	s_waitcnt lgkmcnt(0)
	s_and_b32 s0, s0, 0xffff
	s_mul_i32 s6, s6, s0
	v_add_u32_e32 v1, s6, v0
	v_lshlrev_b64 v[1:2], 3, v[1:2]
	v_mov_b32_e32 v4, s21
	v_add_co_u32_e32 v3, vcc, s20, v1
	v_addc_co_u32_e32 v4, vcc, v4, v2, vcc
	global_load_dwordx2 v[3:4], v[3:4], off
	v_mbcnt_hi_u32_b32 v5, -1, v5
	v_and_b32_e32 v6, 15, v5
	v_cmp_ne_u32_e32 vcc, 0, v6
	v_cmp_lt_u32_e64 s[0:1], 1, v6
	v_cmp_lt_u32_e64 s[2:3], 3, v6
	;; [unrolled: 1-line block ×3, first 2 shown]
	v_and_b32_e32 v6, 16, v5
	v_cmp_ne_u32_e64 s[6:7], 0, v6
	v_or_b32_e32 v6, 63, v0
	v_cmp_eq_u32_e64 s[10:11], v0, v6
	v_subrev_co_u32_e64 v6, s[16:17], 1, v5
	v_and_b32_e32 v7, 64, v5
	v_cmp_lt_i32_e64 s[18:19], v6, v7
	v_cndmask_b32_e64 v6, v6, v5, s[18:19]
	v_lshlrev_b32_e32 v7, 2, v6
	v_lshrrev_b32_e32 v6, 3, v0
	v_cmp_lt_u32_e64 s[8:9], 31, v5
	v_and_b32_e32 v8, 24, v6
	v_and_b32_e32 v5, 3, v5
	v_cmp_gt_u32_e64 s[12:13], 4, v0
	v_cmp_lt_u32_e64 s[14:15], 63, v0
	v_lshlrev_b32_e32 v0, 3, v0
	v_cmp_ne_u32_e64 s[18:19], 0, v5
	v_cmp_lt_u32_e64 s[20:21], 1, v5
	v_add_u32_e32 v9, -8, v8
	s_movk_i32 s30, 0x64
	s_branch .LBB210_2
.LBB210_1:                              ;   in Loop: Header=BB210_2 Depth=1
	s_or_b64 exec, exec, s[26:27]
	v_add_f32_e32 v3, v3, v5
	v_add_f32_e32 v4, v4, v6
	ds_bpermute_b32 v4, v7, v4
	ds_bpermute_b32 v3, v7, v3
	s_add_i32 s30, s30, -1
	s_cmp_lg_u32 s30, 0
	s_waitcnt lgkmcnt(1)
	v_cndmask_b32_e64 v4, v4, v6, s[16:17]
	s_waitcnt lgkmcnt(0)
	v_cndmask_b32_e64 v3, v3, v5, s[16:17]
	s_cbranch_scc0 .LBB210_22
.LBB210_2:                              ; =>This Inner Loop Header: Depth=1
	s_waitcnt vmcnt(0)
	v_mov_b32_dpp v5, v3 row_shr:1 row_mask:0xf bank_mask:0xf
	v_mov_b32_dpp v6, v4 row_shr:1 row_mask:0xf bank_mask:0xf
	s_and_saveexec_b64 s[26:27], vcc
; %bb.3:                                ;   in Loop: Header=BB210_2 Depth=1
	v_add_f32_e32 v4, v4, v6
	v_add_f32_e32 v3, v3, v5
; %bb.4:                                ;   in Loop: Header=BB210_2 Depth=1
	s_or_b64 exec, exec, s[26:27]
	s_nop 0
	v_mov_b32_dpp v5, v3 row_shr:2 row_mask:0xf bank_mask:0xf
	v_mov_b32_dpp v6, v4 row_shr:2 row_mask:0xf bank_mask:0xf
	s_and_saveexec_b64 s[26:27], s[0:1]
; %bb.5:                                ;   in Loop: Header=BB210_2 Depth=1
	v_add_f32_e32 v4, v4, v6
	v_add_f32_e32 v3, v3, v5
; %bb.6:                                ;   in Loop: Header=BB210_2 Depth=1
	s_or_b64 exec, exec, s[26:27]
	s_nop 0
	v_mov_b32_dpp v5, v3 row_shr:4 row_mask:0xf bank_mask:0xf
	v_mov_b32_dpp v6, v4 row_shr:4 row_mask:0xf bank_mask:0xf
	s_and_saveexec_b64 s[26:27], s[2:3]
	;; [unrolled: 9-line block ×3, first 2 shown]
; %bb.9:                                ;   in Loop: Header=BB210_2 Depth=1
	v_add_f32_e32 v4, v4, v6
	v_add_f32_e32 v3, v3, v5
; %bb.10:                               ;   in Loop: Header=BB210_2 Depth=1
	s_or_b64 exec, exec, s[26:27]
	s_nop 0
	v_mov_b32_dpp v5, v3 row_bcast:15 row_mask:0xf bank_mask:0xf
	v_mov_b32_dpp v6, v4 row_bcast:15 row_mask:0xf bank_mask:0xf
	s_and_saveexec_b64 s[26:27], s[6:7]
; %bb.11:                               ;   in Loop: Header=BB210_2 Depth=1
	v_add_f32_e32 v4, v4, v6
	v_add_f32_e32 v3, v3, v5
; %bb.12:                               ;   in Loop: Header=BB210_2 Depth=1
	s_or_b64 exec, exec, s[26:27]
	s_nop 0
	v_mov_b32_dpp v6, v3 row_bcast:31 row_mask:0xf bank_mask:0xf
	v_mov_b32_dpp v5, v4 row_bcast:31 row_mask:0xf bank_mask:0xf
	s_and_saveexec_b64 s[26:27], s[8:9]
; %bb.13:                               ;   in Loop: Header=BB210_2 Depth=1
	v_add_f32_e32 v3, v3, v6
	v_add_f32_e32 v4, v4, v5
; %bb.14:                               ;   in Loop: Header=BB210_2 Depth=1
	s_or_b64 exec, exec, s[26:27]
	s_and_saveexec_b64 s[26:27], s[10:11]
; %bb.15:                               ;   in Loop: Header=BB210_2 Depth=1
	ds_write_b64 v8, v[3:4]
; %bb.16:                               ;   in Loop: Header=BB210_2 Depth=1
	s_or_b64 exec, exec, s[26:27]
	s_waitcnt lgkmcnt(0)
	s_barrier
	s_and_saveexec_b64 s[26:27], s[12:13]
	s_cbranch_execz .LBB210_20
; %bb.17:                               ;   in Loop: Header=BB210_2 Depth=1
	ds_read_b64 v[5:6], v0
	s_waitcnt lgkmcnt(0)
	s_nop 0
	v_mov_b32_dpp v10, v5 row_shr:1 row_mask:0xf bank_mask:0xf
	v_mov_b32_dpp v11, v6 row_shr:1 row_mask:0xf bank_mask:0xf
	s_and_saveexec_b64 s[28:29], s[18:19]
; %bb.18:                               ;   in Loop: Header=BB210_2 Depth=1
	v_add_f32_e32 v6, v6, v11
	v_add_f32_e32 v5, v5, v10
; %bb.19:                               ;   in Loop: Header=BB210_2 Depth=1
	s_or_b64 exec, exec, s[28:29]
	s_nop 0
	v_mov_b32_dpp v10, v5 row_shr:2 row_mask:0xf bank_mask:0xf
	v_mov_b32_dpp v11, v6 row_shr:2 row_mask:0xf bank_mask:0xf
	v_add_f32_e32 v11, v6, v11
	v_add_f32_e32 v10, v5, v10
	v_cndmask_b32_e64 v5, v5, v10, s[20:21]
	v_cndmask_b32_e64 v6, v6, v11, s[20:21]
	ds_write_b64 v0, v[5:6]
.LBB210_20:                             ;   in Loop: Header=BB210_2 Depth=1
	s_or_b64 exec, exec, s[26:27]
	v_mov_b32_e32 v5, s24
	v_mov_b32_e32 v6, s25
	s_waitcnt lgkmcnt(0)
	s_barrier
	s_and_saveexec_b64 s[26:27], s[14:15]
	s_cbranch_execz .LBB210_1
; %bb.21:                               ;   in Loop: Header=BB210_2 Depth=1
	ds_read_b64 v[5:6], v9
	s_waitcnt lgkmcnt(0)
	v_add_f32_e32 v5, s24, v5
	v_add_f32_e32 v6, s25, v6
	s_branch .LBB210_1
.LBB210_22:
	v_mov_b32_e32 v5, s23
	v_add_co_u32_e32 v0, vcc, s22, v1
	v_addc_co_u32_e32 v1, vcc, v5, v2, vcc
	global_store_dwordx2 v[0:1], v[3:4], off
	s_endpgm
	.section	.rodata,"a",@progbits
	.p2align	6, 0x0
	.amdhsa_kernel _Z6kernelI14exclusive_scanILN6hipcub18BlockScanAlgorithmE0EEN15benchmark_utils11custom_typeIffEELj256ELj1ELj100EEvPKT0_PS7_S7_
		.amdhsa_group_segment_fixed_size 32
		.amdhsa_private_segment_fixed_size 0
		.amdhsa_kernarg_size 280
		.amdhsa_user_sgpr_count 6
		.amdhsa_user_sgpr_private_segment_buffer 1
		.amdhsa_user_sgpr_dispatch_ptr 0
		.amdhsa_user_sgpr_queue_ptr 0
		.amdhsa_user_sgpr_kernarg_segment_ptr 1
		.amdhsa_user_sgpr_dispatch_id 0
		.amdhsa_user_sgpr_flat_scratch_init 0
		.amdhsa_user_sgpr_private_segment_size 0
		.amdhsa_uses_dynamic_stack 0
		.amdhsa_system_sgpr_private_segment_wavefront_offset 0
		.amdhsa_system_sgpr_workgroup_id_x 1
		.amdhsa_system_sgpr_workgroup_id_y 0
		.amdhsa_system_sgpr_workgroup_id_z 0
		.amdhsa_system_sgpr_workgroup_info 0
		.amdhsa_system_vgpr_workitem_id 0
		.amdhsa_next_free_vgpr 12
		.amdhsa_next_free_sgpr 31
		.amdhsa_reserve_vcc 1
		.amdhsa_reserve_flat_scratch 0
		.amdhsa_float_round_mode_32 0
		.amdhsa_float_round_mode_16_64 0
		.amdhsa_float_denorm_mode_32 3
		.amdhsa_float_denorm_mode_16_64 3
		.amdhsa_dx10_clamp 1
		.amdhsa_ieee_mode 1
		.amdhsa_fp16_overflow 0
		.amdhsa_exception_fp_ieee_invalid_op 0
		.amdhsa_exception_fp_denorm_src 0
		.amdhsa_exception_fp_ieee_div_zero 0
		.amdhsa_exception_fp_ieee_overflow 0
		.amdhsa_exception_fp_ieee_underflow 0
		.amdhsa_exception_fp_ieee_inexact 0
		.amdhsa_exception_int_div_zero 0
	.end_amdhsa_kernel
	.section	.text._Z6kernelI14exclusive_scanILN6hipcub18BlockScanAlgorithmE0EEN15benchmark_utils11custom_typeIffEELj256ELj1ELj100EEvPKT0_PS7_S7_,"axG",@progbits,_Z6kernelI14exclusive_scanILN6hipcub18BlockScanAlgorithmE0EEN15benchmark_utils11custom_typeIffEELj256ELj1ELj100EEvPKT0_PS7_S7_,comdat
.Lfunc_end210:
	.size	_Z6kernelI14exclusive_scanILN6hipcub18BlockScanAlgorithmE0EEN15benchmark_utils11custom_typeIffEELj256ELj1ELj100EEvPKT0_PS7_S7_, .Lfunc_end210-_Z6kernelI14exclusive_scanILN6hipcub18BlockScanAlgorithmE0EEN15benchmark_utils11custom_typeIffEELj256ELj1ELj100EEvPKT0_PS7_S7_
                                        ; -- End function
	.set _Z6kernelI14exclusive_scanILN6hipcub18BlockScanAlgorithmE0EEN15benchmark_utils11custom_typeIffEELj256ELj1ELj100EEvPKT0_PS7_S7_.num_vgpr, 12
	.set _Z6kernelI14exclusive_scanILN6hipcub18BlockScanAlgorithmE0EEN15benchmark_utils11custom_typeIffEELj256ELj1ELj100EEvPKT0_PS7_S7_.num_agpr, 0
	.set _Z6kernelI14exclusive_scanILN6hipcub18BlockScanAlgorithmE0EEN15benchmark_utils11custom_typeIffEELj256ELj1ELj100EEvPKT0_PS7_S7_.numbered_sgpr, 31
	.set _Z6kernelI14exclusive_scanILN6hipcub18BlockScanAlgorithmE0EEN15benchmark_utils11custom_typeIffEELj256ELj1ELj100EEvPKT0_PS7_S7_.num_named_barrier, 0
	.set _Z6kernelI14exclusive_scanILN6hipcub18BlockScanAlgorithmE0EEN15benchmark_utils11custom_typeIffEELj256ELj1ELj100EEvPKT0_PS7_S7_.private_seg_size, 0
	.set _Z6kernelI14exclusive_scanILN6hipcub18BlockScanAlgorithmE0EEN15benchmark_utils11custom_typeIffEELj256ELj1ELj100EEvPKT0_PS7_S7_.uses_vcc, 1
	.set _Z6kernelI14exclusive_scanILN6hipcub18BlockScanAlgorithmE0EEN15benchmark_utils11custom_typeIffEELj256ELj1ELj100EEvPKT0_PS7_S7_.uses_flat_scratch, 0
	.set _Z6kernelI14exclusive_scanILN6hipcub18BlockScanAlgorithmE0EEN15benchmark_utils11custom_typeIffEELj256ELj1ELj100EEvPKT0_PS7_S7_.has_dyn_sized_stack, 0
	.set _Z6kernelI14exclusive_scanILN6hipcub18BlockScanAlgorithmE0EEN15benchmark_utils11custom_typeIffEELj256ELj1ELj100EEvPKT0_PS7_S7_.has_recursion, 0
	.set _Z6kernelI14exclusive_scanILN6hipcub18BlockScanAlgorithmE0EEN15benchmark_utils11custom_typeIffEELj256ELj1ELj100EEvPKT0_PS7_S7_.has_indirect_call, 0
	.section	.AMDGPU.csdata,"",@progbits
; Kernel info:
; codeLenInByte = 736
; TotalNumSgprs: 35
; NumVgprs: 12
; ScratchSize: 0
; MemoryBound: 0
; FloatMode: 240
; IeeeMode: 1
; LDSByteSize: 32 bytes/workgroup (compile time only)
; SGPRBlocks: 4
; VGPRBlocks: 2
; NumSGPRsForWavesPerEU: 35
; NumVGPRsForWavesPerEU: 12
; Occupancy: 10
; WaveLimiterHint : 0
; COMPUTE_PGM_RSRC2:SCRATCH_EN: 0
; COMPUTE_PGM_RSRC2:USER_SGPR: 6
; COMPUTE_PGM_RSRC2:TRAP_HANDLER: 0
; COMPUTE_PGM_RSRC2:TGID_X_EN: 1
; COMPUTE_PGM_RSRC2:TGID_Y_EN: 0
; COMPUTE_PGM_RSRC2:TGID_Z_EN: 0
; COMPUTE_PGM_RSRC2:TIDIG_COMP_CNT: 0
	.section	.text._Z6kernelI14exclusive_scanILN6hipcub18BlockScanAlgorithmE0EEN15benchmark_utils11custom_typeIffEELj256ELj4ELj100EEvPKT0_PS7_S7_,"axG",@progbits,_Z6kernelI14exclusive_scanILN6hipcub18BlockScanAlgorithmE0EEN15benchmark_utils11custom_typeIffEELj256ELj4ELj100EEvPKT0_PS7_S7_,comdat
	.protected	_Z6kernelI14exclusive_scanILN6hipcub18BlockScanAlgorithmE0EEN15benchmark_utils11custom_typeIffEELj256ELj4ELj100EEvPKT0_PS7_S7_ ; -- Begin function _Z6kernelI14exclusive_scanILN6hipcub18BlockScanAlgorithmE0EEN15benchmark_utils11custom_typeIffEELj256ELj4ELj100EEvPKT0_PS7_S7_
	.globl	_Z6kernelI14exclusive_scanILN6hipcub18BlockScanAlgorithmE0EEN15benchmark_utils11custom_typeIffEELj256ELj4ELj100EEvPKT0_PS7_S7_
	.p2align	8
	.type	_Z6kernelI14exclusive_scanILN6hipcub18BlockScanAlgorithmE0EEN15benchmark_utils11custom_typeIffEELj256ELj4ELj100EEvPKT0_PS7_S7_,@function
_Z6kernelI14exclusive_scanILN6hipcub18BlockScanAlgorithmE0EEN15benchmark_utils11custom_typeIffEELj256ELj4ELj100EEvPKT0_PS7_S7_: ; @_Z6kernelI14exclusive_scanILN6hipcub18BlockScanAlgorithmE0EEN15benchmark_utils11custom_typeIffEELj256ELj4ELj100EEvPKT0_PS7_S7_
; %bb.0:
	s_load_dword s0, s[4:5], 0x24
	s_load_dwordx4 s[24:27], s[4:5], 0x0
	s_load_dwordx2 s[28:29], s[4:5], 0x10
	v_mov_b32_e32 v2, 0
	v_cmp_gt_u32_e64 s[12:13], 4, v0
	s_waitcnt lgkmcnt(0)
	s_and_b32 s0, s0, 0xffff
	s_mul_i32 s6, s6, s0
	v_add_lshl_u32 v1, s6, v0, 2
	v_lshlrev_b64 v[13:14], 3, v[1:2]
	v_mov_b32_e32 v1, s25
	v_add_co_u32_e32 v9, vcc, s24, v13
	v_addc_co_u32_e32 v10, vcc, v1, v14, vcc
	global_load_dwordx4 v[5:8], v[9:10], off
	global_load_dwordx4 v[1:4], v[9:10], off offset:16
	v_mbcnt_lo_u32_b32 v9, -1, 0
	v_mbcnt_hi_u32_b32 v9, -1, v9
	v_and_b32_e32 v10, 15, v9
	v_cmp_ne_u32_e32 vcc, 0, v10
	v_cmp_lt_u32_e64 s[0:1], 1, v10
	v_cmp_lt_u32_e64 s[2:3], 3, v10
	;; [unrolled: 1-line block ×3, first 2 shown]
	v_and_b32_e32 v10, 16, v9
	v_cmp_ne_u32_e64 s[6:7], 0, v10
	v_or_b32_e32 v10, 63, v0
	v_cmp_eq_u32_e64 s[10:11], v0, v10
	v_subrev_co_u32_e64 v10, s[16:17], 1, v9
	v_and_b32_e32 v11, 64, v9
	v_cmp_lt_i32_e64 s[18:19], v10, v11
	v_cndmask_b32_e64 v10, v10, v9, s[18:19]
	v_lshlrev_b32_e32 v15, 2, v10
	v_lshrrev_b32_e32 v10, 3, v0
	v_cmp_lt_u32_e64 s[8:9], 31, v9
	v_and_b32_e32 v16, 24, v10
	v_and_b32_e32 v9, 3, v9
	v_cmp_lt_u32_e64 s[14:15], 63, v0
	v_cmp_eq_u32_e64 s[18:19], 0, v0
	v_lshlrev_b32_e32 v0, 3, v0
	v_cmp_ne_u32_e64 s[20:21], 0, v9
	v_cmp_lt_u32_e64 s[22:23], 1, v9
	v_add_u32_e32 v17, -8, v16
	s_movk_i32 s33, 0x64
.LBB211_1:                              ; =>This Inner Loop Header: Depth=1
	s_waitcnt vmcnt(1)
	v_add_f32_e32 v9, v7, v5
	v_add_f32_e32 v10, v8, v6
	s_waitcnt vmcnt(0)
	v_add_f32_e32 v9, v1, v9
	v_add_f32_e32 v10, v2, v10
	;; [unrolled: 1-line block ×4, first 2 shown]
	s_nop 0
	v_mov_b32_dpp v9, v3 row_shr:1 row_mask:0xf bank_mask:0xf
	v_mov_b32_dpp v10, v4 row_shr:1 row_mask:0xf bank_mask:0xf
	s_and_saveexec_b64 s[24:25], vcc
; %bb.2:                                ;   in Loop: Header=BB211_1 Depth=1
	v_add_f32_e32 v4, v4, v10
	v_add_f32_e32 v3, v3, v9
; %bb.3:                                ;   in Loop: Header=BB211_1 Depth=1
	s_or_b64 exec, exec, s[24:25]
	s_nop 0
	v_mov_b32_dpp v9, v3 row_shr:2 row_mask:0xf bank_mask:0xf
	v_mov_b32_dpp v10, v4 row_shr:2 row_mask:0xf bank_mask:0xf
	s_and_saveexec_b64 s[24:25], s[0:1]
; %bb.4:                                ;   in Loop: Header=BB211_1 Depth=1
	v_add_f32_e32 v4, v4, v10
	v_add_f32_e32 v3, v3, v9
; %bb.5:                                ;   in Loop: Header=BB211_1 Depth=1
	s_or_b64 exec, exec, s[24:25]
	s_nop 0
	v_mov_b32_dpp v9, v3 row_shr:4 row_mask:0xf bank_mask:0xf
	v_mov_b32_dpp v10, v4 row_shr:4 row_mask:0xf bank_mask:0xf
	s_and_saveexec_b64 s[24:25], s[2:3]
	;; [unrolled: 9-line block ×3, first 2 shown]
; %bb.8:                                ;   in Loop: Header=BB211_1 Depth=1
	v_add_f32_e32 v4, v4, v10
	v_add_f32_e32 v3, v3, v9
; %bb.9:                                ;   in Loop: Header=BB211_1 Depth=1
	s_or_b64 exec, exec, s[24:25]
	s_nop 0
	v_mov_b32_dpp v9, v3 row_bcast:15 row_mask:0xf bank_mask:0xf
	v_mov_b32_dpp v10, v4 row_bcast:15 row_mask:0xf bank_mask:0xf
	s_and_saveexec_b64 s[24:25], s[6:7]
; %bb.10:                               ;   in Loop: Header=BB211_1 Depth=1
	v_add_f32_e32 v4, v4, v10
	v_add_f32_e32 v3, v3, v9
; %bb.11:                               ;   in Loop: Header=BB211_1 Depth=1
	s_or_b64 exec, exec, s[24:25]
	s_nop 0
	v_mov_b32_dpp v10, v3 row_bcast:31 row_mask:0xf bank_mask:0xf
	v_mov_b32_dpp v9, v4 row_bcast:31 row_mask:0xf bank_mask:0xf
	s_and_saveexec_b64 s[24:25], s[8:9]
; %bb.12:                               ;   in Loop: Header=BB211_1 Depth=1
	v_add_f32_e32 v3, v3, v10
	v_add_f32_e32 v4, v4, v9
; %bb.13:                               ;   in Loop: Header=BB211_1 Depth=1
	s_or_b64 exec, exec, s[24:25]
	s_and_saveexec_b64 s[24:25], s[10:11]
; %bb.14:                               ;   in Loop: Header=BB211_1 Depth=1
	ds_write_b64 v16, v[3:4]
; %bb.15:                               ;   in Loop: Header=BB211_1 Depth=1
	s_or_b64 exec, exec, s[24:25]
	s_waitcnt lgkmcnt(0)
	s_barrier
	s_and_saveexec_b64 s[24:25], s[12:13]
	s_cbranch_execz .LBB211_19
; %bb.16:                               ;   in Loop: Header=BB211_1 Depth=1
	ds_read_b64 v[9:10], v0
	s_waitcnt lgkmcnt(0)
	s_nop 0
	v_mov_b32_dpp v11, v9 row_shr:1 row_mask:0xf bank_mask:0xf
	v_mov_b32_dpp v12, v10 row_shr:1 row_mask:0xf bank_mask:0xf
	s_and_saveexec_b64 s[30:31], s[20:21]
; %bb.17:                               ;   in Loop: Header=BB211_1 Depth=1
	v_add_f32_e32 v10, v10, v12
	v_add_f32_e32 v9, v9, v11
; %bb.18:                               ;   in Loop: Header=BB211_1 Depth=1
	s_or_b64 exec, exec, s[30:31]
	s_nop 0
	v_mov_b32_dpp v11, v9 row_shr:2 row_mask:0xf bank_mask:0xf
	v_mov_b32_dpp v12, v10 row_shr:2 row_mask:0xf bank_mask:0xf
	v_add_f32_e32 v12, v10, v12
	v_add_f32_e32 v11, v9, v11
	v_cndmask_b32_e64 v9, v9, v11, s[22:23]
	v_cndmask_b32_e64 v10, v10, v12, s[22:23]
	ds_write_b64 v0, v[9:10]
.LBB211_19:                             ;   in Loop: Header=BB211_1 Depth=1
	s_or_b64 exec, exec, s[24:25]
	v_mov_b32_e32 v9, s28
	v_mov_b32_e32 v10, s29
	s_waitcnt lgkmcnt(0)
	s_barrier
	s_and_saveexec_b64 s[24:25], s[14:15]
	s_cbranch_execz .LBB211_21
; %bb.20:                               ;   in Loop: Header=BB211_1 Depth=1
	ds_read_b64 v[9:10], v17
	s_waitcnt lgkmcnt(0)
	v_add_f32_e32 v9, s28, v9
	v_add_f32_e32 v10, s29, v10
.LBB211_21:                             ;   in Loop: Header=BB211_1 Depth=1
	s_or_b64 exec, exec, s[24:25]
	v_add_f32_e32 v4, v4, v10
	v_add_f32_e32 v3, v3, v9
	ds_bpermute_b32 v4, v15, v4
	ds_bpermute_b32 v3, v15, v3
	v_mov_b32_e32 v11, s29
	s_add_i32 s33, s33, -1
	s_cmp_lg_u32 s33, 0
	s_waitcnt lgkmcnt(1)
	v_cndmask_b32_e64 v4, v4, v10, s[16:17]
	s_waitcnt lgkmcnt(0)
	v_cndmask_b32_e64 v3, v3, v9, s[16:17]
	v_cndmask_b32_e64 v10, v4, v11, s[18:19]
	v_mov_b32_e32 v4, s28
	v_cndmask_b32_e64 v9, v3, v4, s[18:19]
	v_add_f32_e32 v11, v5, v9
	v_add_f32_e32 v12, v6, v10
	;; [unrolled: 1-line block ×6, first 2 shown]
	s_cbranch_scc0 .LBB211_23
; %bb.22:                               ;   in Loop: Header=BB211_1 Depth=1
	v_mov_b32_e32 v2, v6
	v_mov_b32_e32 v1, v5
	;; [unrolled: 1-line block ×6, first 2 shown]
	s_branch .LBB211_1
.LBB211_23:
	v_mov_b32_e32 v1, s27
	v_add_co_u32_e32 v0, vcc, s26, v13
	v_addc_co_u32_e32 v1, vcc, v1, v14, vcc
	v_mov_b32_e32 v7, v3
	v_mov_b32_e32 v8, v4
	global_store_dwordx4 v[0:1], v[9:12], off
	global_store_dwordx4 v[0:1], v[5:8], off offset:16
	s_endpgm
	.section	.rodata,"a",@progbits
	.p2align	6, 0x0
	.amdhsa_kernel _Z6kernelI14exclusive_scanILN6hipcub18BlockScanAlgorithmE0EEN15benchmark_utils11custom_typeIffEELj256ELj4ELj100EEvPKT0_PS7_S7_
		.amdhsa_group_segment_fixed_size 32
		.amdhsa_private_segment_fixed_size 0
		.amdhsa_kernarg_size 280
		.amdhsa_user_sgpr_count 6
		.amdhsa_user_sgpr_private_segment_buffer 1
		.amdhsa_user_sgpr_dispatch_ptr 0
		.amdhsa_user_sgpr_queue_ptr 0
		.amdhsa_user_sgpr_kernarg_segment_ptr 1
		.amdhsa_user_sgpr_dispatch_id 0
		.amdhsa_user_sgpr_flat_scratch_init 0
		.amdhsa_user_sgpr_private_segment_size 0
		.amdhsa_uses_dynamic_stack 0
		.amdhsa_system_sgpr_private_segment_wavefront_offset 0
		.amdhsa_system_sgpr_workgroup_id_x 1
		.amdhsa_system_sgpr_workgroup_id_y 0
		.amdhsa_system_sgpr_workgroup_id_z 0
		.amdhsa_system_sgpr_workgroup_info 0
		.amdhsa_system_vgpr_workitem_id 0
		.amdhsa_next_free_vgpr 18
		.amdhsa_next_free_sgpr 34
		.amdhsa_reserve_vcc 1
		.amdhsa_reserve_flat_scratch 0
		.amdhsa_float_round_mode_32 0
		.amdhsa_float_round_mode_16_64 0
		.amdhsa_float_denorm_mode_32 3
		.amdhsa_float_denorm_mode_16_64 3
		.amdhsa_dx10_clamp 1
		.amdhsa_ieee_mode 1
		.amdhsa_fp16_overflow 0
		.amdhsa_exception_fp_ieee_invalid_op 0
		.amdhsa_exception_fp_denorm_src 0
		.amdhsa_exception_fp_ieee_div_zero 0
		.amdhsa_exception_fp_ieee_overflow 0
		.amdhsa_exception_fp_ieee_underflow 0
		.amdhsa_exception_fp_ieee_inexact 0
		.amdhsa_exception_int_div_zero 0
	.end_amdhsa_kernel
	.section	.text._Z6kernelI14exclusive_scanILN6hipcub18BlockScanAlgorithmE0EEN15benchmark_utils11custom_typeIffEELj256ELj4ELj100EEvPKT0_PS7_S7_,"axG",@progbits,_Z6kernelI14exclusive_scanILN6hipcub18BlockScanAlgorithmE0EEN15benchmark_utils11custom_typeIffEELj256ELj4ELj100EEvPKT0_PS7_S7_,comdat
.Lfunc_end211:
	.size	_Z6kernelI14exclusive_scanILN6hipcub18BlockScanAlgorithmE0EEN15benchmark_utils11custom_typeIffEELj256ELj4ELj100EEvPKT0_PS7_S7_, .Lfunc_end211-_Z6kernelI14exclusive_scanILN6hipcub18BlockScanAlgorithmE0EEN15benchmark_utils11custom_typeIffEELj256ELj4ELj100EEvPKT0_PS7_S7_
                                        ; -- End function
	.set _Z6kernelI14exclusive_scanILN6hipcub18BlockScanAlgorithmE0EEN15benchmark_utils11custom_typeIffEELj256ELj4ELj100EEvPKT0_PS7_S7_.num_vgpr, 18
	.set _Z6kernelI14exclusive_scanILN6hipcub18BlockScanAlgorithmE0EEN15benchmark_utils11custom_typeIffEELj256ELj4ELj100EEvPKT0_PS7_S7_.num_agpr, 0
	.set _Z6kernelI14exclusive_scanILN6hipcub18BlockScanAlgorithmE0EEN15benchmark_utils11custom_typeIffEELj256ELj4ELj100EEvPKT0_PS7_S7_.numbered_sgpr, 34
	.set _Z6kernelI14exclusive_scanILN6hipcub18BlockScanAlgorithmE0EEN15benchmark_utils11custom_typeIffEELj256ELj4ELj100EEvPKT0_PS7_S7_.num_named_barrier, 0
	.set _Z6kernelI14exclusive_scanILN6hipcub18BlockScanAlgorithmE0EEN15benchmark_utils11custom_typeIffEELj256ELj4ELj100EEvPKT0_PS7_S7_.private_seg_size, 0
	.set _Z6kernelI14exclusive_scanILN6hipcub18BlockScanAlgorithmE0EEN15benchmark_utils11custom_typeIffEELj256ELj4ELj100EEvPKT0_PS7_S7_.uses_vcc, 1
	.set _Z6kernelI14exclusive_scanILN6hipcub18BlockScanAlgorithmE0EEN15benchmark_utils11custom_typeIffEELj256ELj4ELj100EEvPKT0_PS7_S7_.uses_flat_scratch, 0
	.set _Z6kernelI14exclusive_scanILN6hipcub18BlockScanAlgorithmE0EEN15benchmark_utils11custom_typeIffEELj256ELj4ELj100EEvPKT0_PS7_S7_.has_dyn_sized_stack, 0
	.set _Z6kernelI14exclusive_scanILN6hipcub18BlockScanAlgorithmE0EEN15benchmark_utils11custom_typeIffEELj256ELj4ELj100EEvPKT0_PS7_S7_.has_recursion, 0
	.set _Z6kernelI14exclusive_scanILN6hipcub18BlockScanAlgorithmE0EEN15benchmark_utils11custom_typeIffEELj256ELj4ELj100EEvPKT0_PS7_S7_.has_indirect_call, 0
	.section	.AMDGPU.csdata,"",@progbits
; Kernel info:
; codeLenInByte = 872
; TotalNumSgprs: 38
; NumVgprs: 18
; ScratchSize: 0
; MemoryBound: 0
; FloatMode: 240
; IeeeMode: 1
; LDSByteSize: 32 bytes/workgroup (compile time only)
; SGPRBlocks: 4
; VGPRBlocks: 4
; NumSGPRsForWavesPerEU: 38
; NumVGPRsForWavesPerEU: 18
; Occupancy: 10
; WaveLimiterHint : 0
; COMPUTE_PGM_RSRC2:SCRATCH_EN: 0
; COMPUTE_PGM_RSRC2:USER_SGPR: 6
; COMPUTE_PGM_RSRC2:TRAP_HANDLER: 0
; COMPUTE_PGM_RSRC2:TGID_X_EN: 1
; COMPUTE_PGM_RSRC2:TGID_Y_EN: 0
; COMPUTE_PGM_RSRC2:TGID_Z_EN: 0
; COMPUTE_PGM_RSRC2:TIDIG_COMP_CNT: 0
	.section	.text._Z6kernelI14exclusive_scanILN6hipcub18BlockScanAlgorithmE0EEN15benchmark_utils11custom_typeIffEELj256ELj8ELj100EEvPKT0_PS7_S7_,"axG",@progbits,_Z6kernelI14exclusive_scanILN6hipcub18BlockScanAlgorithmE0EEN15benchmark_utils11custom_typeIffEELj256ELj8ELj100EEvPKT0_PS7_S7_,comdat
	.protected	_Z6kernelI14exclusive_scanILN6hipcub18BlockScanAlgorithmE0EEN15benchmark_utils11custom_typeIffEELj256ELj8ELj100EEvPKT0_PS7_S7_ ; -- Begin function _Z6kernelI14exclusive_scanILN6hipcub18BlockScanAlgorithmE0EEN15benchmark_utils11custom_typeIffEELj256ELj8ELj100EEvPKT0_PS7_S7_
	.globl	_Z6kernelI14exclusive_scanILN6hipcub18BlockScanAlgorithmE0EEN15benchmark_utils11custom_typeIffEELj256ELj8ELj100EEvPKT0_PS7_S7_
	.p2align	8
	.type	_Z6kernelI14exclusive_scanILN6hipcub18BlockScanAlgorithmE0EEN15benchmark_utils11custom_typeIffEELj256ELj8ELj100EEvPKT0_PS7_S7_,@function
_Z6kernelI14exclusive_scanILN6hipcub18BlockScanAlgorithmE0EEN15benchmark_utils11custom_typeIffEELj256ELj8ELj100EEvPKT0_PS7_S7_: ; @_Z6kernelI14exclusive_scanILN6hipcub18BlockScanAlgorithmE0EEN15benchmark_utils11custom_typeIffEELj256ELj8ELj100EEvPKT0_PS7_S7_
; %bb.0:
	s_load_dword s0, s[4:5], 0x24
	s_load_dwordx4 s[24:27], s[4:5], 0x0
	s_load_dwordx2 s[28:29], s[4:5], 0x10
	v_mov_b32_e32 v2, 0
	v_cmp_gt_u32_e64 s[12:13], 4, v0
	s_waitcnt lgkmcnt(0)
	s_and_b32 s0, s0, 0xffff
	s_mul_i32 s6, s6, s0
	v_add_lshl_u32 v1, s6, v0, 3
	v_lshlrev_b64 v[21:22], 3, v[1:2]
	v_mov_b32_e32 v1, s25
	v_add_co_u32_e32 v17, vcc, s24, v21
	v_addc_co_u32_e32 v18, vcc, v1, v22, vcc
	global_load_dwordx4 v[9:12], v[17:18], off
	global_load_dwordx4 v[5:8], v[17:18], off offset:16
	global_load_dwordx4 v[13:16], v[17:18], off offset:32
	;; [unrolled: 1-line block ×3, first 2 shown]
	v_mbcnt_lo_u32_b32 v17, -1, 0
	v_mbcnt_hi_u32_b32 v17, -1, v17
	v_and_b32_e32 v18, 15, v17
	v_cmp_ne_u32_e32 vcc, 0, v18
	v_cmp_lt_u32_e64 s[0:1], 1, v18
	v_cmp_lt_u32_e64 s[2:3], 3, v18
	;; [unrolled: 1-line block ×3, first 2 shown]
	v_and_b32_e32 v18, 16, v17
	v_cmp_ne_u32_e64 s[6:7], 0, v18
	v_or_b32_e32 v18, 63, v0
	v_cmp_eq_u32_e64 s[10:11], v0, v18
	v_subrev_co_u32_e64 v18, s[16:17], 1, v17
	v_and_b32_e32 v19, 64, v17
	v_cmp_lt_i32_e64 s[18:19], v18, v19
	v_cndmask_b32_e64 v18, v18, v17, s[18:19]
	v_lshlrev_b32_e32 v23, 2, v18
	v_lshrrev_b32_e32 v18, 3, v0
	v_cmp_lt_u32_e64 s[8:9], 31, v17
	v_and_b32_e32 v24, 24, v18
	v_and_b32_e32 v17, 3, v17
	v_cmp_lt_u32_e64 s[14:15], 63, v0
	v_cmp_eq_u32_e64 s[18:19], 0, v0
	v_lshlrev_b32_e32 v0, 3, v0
	v_cmp_ne_u32_e64 s[20:21], 0, v17
	v_cmp_lt_u32_e64 s[22:23], 1, v17
	v_add_u32_e32 v25, -8, v24
	s_movk_i32 s33, 0x64
.LBB212_1:                              ; =>This Inner Loop Header: Depth=1
	s_waitcnt vmcnt(3)
	v_add_f32_e32 v17, v11, v9
	v_add_f32_e32 v18, v12, v10
	s_waitcnt vmcnt(2)
	v_add_f32_e32 v17, v5, v17
	v_add_f32_e32 v18, v6, v18
	v_add_f32_e32 v17, v7, v17
	v_add_f32_e32 v18, v8, v18
	s_waitcnt vmcnt(1)
	v_add_f32_e32 v17, v13, v17
	v_add_f32_e32 v18, v14, v18
	;; [unrolled: 5-line block ×3, first 2 shown]
	v_add_f32_e32 v3, v3, v17
	v_add_f32_e32 v4, v4, v18
	s_nop 0
	v_mov_b32_dpp v17, v3 row_shr:1 row_mask:0xf bank_mask:0xf
	v_mov_b32_dpp v18, v4 row_shr:1 row_mask:0xf bank_mask:0xf
	s_and_saveexec_b64 s[24:25], vcc
; %bb.2:                                ;   in Loop: Header=BB212_1 Depth=1
	v_add_f32_e32 v4, v4, v18
	v_add_f32_e32 v3, v3, v17
; %bb.3:                                ;   in Loop: Header=BB212_1 Depth=1
	s_or_b64 exec, exec, s[24:25]
	s_nop 0
	v_mov_b32_dpp v17, v3 row_shr:2 row_mask:0xf bank_mask:0xf
	v_mov_b32_dpp v18, v4 row_shr:2 row_mask:0xf bank_mask:0xf
	s_and_saveexec_b64 s[24:25], s[0:1]
; %bb.4:                                ;   in Loop: Header=BB212_1 Depth=1
	v_add_f32_e32 v4, v4, v18
	v_add_f32_e32 v3, v3, v17
; %bb.5:                                ;   in Loop: Header=BB212_1 Depth=1
	s_or_b64 exec, exec, s[24:25]
	s_nop 0
	v_mov_b32_dpp v17, v3 row_shr:4 row_mask:0xf bank_mask:0xf
	v_mov_b32_dpp v18, v4 row_shr:4 row_mask:0xf bank_mask:0xf
	s_and_saveexec_b64 s[24:25], s[2:3]
	;; [unrolled: 9-line block ×3, first 2 shown]
; %bb.8:                                ;   in Loop: Header=BB212_1 Depth=1
	v_add_f32_e32 v4, v4, v18
	v_add_f32_e32 v3, v3, v17
; %bb.9:                                ;   in Loop: Header=BB212_1 Depth=1
	s_or_b64 exec, exec, s[24:25]
	s_nop 0
	v_mov_b32_dpp v17, v3 row_bcast:15 row_mask:0xf bank_mask:0xf
	v_mov_b32_dpp v18, v4 row_bcast:15 row_mask:0xf bank_mask:0xf
	s_and_saveexec_b64 s[24:25], s[6:7]
; %bb.10:                               ;   in Loop: Header=BB212_1 Depth=1
	v_add_f32_e32 v4, v4, v18
	v_add_f32_e32 v3, v3, v17
; %bb.11:                               ;   in Loop: Header=BB212_1 Depth=1
	s_or_b64 exec, exec, s[24:25]
	s_nop 0
	v_mov_b32_dpp v18, v3 row_bcast:31 row_mask:0xf bank_mask:0xf
	v_mov_b32_dpp v17, v4 row_bcast:31 row_mask:0xf bank_mask:0xf
	s_and_saveexec_b64 s[24:25], s[8:9]
; %bb.12:                               ;   in Loop: Header=BB212_1 Depth=1
	v_add_f32_e32 v3, v3, v18
	v_add_f32_e32 v4, v4, v17
; %bb.13:                               ;   in Loop: Header=BB212_1 Depth=1
	s_or_b64 exec, exec, s[24:25]
	s_and_saveexec_b64 s[24:25], s[10:11]
; %bb.14:                               ;   in Loop: Header=BB212_1 Depth=1
	ds_write_b64 v24, v[3:4]
; %bb.15:                               ;   in Loop: Header=BB212_1 Depth=1
	s_or_b64 exec, exec, s[24:25]
	s_waitcnt lgkmcnt(0)
	s_barrier
	s_and_saveexec_b64 s[24:25], s[12:13]
	s_cbranch_execz .LBB212_19
; %bb.16:                               ;   in Loop: Header=BB212_1 Depth=1
	ds_read_b64 v[17:18], v0
	s_waitcnt lgkmcnt(0)
	s_nop 0
	v_mov_b32_dpp v19, v17 row_shr:1 row_mask:0xf bank_mask:0xf
	v_mov_b32_dpp v20, v18 row_shr:1 row_mask:0xf bank_mask:0xf
	s_and_saveexec_b64 s[30:31], s[20:21]
; %bb.17:                               ;   in Loop: Header=BB212_1 Depth=1
	v_add_f32_e32 v18, v18, v20
	v_add_f32_e32 v17, v17, v19
; %bb.18:                               ;   in Loop: Header=BB212_1 Depth=1
	s_or_b64 exec, exec, s[30:31]
	s_nop 0
	v_mov_b32_dpp v19, v17 row_shr:2 row_mask:0xf bank_mask:0xf
	v_mov_b32_dpp v20, v18 row_shr:2 row_mask:0xf bank_mask:0xf
	v_add_f32_e32 v20, v18, v20
	v_add_f32_e32 v19, v17, v19
	v_cndmask_b32_e64 v17, v17, v19, s[22:23]
	v_cndmask_b32_e64 v18, v18, v20, s[22:23]
	ds_write_b64 v0, v[17:18]
.LBB212_19:                             ;   in Loop: Header=BB212_1 Depth=1
	s_or_b64 exec, exec, s[24:25]
	v_mov_b32_e32 v17, s28
	v_mov_b32_e32 v18, s29
	s_waitcnt lgkmcnt(0)
	s_barrier
	s_and_saveexec_b64 s[24:25], s[14:15]
	s_cbranch_execz .LBB212_21
; %bb.20:                               ;   in Loop: Header=BB212_1 Depth=1
	ds_read_b64 v[17:18], v25
	s_waitcnt lgkmcnt(0)
	v_add_f32_e32 v17, s28, v17
	v_add_f32_e32 v18, s29, v18
.LBB212_21:                             ;   in Loop: Header=BB212_1 Depth=1
	s_or_b64 exec, exec, s[24:25]
	v_add_f32_e32 v4, v4, v18
	v_add_f32_e32 v3, v3, v17
	ds_bpermute_b32 v4, v23, v4
	ds_bpermute_b32 v3, v23, v3
	v_mov_b32_e32 v19, s29
	s_add_i32 s33, s33, -1
	s_cmp_lg_u32 s33, 0
	s_waitcnt lgkmcnt(1)
	v_cndmask_b32_e64 v4, v4, v18, s[16:17]
	s_waitcnt lgkmcnt(0)
	v_cndmask_b32_e64 v3, v3, v17, s[16:17]
	v_cndmask_b32_e64 v18, v4, v19, s[18:19]
	v_mov_b32_e32 v4, s28
	v_cndmask_b32_e64 v17, v3, v4, s[18:19]
	v_add_f32_e32 v19, v9, v17
	v_add_f32_e32 v20, v10, v18
	;; [unrolled: 1-line block ×14, first 2 shown]
	s_cbranch_scc0 .LBB212_23
; %bb.22:                               ;   in Loop: Header=BB212_1 Depth=1
	v_mov_b32_e32 v2, v14
	v_mov_b32_e32 v1, v13
	;; [unrolled: 1-line block ×14, first 2 shown]
	s_branch .LBB212_1
.LBB212_23:
	v_mov_b32_e32 v1, s27
	v_add_co_u32_e32 v0, vcc, s26, v21
	v_addc_co_u32_e32 v1, vcc, v1, v22, vcc
	v_mov_b32_e32 v15, v3
	v_mov_b32_e32 v16, v4
	global_store_dwordx4 v[0:1], v[17:20], off
	global_store_dwordx4 v[0:1], v[9:12], off offset:16
	global_store_dwordx4 v[0:1], v[5:8], off offset:32
	;; [unrolled: 1-line block ×3, first 2 shown]
	s_endpgm
	.section	.rodata,"a",@progbits
	.p2align	6, 0x0
	.amdhsa_kernel _Z6kernelI14exclusive_scanILN6hipcub18BlockScanAlgorithmE0EEN15benchmark_utils11custom_typeIffEELj256ELj8ELj100EEvPKT0_PS7_S7_
		.amdhsa_group_segment_fixed_size 32
		.amdhsa_private_segment_fixed_size 0
		.amdhsa_kernarg_size 280
		.amdhsa_user_sgpr_count 6
		.amdhsa_user_sgpr_private_segment_buffer 1
		.amdhsa_user_sgpr_dispatch_ptr 0
		.amdhsa_user_sgpr_queue_ptr 0
		.amdhsa_user_sgpr_kernarg_segment_ptr 1
		.amdhsa_user_sgpr_dispatch_id 0
		.amdhsa_user_sgpr_flat_scratch_init 0
		.amdhsa_user_sgpr_private_segment_size 0
		.amdhsa_uses_dynamic_stack 0
		.amdhsa_system_sgpr_private_segment_wavefront_offset 0
		.amdhsa_system_sgpr_workgroup_id_x 1
		.amdhsa_system_sgpr_workgroup_id_y 0
		.amdhsa_system_sgpr_workgroup_id_z 0
		.amdhsa_system_sgpr_workgroup_info 0
		.amdhsa_system_vgpr_workitem_id 0
		.amdhsa_next_free_vgpr 26
		.amdhsa_next_free_sgpr 34
		.amdhsa_reserve_vcc 1
		.amdhsa_reserve_flat_scratch 0
		.amdhsa_float_round_mode_32 0
		.amdhsa_float_round_mode_16_64 0
		.amdhsa_float_denorm_mode_32 3
		.amdhsa_float_denorm_mode_16_64 3
		.amdhsa_dx10_clamp 1
		.amdhsa_ieee_mode 1
		.amdhsa_fp16_overflow 0
		.amdhsa_exception_fp_ieee_invalid_op 0
		.amdhsa_exception_fp_denorm_src 0
		.amdhsa_exception_fp_ieee_div_zero 0
		.amdhsa_exception_fp_ieee_overflow 0
		.amdhsa_exception_fp_ieee_underflow 0
		.amdhsa_exception_fp_ieee_inexact 0
		.amdhsa_exception_int_div_zero 0
	.end_amdhsa_kernel
	.section	.text._Z6kernelI14exclusive_scanILN6hipcub18BlockScanAlgorithmE0EEN15benchmark_utils11custom_typeIffEELj256ELj8ELj100EEvPKT0_PS7_S7_,"axG",@progbits,_Z6kernelI14exclusive_scanILN6hipcub18BlockScanAlgorithmE0EEN15benchmark_utils11custom_typeIffEELj256ELj8ELj100EEvPKT0_PS7_S7_,comdat
.Lfunc_end212:
	.size	_Z6kernelI14exclusive_scanILN6hipcub18BlockScanAlgorithmE0EEN15benchmark_utils11custom_typeIffEELj256ELj8ELj100EEvPKT0_PS7_S7_, .Lfunc_end212-_Z6kernelI14exclusive_scanILN6hipcub18BlockScanAlgorithmE0EEN15benchmark_utils11custom_typeIffEELj256ELj8ELj100EEvPKT0_PS7_S7_
                                        ; -- End function
	.set _Z6kernelI14exclusive_scanILN6hipcub18BlockScanAlgorithmE0EEN15benchmark_utils11custom_typeIffEELj256ELj8ELj100EEvPKT0_PS7_S7_.num_vgpr, 26
	.set _Z6kernelI14exclusive_scanILN6hipcub18BlockScanAlgorithmE0EEN15benchmark_utils11custom_typeIffEELj256ELj8ELj100EEvPKT0_PS7_S7_.num_agpr, 0
	.set _Z6kernelI14exclusive_scanILN6hipcub18BlockScanAlgorithmE0EEN15benchmark_utils11custom_typeIffEELj256ELj8ELj100EEvPKT0_PS7_S7_.numbered_sgpr, 34
	.set _Z6kernelI14exclusive_scanILN6hipcub18BlockScanAlgorithmE0EEN15benchmark_utils11custom_typeIffEELj256ELj8ELj100EEvPKT0_PS7_S7_.num_named_barrier, 0
	.set _Z6kernelI14exclusive_scanILN6hipcub18BlockScanAlgorithmE0EEN15benchmark_utils11custom_typeIffEELj256ELj8ELj100EEvPKT0_PS7_S7_.private_seg_size, 0
	.set _Z6kernelI14exclusive_scanILN6hipcub18BlockScanAlgorithmE0EEN15benchmark_utils11custom_typeIffEELj256ELj8ELj100EEvPKT0_PS7_S7_.uses_vcc, 1
	.set _Z6kernelI14exclusive_scanILN6hipcub18BlockScanAlgorithmE0EEN15benchmark_utils11custom_typeIffEELj256ELj8ELj100EEvPKT0_PS7_S7_.uses_flat_scratch, 0
	.set _Z6kernelI14exclusive_scanILN6hipcub18BlockScanAlgorithmE0EEN15benchmark_utils11custom_typeIffEELj256ELj8ELj100EEvPKT0_PS7_S7_.has_dyn_sized_stack, 0
	.set _Z6kernelI14exclusive_scanILN6hipcub18BlockScanAlgorithmE0EEN15benchmark_utils11custom_typeIffEELj256ELj8ELj100EEvPKT0_PS7_S7_.has_recursion, 0
	.set _Z6kernelI14exclusive_scanILN6hipcub18BlockScanAlgorithmE0EEN15benchmark_utils11custom_typeIffEELj256ELj8ELj100EEvPKT0_PS7_S7_.has_indirect_call, 0
	.section	.AMDGPU.csdata,"",@progbits
; Kernel info:
; codeLenInByte = 1008
; TotalNumSgprs: 38
; NumVgprs: 26
; ScratchSize: 0
; MemoryBound: 0
; FloatMode: 240
; IeeeMode: 1
; LDSByteSize: 32 bytes/workgroup (compile time only)
; SGPRBlocks: 4
; VGPRBlocks: 6
; NumSGPRsForWavesPerEU: 38
; NumVGPRsForWavesPerEU: 26
; Occupancy: 9
; WaveLimiterHint : 0
; COMPUTE_PGM_RSRC2:SCRATCH_EN: 0
; COMPUTE_PGM_RSRC2:USER_SGPR: 6
; COMPUTE_PGM_RSRC2:TRAP_HANDLER: 0
; COMPUTE_PGM_RSRC2:TGID_X_EN: 1
; COMPUTE_PGM_RSRC2:TGID_Y_EN: 0
; COMPUTE_PGM_RSRC2:TGID_Z_EN: 0
; COMPUTE_PGM_RSRC2:TIDIG_COMP_CNT: 0
	.section	.text._Z6kernelI14exclusive_scanILN6hipcub18BlockScanAlgorithmE0EEN15benchmark_utils11custom_typeIddEELj256ELj1ELj100EEvPKT0_PS7_S7_,"axG",@progbits,_Z6kernelI14exclusive_scanILN6hipcub18BlockScanAlgorithmE0EEN15benchmark_utils11custom_typeIddEELj256ELj1ELj100EEvPKT0_PS7_S7_,comdat
	.protected	_Z6kernelI14exclusive_scanILN6hipcub18BlockScanAlgorithmE0EEN15benchmark_utils11custom_typeIddEELj256ELj1ELj100EEvPKT0_PS7_S7_ ; -- Begin function _Z6kernelI14exclusive_scanILN6hipcub18BlockScanAlgorithmE0EEN15benchmark_utils11custom_typeIddEELj256ELj1ELj100EEvPKT0_PS7_S7_
	.globl	_Z6kernelI14exclusive_scanILN6hipcub18BlockScanAlgorithmE0EEN15benchmark_utils11custom_typeIddEELj256ELj1ELj100EEvPKT0_PS7_S7_
	.p2align	8
	.type	_Z6kernelI14exclusive_scanILN6hipcub18BlockScanAlgorithmE0EEN15benchmark_utils11custom_typeIddEELj256ELj1ELj100EEvPKT0_PS7_S7_,@function
_Z6kernelI14exclusive_scanILN6hipcub18BlockScanAlgorithmE0EEN15benchmark_utils11custom_typeIddEELj256ELj1ELj100EEvPKT0_PS7_S7_: ; @_Z6kernelI14exclusive_scanILN6hipcub18BlockScanAlgorithmE0EEN15benchmark_utils11custom_typeIddEELj256ELj1ELj100EEvPKT0_PS7_S7_
; %bb.0:
	s_load_dword s0, s[4:5], 0x2c
	s_load_dwordx8 s[20:27], s[4:5], 0x0
	v_mov_b32_e32 v2, 0
	v_mbcnt_lo_u32_b32 v5, -1, 0
	v_mbcnt_hi_u32_b32 v5, -1, v5
	s_waitcnt lgkmcnt(0)
	s_and_b32 s0, s0, 0xffff
	s_mul_i32 s6, s6, s0
	v_add_u32_e32 v1, s6, v0
	v_lshlrev_b64 v[9:10], 4, v[1:2]
	v_mov_b32_e32 v2, s21
	v_add_co_u32_e32 v1, vcc, s20, v9
	v_addc_co_u32_e32 v2, vcc, v2, v10, vcc
	global_load_dwordx4 v[1:4], v[1:2], off
	v_and_b32_e32 v6, 15, v5
	v_cmp_ne_u32_e32 vcc, 0, v6
	v_cmp_lt_u32_e64 s[0:1], 1, v6
	v_cmp_lt_u32_e64 s[2:3], 3, v6
	;; [unrolled: 1-line block ×3, first 2 shown]
	v_and_b32_e32 v6, 16, v5
	v_cmp_ne_u32_e64 s[6:7], 0, v6
	v_or_b32_e32 v6, 63, v0
	v_cmp_eq_u32_e64 s[10:11], v0, v6
	v_subrev_co_u32_e64 v6, s[16:17], 1, v5
	v_and_b32_e32 v7, 64, v5
	v_cmp_lt_i32_e64 s[18:19], v6, v7
	v_cndmask_b32_e64 v6, v6, v5, s[18:19]
	v_lshlrev_b32_e32 v15, 2, v6
	v_lshrrev_b32_e32 v6, 2, v0
	v_cmp_lt_u32_e64 s[8:9], 31, v5
	v_and_b32_e32 v16, 48, v6
	v_and_b32_e32 v5, 3, v5
	v_cmp_gt_u32_e64 s[12:13], 4, v0
	v_cmp_lt_u32_e64 s[14:15], 63, v0
	v_lshlrev_b32_e32 v0, 4, v0
	v_cmp_ne_u32_e64 s[18:19], 0, v5
	v_cmp_lt_u32_e64 s[20:21], 1, v5
	v_add_u32_e32 v17, -16, v16
	s_movk_i32 s33, 0x64
	s_branch .LBB213_2
.LBB213_1:                              ;   in Loop: Header=BB213_2 Depth=1
	s_or_b64 exec, exec, s[28:29]
	v_add_f64 v[3:4], v[3:4], v[7:8]
	v_add_f64 v[1:2], v[1:2], v[5:6]
	s_add_i32 s33, s33, -1
	s_cmp_lg_u32 s33, 0
	ds_bpermute_b32 v4, v15, v4
	ds_bpermute_b32 v3, v15, v3
	;; [unrolled: 1-line block ×4, first 2 shown]
	s_waitcnt lgkmcnt(3)
	v_cndmask_b32_e64 v4, v4, v8, s[16:17]
	s_waitcnt lgkmcnt(2)
	v_cndmask_b32_e64 v3, v3, v7, s[16:17]
	;; [unrolled: 2-line block ×4, first 2 shown]
	s_cbranch_scc0 .LBB213_24
.LBB213_2:                              ; =>This Inner Loop Header: Depth=1
	s_waitcnt vmcnt(0)
	v_mov_b32_dpp v5, v1 row_shr:1 row_mask:0xf bank_mask:0xf
	v_mov_b32_dpp v6, v2 row_shr:1 row_mask:0xf bank_mask:0xf
	;; [unrolled: 1-line block ×4, first 2 shown]
	s_and_saveexec_b64 s[28:29], vcc
	s_cbranch_execz .LBB213_4
; %bb.3:                                ;   in Loop: Header=BB213_2 Depth=1
	v_add_f64 v[3:4], v[3:4], v[7:8]
	v_add_f64 v[1:2], v[1:2], v[5:6]
.LBB213_4:                              ;   in Loop: Header=BB213_2 Depth=1
	s_or_b64 exec, exec, s[28:29]
	s_nop 0
	v_mov_b32_dpp v5, v1 row_shr:2 row_mask:0xf bank_mask:0xf
	v_mov_b32_dpp v6, v2 row_shr:2 row_mask:0xf bank_mask:0xf
	v_mov_b32_dpp v7, v3 row_shr:2 row_mask:0xf bank_mask:0xf
	v_mov_b32_dpp v8, v4 row_shr:2 row_mask:0xf bank_mask:0xf
	s_and_saveexec_b64 s[28:29], s[0:1]
	s_cbranch_execz .LBB213_6
; %bb.5:                                ;   in Loop: Header=BB213_2 Depth=1
	v_add_f64 v[3:4], v[3:4], v[7:8]
	v_add_f64 v[1:2], v[1:2], v[5:6]
.LBB213_6:                              ;   in Loop: Header=BB213_2 Depth=1
	s_or_b64 exec, exec, s[28:29]
	s_nop 0
	v_mov_b32_dpp v5, v1 row_shr:4 row_mask:0xf bank_mask:0xf
	v_mov_b32_dpp v6, v2 row_shr:4 row_mask:0xf bank_mask:0xf
	v_mov_b32_dpp v7, v3 row_shr:4 row_mask:0xf bank_mask:0xf
	v_mov_b32_dpp v8, v4 row_shr:4 row_mask:0xf bank_mask:0xf
	s_and_saveexec_b64 s[28:29], s[2:3]
	;; [unrolled: 12-line block ×3, first 2 shown]
	s_cbranch_execz .LBB213_10
; %bb.9:                                ;   in Loop: Header=BB213_2 Depth=1
	v_add_f64 v[3:4], v[3:4], v[7:8]
	v_add_f64 v[1:2], v[1:2], v[5:6]
.LBB213_10:                             ;   in Loop: Header=BB213_2 Depth=1
	s_or_b64 exec, exec, s[28:29]
	s_nop 0
	v_mov_b32_dpp v5, v1 row_bcast:15 row_mask:0xf bank_mask:0xf
	v_mov_b32_dpp v6, v2 row_bcast:15 row_mask:0xf bank_mask:0xf
	;; [unrolled: 1-line block ×4, first 2 shown]
	s_and_saveexec_b64 s[28:29], s[6:7]
	s_cbranch_execz .LBB213_12
; %bb.11:                               ;   in Loop: Header=BB213_2 Depth=1
	v_add_f64 v[3:4], v[3:4], v[7:8]
	v_add_f64 v[1:2], v[1:2], v[5:6]
.LBB213_12:                             ;   in Loop: Header=BB213_2 Depth=1
	s_or_b64 exec, exec, s[28:29]
	s_nop 0
	v_mov_b32_dpp v5, v1 row_bcast:31 row_mask:0xf bank_mask:0xf
	v_mov_b32_dpp v6, v2 row_bcast:31 row_mask:0xf bank_mask:0xf
	v_mov_b32_dpp v7, v3 row_bcast:31 row_mask:0xf bank_mask:0xf
	v_mov_b32_dpp v8, v4 row_bcast:31 row_mask:0xf bank_mask:0xf
	s_and_saveexec_b64 s[28:29], s[8:9]
	s_cbranch_execz .LBB213_14
; %bb.13:                               ;   in Loop: Header=BB213_2 Depth=1
	v_add_f64 v[3:4], v[3:4], v[7:8]
	v_add_f64 v[1:2], v[1:2], v[5:6]
.LBB213_14:                             ;   in Loop: Header=BB213_2 Depth=1
	s_or_b64 exec, exec, s[28:29]
	s_and_saveexec_b64 s[28:29], s[10:11]
; %bb.15:                               ;   in Loop: Header=BB213_2 Depth=1
	ds_write2_b64 v16, v[1:2], v[3:4] offset1:1
; %bb.16:                               ;   in Loop: Header=BB213_2 Depth=1
	s_or_b64 exec, exec, s[28:29]
	s_waitcnt lgkmcnt(0)
	s_barrier
	s_and_saveexec_b64 s[28:29], s[12:13]
	s_cbranch_execz .LBB213_22
; %bb.17:                               ;   in Loop: Header=BB213_2 Depth=1
	ds_read2_b64 v[5:8], v0 offset1:1
	s_waitcnt lgkmcnt(0)
	s_nop 0
	v_mov_b32_dpp v11, v5 row_shr:1 row_mask:0xf bank_mask:0xf
	v_mov_b32_dpp v12, v6 row_shr:1 row_mask:0xf bank_mask:0xf
	;; [unrolled: 1-line block ×4, first 2 shown]
	s_and_saveexec_b64 s[30:31], s[18:19]
	s_cbranch_execz .LBB213_19
; %bb.18:                               ;   in Loop: Header=BB213_2 Depth=1
	v_add_f64 v[7:8], v[7:8], v[13:14]
	v_add_f64 v[5:6], v[5:6], v[11:12]
.LBB213_19:                             ;   in Loop: Header=BB213_2 Depth=1
	s_or_b64 exec, exec, s[30:31]
	s_nop 0
	v_mov_b32_dpp v11, v5 row_shr:2 row_mask:0xf bank_mask:0xf
	v_mov_b32_dpp v12, v6 row_shr:2 row_mask:0xf bank_mask:0xf
	;; [unrolled: 1-line block ×4, first 2 shown]
	s_and_saveexec_b64 s[30:31], s[20:21]
	s_cbranch_execz .LBB213_21
; %bb.20:                               ;   in Loop: Header=BB213_2 Depth=1
	v_add_f64 v[7:8], v[7:8], v[13:14]
	v_add_f64 v[5:6], v[5:6], v[11:12]
.LBB213_21:                             ;   in Loop: Header=BB213_2 Depth=1
	s_or_b64 exec, exec, s[30:31]
	ds_write2_b64 v0, v[5:6], v[7:8] offset1:1
.LBB213_22:                             ;   in Loop: Header=BB213_2 Depth=1
	s_or_b64 exec, exec, s[28:29]
	v_mov_b32_e32 v5, s24
	v_mov_b32_e32 v7, s26
	;; [unrolled: 1-line block ×4, first 2 shown]
	s_waitcnt lgkmcnt(0)
	s_barrier
	s_and_saveexec_b64 s[28:29], s[14:15]
	s_cbranch_execz .LBB213_1
; %bb.23:                               ;   in Loop: Header=BB213_2 Depth=1
	ds_read2_b64 v[5:8], v17 offset1:1
	s_waitcnt lgkmcnt(0)
	v_add_f64 v[5:6], s[24:25], v[5:6]
	v_add_f64 v[7:8], s[26:27], v[7:8]
	s_branch .LBB213_1
.LBB213_24:
	v_mov_b32_e32 v0, s23
	v_add_co_u32_e32 v5, vcc, s22, v9
	v_addc_co_u32_e32 v6, vcc, v0, v10, vcc
	global_store_dwordx4 v[5:6], v[1:4], off
	s_endpgm
	.section	.rodata,"a",@progbits
	.p2align	6, 0x0
	.amdhsa_kernel _Z6kernelI14exclusive_scanILN6hipcub18BlockScanAlgorithmE0EEN15benchmark_utils11custom_typeIddEELj256ELj1ELj100EEvPKT0_PS7_S7_
		.amdhsa_group_segment_fixed_size 64
		.amdhsa_private_segment_fixed_size 0
		.amdhsa_kernarg_size 288
		.amdhsa_user_sgpr_count 6
		.amdhsa_user_sgpr_private_segment_buffer 1
		.amdhsa_user_sgpr_dispatch_ptr 0
		.amdhsa_user_sgpr_queue_ptr 0
		.amdhsa_user_sgpr_kernarg_segment_ptr 1
		.amdhsa_user_sgpr_dispatch_id 0
		.amdhsa_user_sgpr_flat_scratch_init 0
		.amdhsa_user_sgpr_private_segment_size 0
		.amdhsa_uses_dynamic_stack 0
		.amdhsa_system_sgpr_private_segment_wavefront_offset 0
		.amdhsa_system_sgpr_workgroup_id_x 1
		.amdhsa_system_sgpr_workgroup_id_y 0
		.amdhsa_system_sgpr_workgroup_id_z 0
		.amdhsa_system_sgpr_workgroup_info 0
		.amdhsa_system_vgpr_workitem_id 0
		.amdhsa_next_free_vgpr 18
		.amdhsa_next_free_sgpr 34
		.amdhsa_reserve_vcc 1
		.amdhsa_reserve_flat_scratch 0
		.amdhsa_float_round_mode_32 0
		.amdhsa_float_round_mode_16_64 0
		.amdhsa_float_denorm_mode_32 3
		.amdhsa_float_denorm_mode_16_64 3
		.amdhsa_dx10_clamp 1
		.amdhsa_ieee_mode 1
		.amdhsa_fp16_overflow 0
		.amdhsa_exception_fp_ieee_invalid_op 0
		.amdhsa_exception_fp_denorm_src 0
		.amdhsa_exception_fp_ieee_div_zero 0
		.amdhsa_exception_fp_ieee_overflow 0
		.amdhsa_exception_fp_ieee_underflow 0
		.amdhsa_exception_fp_ieee_inexact 0
		.amdhsa_exception_int_div_zero 0
	.end_amdhsa_kernel
	.section	.text._Z6kernelI14exclusive_scanILN6hipcub18BlockScanAlgorithmE0EEN15benchmark_utils11custom_typeIddEELj256ELj1ELj100EEvPKT0_PS7_S7_,"axG",@progbits,_Z6kernelI14exclusive_scanILN6hipcub18BlockScanAlgorithmE0EEN15benchmark_utils11custom_typeIddEELj256ELj1ELj100EEvPKT0_PS7_S7_,comdat
.Lfunc_end213:
	.size	_Z6kernelI14exclusive_scanILN6hipcub18BlockScanAlgorithmE0EEN15benchmark_utils11custom_typeIddEELj256ELj1ELj100EEvPKT0_PS7_S7_, .Lfunc_end213-_Z6kernelI14exclusive_scanILN6hipcub18BlockScanAlgorithmE0EEN15benchmark_utils11custom_typeIddEELj256ELj1ELj100EEvPKT0_PS7_S7_
                                        ; -- End function
	.set _Z6kernelI14exclusive_scanILN6hipcub18BlockScanAlgorithmE0EEN15benchmark_utils11custom_typeIddEELj256ELj1ELj100EEvPKT0_PS7_S7_.num_vgpr, 18
	.set _Z6kernelI14exclusive_scanILN6hipcub18BlockScanAlgorithmE0EEN15benchmark_utils11custom_typeIddEELj256ELj1ELj100EEvPKT0_PS7_S7_.num_agpr, 0
	.set _Z6kernelI14exclusive_scanILN6hipcub18BlockScanAlgorithmE0EEN15benchmark_utils11custom_typeIddEELj256ELj1ELj100EEvPKT0_PS7_S7_.numbered_sgpr, 34
	.set _Z6kernelI14exclusive_scanILN6hipcub18BlockScanAlgorithmE0EEN15benchmark_utils11custom_typeIddEELj256ELj1ELj100EEvPKT0_PS7_S7_.num_named_barrier, 0
	.set _Z6kernelI14exclusive_scanILN6hipcub18BlockScanAlgorithmE0EEN15benchmark_utils11custom_typeIddEELj256ELj1ELj100EEvPKT0_PS7_S7_.private_seg_size, 0
	.set _Z6kernelI14exclusive_scanILN6hipcub18BlockScanAlgorithmE0EEN15benchmark_utils11custom_typeIddEELj256ELj1ELj100EEvPKT0_PS7_S7_.uses_vcc, 1
	.set _Z6kernelI14exclusive_scanILN6hipcub18BlockScanAlgorithmE0EEN15benchmark_utils11custom_typeIddEELj256ELj1ELj100EEvPKT0_PS7_S7_.uses_flat_scratch, 0
	.set _Z6kernelI14exclusive_scanILN6hipcub18BlockScanAlgorithmE0EEN15benchmark_utils11custom_typeIddEELj256ELj1ELj100EEvPKT0_PS7_S7_.has_dyn_sized_stack, 0
	.set _Z6kernelI14exclusive_scanILN6hipcub18BlockScanAlgorithmE0EEN15benchmark_utils11custom_typeIddEELj256ELj1ELj100EEvPKT0_PS7_S7_.has_recursion, 0
	.set _Z6kernelI14exclusive_scanILN6hipcub18BlockScanAlgorithmE0EEN15benchmark_utils11custom_typeIddEELj256ELj1ELj100EEvPKT0_PS7_S7_.has_indirect_call, 0
	.section	.AMDGPU.csdata,"",@progbits
; Kernel info:
; codeLenInByte = 1008
; TotalNumSgprs: 38
; NumVgprs: 18
; ScratchSize: 0
; MemoryBound: 0
; FloatMode: 240
; IeeeMode: 1
; LDSByteSize: 64 bytes/workgroup (compile time only)
; SGPRBlocks: 4
; VGPRBlocks: 4
; NumSGPRsForWavesPerEU: 38
; NumVGPRsForWavesPerEU: 18
; Occupancy: 10
; WaveLimiterHint : 0
; COMPUTE_PGM_RSRC2:SCRATCH_EN: 0
; COMPUTE_PGM_RSRC2:USER_SGPR: 6
; COMPUTE_PGM_RSRC2:TRAP_HANDLER: 0
; COMPUTE_PGM_RSRC2:TGID_X_EN: 1
; COMPUTE_PGM_RSRC2:TGID_Y_EN: 0
; COMPUTE_PGM_RSRC2:TGID_Z_EN: 0
; COMPUTE_PGM_RSRC2:TIDIG_COMP_CNT: 0
	.section	.text._Z6kernelI14exclusive_scanILN6hipcub18BlockScanAlgorithmE0EEN15benchmark_utils11custom_typeIddEELj256ELj4ELj100EEvPKT0_PS7_S7_,"axG",@progbits,_Z6kernelI14exclusive_scanILN6hipcub18BlockScanAlgorithmE0EEN15benchmark_utils11custom_typeIddEELj256ELj4ELj100EEvPKT0_PS7_S7_,comdat
	.protected	_Z6kernelI14exclusive_scanILN6hipcub18BlockScanAlgorithmE0EEN15benchmark_utils11custom_typeIddEELj256ELj4ELj100EEvPKT0_PS7_S7_ ; -- Begin function _Z6kernelI14exclusive_scanILN6hipcub18BlockScanAlgorithmE0EEN15benchmark_utils11custom_typeIddEELj256ELj4ELj100EEvPKT0_PS7_S7_
	.globl	_Z6kernelI14exclusive_scanILN6hipcub18BlockScanAlgorithmE0EEN15benchmark_utils11custom_typeIddEELj256ELj4ELj100EEvPKT0_PS7_S7_
	.p2align	8
	.type	_Z6kernelI14exclusive_scanILN6hipcub18BlockScanAlgorithmE0EEN15benchmark_utils11custom_typeIddEELj256ELj4ELj100EEvPKT0_PS7_S7_,@function
_Z6kernelI14exclusive_scanILN6hipcub18BlockScanAlgorithmE0EEN15benchmark_utils11custom_typeIddEELj256ELj4ELj100EEvPKT0_PS7_S7_: ; @_Z6kernelI14exclusive_scanILN6hipcub18BlockScanAlgorithmE0EEN15benchmark_utils11custom_typeIddEELj256ELj4ELj100EEvPKT0_PS7_S7_
; %bb.0:
	s_load_dword s0, s[4:5], 0x2c
	s_load_dwordx8 s[24:31], s[4:5], 0x0
	v_mov_b32_e32 v2, 0
	v_cmp_gt_u32_e64 s[12:13], 4, v0
	v_cmp_lt_u32_e64 s[14:15], 63, v0
	s_waitcnt lgkmcnt(0)
	s_and_b32 s0, s0, 0xffff
	s_mul_i32 s6, s6, s0
	v_add_lshl_u32 v1, s6, v0, 2
	v_lshlrev_b64 v[21:22], 4, v[1:2]
	v_mov_b32_e32 v1, s25
	v_add_co_u32_e32 v17, vcc, s24, v21
	v_addc_co_u32_e32 v18, vcc, v1, v22, vcc
	global_load_dwordx4 v[13:16], v[17:18], off offset:48
	global_load_dwordx4 v[1:4], v[17:18], off offset:32
	global_load_dwordx4 v[5:8], v[17:18], off offset:16
	global_load_dwordx4 v[9:12], v[17:18], off
	v_mbcnt_lo_u32_b32 v17, -1, 0
	v_mbcnt_hi_u32_b32 v17, -1, v17
	v_and_b32_e32 v18, 15, v17
	v_cmp_ne_u32_e32 vcc, 0, v18
	v_cmp_lt_u32_e64 s[0:1], 1, v18
	v_cmp_lt_u32_e64 s[2:3], 3, v18
	v_cmp_lt_u32_e64 s[4:5], 7, v18
	v_and_b32_e32 v18, 16, v17
	v_cmp_ne_u32_e64 s[6:7], 0, v18
	v_or_b32_e32 v18, 63, v0
	v_cmp_eq_u32_e64 s[10:11], v0, v18
	v_subrev_co_u32_e64 v18, s[16:17], 1, v17
	v_and_b32_e32 v19, 64, v17
	v_cmp_lt_i32_e64 s[18:19], v18, v19
	v_cndmask_b32_e64 v18, v18, v17, s[18:19]
	v_lshlrev_b32_e32 v27, 2, v18
	v_lshrrev_b32_e32 v18, 2, v0
	v_cmp_lt_u32_e64 s[8:9], 31, v17
	v_and_b32_e32 v28, 48, v18
	v_and_b32_e32 v17, 3, v17
	v_cmp_eq_u32_e64 s[18:19], 0, v0
	v_lshlrev_b32_e32 v0, 4, v0
	v_cmp_ne_u32_e64 s[20:21], 0, v17
	v_cmp_lt_u32_e64 s[22:23], 1, v17
	v_add_u32_e32 v29, -16, v28
	s_movk_i32 s33, 0x64
.LBB214_1:                              ; =>This Inner Loop Header: Depth=1
	s_waitcnt vmcnt(0)
	v_add_f64 v[17:18], v[5:6], v[9:10]
	v_add_f64 v[19:20], v[7:8], v[11:12]
	;; [unrolled: 1-line block ×6, first 2 shown]
	s_nop 0
	v_mov_b32_dpp v13, v17 row_shr:1 row_mask:0xf bank_mask:0xf
	v_mov_b32_dpp v14, v18 row_shr:1 row_mask:0xf bank_mask:0xf
	v_mov_b32_dpp v15, v19 row_shr:1 row_mask:0xf bank_mask:0xf
	v_mov_b32_dpp v16, v20 row_shr:1 row_mask:0xf bank_mask:0xf
	s_and_saveexec_b64 s[24:25], vcc
	s_cbranch_execz .LBB214_3
; %bb.2:                                ;   in Loop: Header=BB214_1 Depth=1
	v_add_f64 v[19:20], v[19:20], v[15:16]
	v_add_f64 v[17:18], v[17:18], v[13:14]
.LBB214_3:                              ;   in Loop: Header=BB214_1 Depth=1
	s_or_b64 exec, exec, s[24:25]
	s_nop 0
	v_mov_b32_dpp v13, v17 row_shr:2 row_mask:0xf bank_mask:0xf
	v_mov_b32_dpp v14, v18 row_shr:2 row_mask:0xf bank_mask:0xf
	v_mov_b32_dpp v15, v19 row_shr:2 row_mask:0xf bank_mask:0xf
	v_mov_b32_dpp v16, v20 row_shr:2 row_mask:0xf bank_mask:0xf
	s_and_saveexec_b64 s[24:25], s[0:1]
	s_cbranch_execz .LBB214_5
; %bb.4:                                ;   in Loop: Header=BB214_1 Depth=1
	v_add_f64 v[19:20], v[19:20], v[15:16]
	v_add_f64 v[17:18], v[17:18], v[13:14]
.LBB214_5:                              ;   in Loop: Header=BB214_1 Depth=1
	s_or_b64 exec, exec, s[24:25]
	s_nop 0
	v_mov_b32_dpp v13, v17 row_shr:4 row_mask:0xf bank_mask:0xf
	v_mov_b32_dpp v14, v18 row_shr:4 row_mask:0xf bank_mask:0xf
	v_mov_b32_dpp v15, v19 row_shr:4 row_mask:0xf bank_mask:0xf
	v_mov_b32_dpp v16, v20 row_shr:4 row_mask:0xf bank_mask:0xf
	s_and_saveexec_b64 s[24:25], s[2:3]
	;; [unrolled: 12-line block ×3, first 2 shown]
	s_cbranch_execz .LBB214_9
; %bb.8:                                ;   in Loop: Header=BB214_1 Depth=1
	v_add_f64 v[19:20], v[19:20], v[15:16]
	v_add_f64 v[17:18], v[17:18], v[13:14]
.LBB214_9:                              ;   in Loop: Header=BB214_1 Depth=1
	s_or_b64 exec, exec, s[24:25]
	s_nop 0
	v_mov_b32_dpp v13, v17 row_bcast:15 row_mask:0xf bank_mask:0xf
	v_mov_b32_dpp v14, v18 row_bcast:15 row_mask:0xf bank_mask:0xf
	;; [unrolled: 1-line block ×4, first 2 shown]
	s_and_saveexec_b64 s[24:25], s[6:7]
	s_cbranch_execz .LBB214_11
; %bb.10:                               ;   in Loop: Header=BB214_1 Depth=1
	v_add_f64 v[19:20], v[19:20], v[15:16]
	v_add_f64 v[17:18], v[17:18], v[13:14]
.LBB214_11:                             ;   in Loop: Header=BB214_1 Depth=1
	s_or_b64 exec, exec, s[24:25]
	s_nop 0
	v_mov_b32_dpp v13, v17 row_bcast:31 row_mask:0xf bank_mask:0xf
	v_mov_b32_dpp v14, v18 row_bcast:31 row_mask:0xf bank_mask:0xf
	;; [unrolled: 1-line block ×4, first 2 shown]
	s_and_saveexec_b64 s[24:25], s[8:9]
	s_cbranch_execz .LBB214_13
; %bb.12:                               ;   in Loop: Header=BB214_1 Depth=1
	v_add_f64 v[19:20], v[19:20], v[15:16]
	v_add_f64 v[17:18], v[17:18], v[13:14]
.LBB214_13:                             ;   in Loop: Header=BB214_1 Depth=1
	s_or_b64 exec, exec, s[24:25]
	s_and_saveexec_b64 s[24:25], s[10:11]
; %bb.14:                               ;   in Loop: Header=BB214_1 Depth=1
	ds_write2_b64 v28, v[17:18], v[19:20] offset1:1
; %bb.15:                               ;   in Loop: Header=BB214_1 Depth=1
	s_or_b64 exec, exec, s[24:25]
	s_waitcnt lgkmcnt(0)
	s_barrier
	s_and_saveexec_b64 s[24:25], s[12:13]
	s_cbranch_execz .LBB214_21
; %bb.16:                               ;   in Loop: Header=BB214_1 Depth=1
	ds_read2_b64 v[13:16], v0 offset1:1
	s_waitcnt lgkmcnt(0)
	s_nop 0
	v_mov_b32_dpp v23, v13 row_shr:1 row_mask:0xf bank_mask:0xf
	v_mov_b32_dpp v24, v14 row_shr:1 row_mask:0xf bank_mask:0xf
	;; [unrolled: 1-line block ×4, first 2 shown]
	s_and_saveexec_b64 s[34:35], s[20:21]
	s_cbranch_execz .LBB214_18
; %bb.17:                               ;   in Loop: Header=BB214_1 Depth=1
	v_add_f64 v[15:16], v[15:16], v[25:26]
	v_add_f64 v[13:14], v[13:14], v[23:24]
.LBB214_18:                             ;   in Loop: Header=BB214_1 Depth=1
	s_or_b64 exec, exec, s[34:35]
	s_nop 0
	v_mov_b32_dpp v23, v13 row_shr:2 row_mask:0xf bank_mask:0xf
	v_mov_b32_dpp v24, v14 row_shr:2 row_mask:0xf bank_mask:0xf
	;; [unrolled: 1-line block ×4, first 2 shown]
	s_and_saveexec_b64 s[34:35], s[22:23]
	s_cbranch_execz .LBB214_20
; %bb.19:                               ;   in Loop: Header=BB214_1 Depth=1
	v_add_f64 v[15:16], v[15:16], v[25:26]
	v_add_f64 v[13:14], v[13:14], v[23:24]
.LBB214_20:                             ;   in Loop: Header=BB214_1 Depth=1
	s_or_b64 exec, exec, s[34:35]
	ds_write2_b64 v0, v[13:14], v[15:16] offset1:1
.LBB214_21:                             ;   in Loop: Header=BB214_1 Depth=1
	s_or_b64 exec, exec, s[24:25]
	v_mov_b32_e32 v13, s28
	v_mov_b32_e32 v15, s30
	;; [unrolled: 1-line block ×4, first 2 shown]
	s_waitcnt lgkmcnt(0)
	s_barrier
	s_and_saveexec_b64 s[24:25], s[14:15]
	s_cbranch_execz .LBB214_23
; %bb.22:                               ;   in Loop: Header=BB214_1 Depth=1
	ds_read2_b64 v[13:16], v29 offset1:1
	s_waitcnt lgkmcnt(0)
	v_add_f64 v[13:14], s[28:29], v[13:14]
	v_add_f64 v[15:16], s[30:31], v[15:16]
.LBB214_23:                             ;   in Loop: Header=BB214_1 Depth=1
	s_or_b64 exec, exec, s[24:25]
	v_add_f64 v[17:18], v[17:18], v[13:14]
	v_add_f64 v[19:20], v[19:20], v[15:16]
	v_mov_b32_e32 v25, s29
	v_mov_b32_e32 v23, s31
	;; [unrolled: 1-line block ×3, first 2 shown]
	s_add_i32 s33, s33, -1
	s_cmp_lg_u32 s33, 0
	ds_bpermute_b32 v18, v27, v18
	ds_bpermute_b32 v17, v27, v17
	;; [unrolled: 1-line block ×4, first 2 shown]
	s_waitcnt lgkmcnt(3)
	v_cndmask_b32_e64 v14, v18, v14, s[16:17]
	s_waitcnt lgkmcnt(2)
	v_cndmask_b32_e64 v13, v17, v13, s[16:17]
	;; [unrolled: 2-line block ×4, first 2 shown]
	v_cndmask_b32_e64 v18, v14, v25, s[18:19]
	v_mov_b32_e32 v14, s28
	v_cndmask_b32_e64 v20, v16, v23, s[18:19]
	v_cndmask_b32_e64 v19, v15, v24, s[18:19]
	;; [unrolled: 1-line block ×3, first 2 shown]
	v_add_f64 v[9:10], v[9:10], v[17:18]
	v_add_f64 v[11:12], v[11:12], v[19:20]
	;; [unrolled: 1-line block ×6, first 2 shown]
	s_cbranch_scc0 .LBB214_25
; %bb.24:                               ;   in Loop: Header=BB214_1 Depth=1
	v_mov_b32_e32 v3, v7
	v_mov_b32_e32 v1, v5
	;; [unrolled: 1-line block ×12, first 2 shown]
	s_branch .LBB214_1
.LBB214_25:
	v_mov_b32_e32 v1, s27
	v_add_co_u32_e32 v0, vcc, s26, v21
	v_addc_co_u32_e32 v1, vcc, v1, v22, vcc
	global_store_dwordx4 v[0:1], v[17:20], off
	global_store_dwordx4 v[0:1], v[9:12], off offset:16
	global_store_dwordx4 v[0:1], v[5:8], off offset:32
	;; [unrolled: 1-line block ×3, first 2 shown]
	s_endpgm
	.section	.rodata,"a",@progbits
	.p2align	6, 0x0
	.amdhsa_kernel _Z6kernelI14exclusive_scanILN6hipcub18BlockScanAlgorithmE0EEN15benchmark_utils11custom_typeIddEELj256ELj4ELj100EEvPKT0_PS7_S7_
		.amdhsa_group_segment_fixed_size 64
		.amdhsa_private_segment_fixed_size 0
		.amdhsa_kernarg_size 288
		.amdhsa_user_sgpr_count 6
		.amdhsa_user_sgpr_private_segment_buffer 1
		.amdhsa_user_sgpr_dispatch_ptr 0
		.amdhsa_user_sgpr_queue_ptr 0
		.amdhsa_user_sgpr_kernarg_segment_ptr 1
		.amdhsa_user_sgpr_dispatch_id 0
		.amdhsa_user_sgpr_flat_scratch_init 0
		.amdhsa_user_sgpr_private_segment_size 0
		.amdhsa_uses_dynamic_stack 0
		.amdhsa_system_sgpr_private_segment_wavefront_offset 0
		.amdhsa_system_sgpr_workgroup_id_x 1
		.amdhsa_system_sgpr_workgroup_id_y 0
		.amdhsa_system_sgpr_workgroup_id_z 0
		.amdhsa_system_sgpr_workgroup_info 0
		.amdhsa_system_vgpr_workitem_id 0
		.amdhsa_next_free_vgpr 30
		.amdhsa_next_free_sgpr 36
		.amdhsa_reserve_vcc 1
		.amdhsa_reserve_flat_scratch 0
		.amdhsa_float_round_mode_32 0
		.amdhsa_float_round_mode_16_64 0
		.amdhsa_float_denorm_mode_32 3
		.amdhsa_float_denorm_mode_16_64 3
		.amdhsa_dx10_clamp 1
		.amdhsa_ieee_mode 1
		.amdhsa_fp16_overflow 0
		.amdhsa_exception_fp_ieee_invalid_op 0
		.amdhsa_exception_fp_denorm_src 0
		.amdhsa_exception_fp_ieee_div_zero 0
		.amdhsa_exception_fp_ieee_overflow 0
		.amdhsa_exception_fp_ieee_underflow 0
		.amdhsa_exception_fp_ieee_inexact 0
		.amdhsa_exception_int_div_zero 0
	.end_amdhsa_kernel
	.section	.text._Z6kernelI14exclusive_scanILN6hipcub18BlockScanAlgorithmE0EEN15benchmark_utils11custom_typeIddEELj256ELj4ELj100EEvPKT0_PS7_S7_,"axG",@progbits,_Z6kernelI14exclusive_scanILN6hipcub18BlockScanAlgorithmE0EEN15benchmark_utils11custom_typeIddEELj256ELj4ELj100EEvPKT0_PS7_S7_,comdat
.Lfunc_end214:
	.size	_Z6kernelI14exclusive_scanILN6hipcub18BlockScanAlgorithmE0EEN15benchmark_utils11custom_typeIddEELj256ELj4ELj100EEvPKT0_PS7_S7_, .Lfunc_end214-_Z6kernelI14exclusive_scanILN6hipcub18BlockScanAlgorithmE0EEN15benchmark_utils11custom_typeIddEELj256ELj4ELj100EEvPKT0_PS7_S7_
                                        ; -- End function
	.set _Z6kernelI14exclusive_scanILN6hipcub18BlockScanAlgorithmE0EEN15benchmark_utils11custom_typeIddEELj256ELj4ELj100EEvPKT0_PS7_S7_.num_vgpr, 30
	.set _Z6kernelI14exclusive_scanILN6hipcub18BlockScanAlgorithmE0EEN15benchmark_utils11custom_typeIddEELj256ELj4ELj100EEvPKT0_PS7_S7_.num_agpr, 0
	.set _Z6kernelI14exclusive_scanILN6hipcub18BlockScanAlgorithmE0EEN15benchmark_utils11custom_typeIddEELj256ELj4ELj100EEvPKT0_PS7_S7_.numbered_sgpr, 36
	.set _Z6kernelI14exclusive_scanILN6hipcub18BlockScanAlgorithmE0EEN15benchmark_utils11custom_typeIddEELj256ELj4ELj100EEvPKT0_PS7_S7_.num_named_barrier, 0
	.set _Z6kernelI14exclusive_scanILN6hipcub18BlockScanAlgorithmE0EEN15benchmark_utils11custom_typeIddEELj256ELj4ELj100EEvPKT0_PS7_S7_.private_seg_size, 0
	.set _Z6kernelI14exclusive_scanILN6hipcub18BlockScanAlgorithmE0EEN15benchmark_utils11custom_typeIddEELj256ELj4ELj100EEvPKT0_PS7_S7_.uses_vcc, 1
	.set _Z6kernelI14exclusive_scanILN6hipcub18BlockScanAlgorithmE0EEN15benchmark_utils11custom_typeIddEELj256ELj4ELj100EEvPKT0_PS7_S7_.uses_flat_scratch, 0
	.set _Z6kernelI14exclusive_scanILN6hipcub18BlockScanAlgorithmE0EEN15benchmark_utils11custom_typeIddEELj256ELj4ELj100EEvPKT0_PS7_S7_.has_dyn_sized_stack, 0
	.set _Z6kernelI14exclusive_scanILN6hipcub18BlockScanAlgorithmE0EEN15benchmark_utils11custom_typeIddEELj256ELj4ELj100EEvPKT0_PS7_S7_.has_recursion, 0
	.set _Z6kernelI14exclusive_scanILN6hipcub18BlockScanAlgorithmE0EEN15benchmark_utils11custom_typeIddEELj256ELj4ELj100EEvPKT0_PS7_S7_.has_indirect_call, 0
	.section	.AMDGPU.csdata,"",@progbits
; Kernel info:
; codeLenInByte = 1260
; TotalNumSgprs: 40
; NumVgprs: 30
; ScratchSize: 0
; MemoryBound: 0
; FloatMode: 240
; IeeeMode: 1
; LDSByteSize: 64 bytes/workgroup (compile time only)
; SGPRBlocks: 4
; VGPRBlocks: 7
; NumSGPRsForWavesPerEU: 40
; NumVGPRsForWavesPerEU: 30
; Occupancy: 8
; WaveLimiterHint : 0
; COMPUTE_PGM_RSRC2:SCRATCH_EN: 0
; COMPUTE_PGM_RSRC2:USER_SGPR: 6
; COMPUTE_PGM_RSRC2:TRAP_HANDLER: 0
; COMPUTE_PGM_RSRC2:TGID_X_EN: 1
; COMPUTE_PGM_RSRC2:TGID_Y_EN: 0
; COMPUTE_PGM_RSRC2:TGID_Z_EN: 0
; COMPUTE_PGM_RSRC2:TIDIG_COMP_CNT: 0
	.section	.text._Z6kernelI14exclusive_scanILN6hipcub18BlockScanAlgorithmE0EEN15benchmark_utils11custom_typeIddEELj256ELj8ELj100EEvPKT0_PS7_S7_,"axG",@progbits,_Z6kernelI14exclusive_scanILN6hipcub18BlockScanAlgorithmE0EEN15benchmark_utils11custom_typeIddEELj256ELj8ELj100EEvPKT0_PS7_S7_,comdat
	.protected	_Z6kernelI14exclusive_scanILN6hipcub18BlockScanAlgorithmE0EEN15benchmark_utils11custom_typeIddEELj256ELj8ELj100EEvPKT0_PS7_S7_ ; -- Begin function _Z6kernelI14exclusive_scanILN6hipcub18BlockScanAlgorithmE0EEN15benchmark_utils11custom_typeIddEELj256ELj8ELj100EEvPKT0_PS7_S7_
	.globl	_Z6kernelI14exclusive_scanILN6hipcub18BlockScanAlgorithmE0EEN15benchmark_utils11custom_typeIddEELj256ELj8ELj100EEvPKT0_PS7_S7_
	.p2align	8
	.type	_Z6kernelI14exclusive_scanILN6hipcub18BlockScanAlgorithmE0EEN15benchmark_utils11custom_typeIddEELj256ELj8ELj100EEvPKT0_PS7_S7_,@function
_Z6kernelI14exclusive_scanILN6hipcub18BlockScanAlgorithmE0EEN15benchmark_utils11custom_typeIddEELj256ELj8ELj100EEvPKT0_PS7_S7_: ; @_Z6kernelI14exclusive_scanILN6hipcub18BlockScanAlgorithmE0EEN15benchmark_utils11custom_typeIddEELj256ELj8ELj100EEvPKT0_PS7_S7_
; %bb.0:
	s_load_dword s0, s[4:5], 0x2c
	s_load_dwordx8 s[24:31], s[4:5], 0x0
	v_mov_b32_e32 v2, 0
	v_cmp_gt_u32_e64 s[12:13], 4, v0
	v_cmp_lt_u32_e64 s[14:15], 63, v0
	s_waitcnt lgkmcnt(0)
	s_and_b32 s0, s0, 0xffff
	s_mul_i32 s6, s6, s0
	v_add_lshl_u32 v1, s6, v0, 3
	v_lshlrev_b64 v[45:46], 4, v[1:2]
	v_mov_b32_e32 v1, s25
	v_add_co_u32_e32 v33, vcc, s24, v45
	v_addc_co_u32_e32 v34, vcc, v1, v46, vcc
	global_load_dwordx4 v[1:4], v[33:34], off offset:48
	global_load_dwordx4 v[5:8], v[33:34], off offset:32
	;; [unrolled: 1-line block ×3, first 2 shown]
	global_load_dwordx4 v[25:28], v[33:34], off
	global_load_dwordx4 v[29:32], v[33:34], off offset:112
	global_load_dwordx4 v[9:12], v[33:34], off offset:96
	;; [unrolled: 1-line block ×4, first 2 shown]
	v_mbcnt_lo_u32_b32 v33, -1, 0
	v_mbcnt_hi_u32_b32 v33, -1, v33
	v_and_b32_e32 v34, 15, v33
	v_cmp_ne_u32_e32 vcc, 0, v34
	v_cmp_lt_u32_e64 s[0:1], 1, v34
	v_cmp_lt_u32_e64 s[2:3], 3, v34
	;; [unrolled: 1-line block ×3, first 2 shown]
	v_and_b32_e32 v34, 16, v33
	v_cmp_ne_u32_e64 s[6:7], 0, v34
	v_or_b32_e32 v34, 63, v0
	v_cmp_eq_u32_e64 s[10:11], v0, v34
	v_subrev_co_u32_e64 v34, s[16:17], 1, v33
	v_and_b32_e32 v35, 64, v33
	v_cmp_lt_i32_e64 s[18:19], v34, v35
	v_cndmask_b32_e64 v34, v34, v33, s[18:19]
	v_lshlrev_b32_e32 v47, 2, v34
	v_lshrrev_b32_e32 v34, 2, v0
	v_cmp_eq_u32_e64 s[18:19], 0, v0
	v_and_b32_e32 v48, 48, v34
	v_lshlrev_b32_e32 v49, 4, v0
	v_and_b32_e32 v0, 3, v33
	v_cmp_lt_u32_e64 s[8:9], 31, v33
	v_cmp_ne_u32_e64 s[20:21], 0, v0
	v_cmp_lt_u32_e64 s[22:23], 1, v0
	v_add_u32_e32 v50, -16, v48
	s_movk_i32 s33, 0x64
.LBB215_1:                              ; =>This Inner Loop Header: Depth=1
	s_waitcnt vmcnt(4)
	v_add_f64 v[33:34], v[21:22], v[25:26]
	v_add_f64 v[35:36], v[23:24], v[27:28]
	v_add_f64 v[33:34], v[5:6], v[33:34]
	v_add_f64 v[35:36], v[7:8], v[35:36]
	v_add_f64 v[33:34], v[1:2], v[33:34]
	v_add_f64 v[35:36], v[3:4], v[35:36]
	s_waitcnt vmcnt(0)
	v_add_f64 v[33:34], v[17:18], v[33:34]
	v_add_f64 v[35:36], v[19:20], v[35:36]
	;; [unrolled: 1-line block ×8, first 2 shown]
	s_nop 0
	v_mov_b32_dpp v29, v33 row_shr:1 row_mask:0xf bank_mask:0xf
	v_mov_b32_dpp v30, v34 row_shr:1 row_mask:0xf bank_mask:0xf
	v_mov_b32_dpp v31, v35 row_shr:1 row_mask:0xf bank_mask:0xf
	v_mov_b32_dpp v32, v36 row_shr:1 row_mask:0xf bank_mask:0xf
	s_and_saveexec_b64 s[24:25], vcc
	s_cbranch_execz .LBB215_3
; %bb.2:                                ;   in Loop: Header=BB215_1 Depth=1
	v_add_f64 v[35:36], v[35:36], v[31:32]
	v_add_f64 v[33:34], v[33:34], v[29:30]
.LBB215_3:                              ;   in Loop: Header=BB215_1 Depth=1
	s_or_b64 exec, exec, s[24:25]
	s_nop 0
	v_mov_b32_dpp v29, v33 row_shr:2 row_mask:0xf bank_mask:0xf
	v_mov_b32_dpp v30, v34 row_shr:2 row_mask:0xf bank_mask:0xf
	v_mov_b32_dpp v31, v35 row_shr:2 row_mask:0xf bank_mask:0xf
	v_mov_b32_dpp v32, v36 row_shr:2 row_mask:0xf bank_mask:0xf
	s_and_saveexec_b64 s[24:25], s[0:1]
	s_cbranch_execz .LBB215_5
; %bb.4:                                ;   in Loop: Header=BB215_1 Depth=1
	v_add_f64 v[35:36], v[35:36], v[31:32]
	v_add_f64 v[33:34], v[33:34], v[29:30]
.LBB215_5:                              ;   in Loop: Header=BB215_1 Depth=1
	s_or_b64 exec, exec, s[24:25]
	s_nop 0
	v_mov_b32_dpp v29, v33 row_shr:4 row_mask:0xf bank_mask:0xf
	v_mov_b32_dpp v30, v34 row_shr:4 row_mask:0xf bank_mask:0xf
	v_mov_b32_dpp v31, v35 row_shr:4 row_mask:0xf bank_mask:0xf
	v_mov_b32_dpp v32, v36 row_shr:4 row_mask:0xf bank_mask:0xf
	s_and_saveexec_b64 s[24:25], s[2:3]
	;; [unrolled: 12-line block ×3, first 2 shown]
	s_cbranch_execz .LBB215_9
; %bb.8:                                ;   in Loop: Header=BB215_1 Depth=1
	v_add_f64 v[35:36], v[35:36], v[31:32]
	v_add_f64 v[33:34], v[33:34], v[29:30]
.LBB215_9:                              ;   in Loop: Header=BB215_1 Depth=1
	s_or_b64 exec, exec, s[24:25]
	s_nop 0
	v_mov_b32_dpp v29, v33 row_bcast:15 row_mask:0xf bank_mask:0xf
	v_mov_b32_dpp v30, v34 row_bcast:15 row_mask:0xf bank_mask:0xf
	;; [unrolled: 1-line block ×4, first 2 shown]
	s_and_saveexec_b64 s[24:25], s[6:7]
	s_cbranch_execz .LBB215_11
; %bb.10:                               ;   in Loop: Header=BB215_1 Depth=1
	v_add_f64 v[35:36], v[35:36], v[31:32]
	v_add_f64 v[33:34], v[33:34], v[29:30]
.LBB215_11:                             ;   in Loop: Header=BB215_1 Depth=1
	s_or_b64 exec, exec, s[24:25]
	s_nop 0
	v_mov_b32_dpp v29, v33 row_bcast:31 row_mask:0xf bank_mask:0xf
	v_mov_b32_dpp v30, v34 row_bcast:31 row_mask:0xf bank_mask:0xf
	;; [unrolled: 1-line block ×4, first 2 shown]
	s_and_saveexec_b64 s[24:25], s[8:9]
	s_cbranch_execz .LBB215_13
; %bb.12:                               ;   in Loop: Header=BB215_1 Depth=1
	v_add_f64 v[35:36], v[35:36], v[31:32]
	v_add_f64 v[33:34], v[33:34], v[29:30]
.LBB215_13:                             ;   in Loop: Header=BB215_1 Depth=1
	s_or_b64 exec, exec, s[24:25]
	s_and_saveexec_b64 s[24:25], s[10:11]
; %bb.14:                               ;   in Loop: Header=BB215_1 Depth=1
	ds_write2_b64 v48, v[33:34], v[35:36] offset1:1
; %bb.15:                               ;   in Loop: Header=BB215_1 Depth=1
	s_or_b64 exec, exec, s[24:25]
	s_waitcnt lgkmcnt(0)
	s_barrier
	s_and_saveexec_b64 s[24:25], s[12:13]
	s_cbranch_execz .LBB215_21
; %bb.16:                               ;   in Loop: Header=BB215_1 Depth=1
	ds_read2_b64 v[29:32], v49 offset1:1
	s_waitcnt lgkmcnt(0)
	s_nop 0
	v_mov_b32_dpp v37, v29 row_shr:1 row_mask:0xf bank_mask:0xf
	v_mov_b32_dpp v38, v30 row_shr:1 row_mask:0xf bank_mask:0xf
	v_mov_b32_dpp v39, v31 row_shr:1 row_mask:0xf bank_mask:0xf
	v_mov_b32_dpp v40, v32 row_shr:1 row_mask:0xf bank_mask:0xf
	s_and_saveexec_b64 s[34:35], s[20:21]
	s_cbranch_execz .LBB215_18
; %bb.17:                               ;   in Loop: Header=BB215_1 Depth=1
	v_add_f64 v[31:32], v[31:32], v[39:40]
	v_add_f64 v[29:30], v[29:30], v[37:38]
.LBB215_18:                             ;   in Loop: Header=BB215_1 Depth=1
	s_or_b64 exec, exec, s[34:35]
	s_nop 0
	v_mov_b32_dpp v37, v29 row_shr:2 row_mask:0xf bank_mask:0xf
	v_mov_b32_dpp v38, v30 row_shr:2 row_mask:0xf bank_mask:0xf
	;; [unrolled: 1-line block ×4, first 2 shown]
	s_and_saveexec_b64 s[34:35], s[22:23]
	s_cbranch_execz .LBB215_20
; %bb.19:                               ;   in Loop: Header=BB215_1 Depth=1
	v_add_f64 v[31:32], v[31:32], v[39:40]
	v_add_f64 v[29:30], v[29:30], v[37:38]
.LBB215_20:                             ;   in Loop: Header=BB215_1 Depth=1
	s_or_b64 exec, exec, s[34:35]
	ds_write2_b64 v49, v[29:30], v[31:32] offset1:1
.LBB215_21:                             ;   in Loop: Header=BB215_1 Depth=1
	s_or_b64 exec, exec, s[24:25]
	v_mov_b32_e32 v30, s29
	v_mov_b32_e32 v32, s31
	;; [unrolled: 1-line block ×4, first 2 shown]
	s_waitcnt lgkmcnt(0)
	s_barrier
	s_and_saveexec_b64 s[24:25], s[14:15]
	s_cbranch_execz .LBB215_23
; %bb.22:                               ;   in Loop: Header=BB215_1 Depth=1
	ds_read2_b64 v[29:32], v50 offset1:1
	s_waitcnt lgkmcnt(0)
	v_add_f64 v[29:30], s[28:29], v[29:30]
	v_add_f64 v[31:32], s[30:31], v[31:32]
.LBB215_23:                             ;   in Loop: Header=BB215_1 Depth=1
	s_or_b64 exec, exec, s[24:25]
	v_add_f64 v[35:36], v[35:36], v[31:32]
	v_add_f64 v[33:34], v[33:34], v[29:30]
	v_mov_b32_e32 v0, s31
	v_mov_b32_e32 v37, s30
	;; [unrolled: 1-line block ×3, first 2 shown]
	s_add_i32 s33, s33, -1
	s_cmp_lg_u32 s33, 0
	ds_bpermute_b32 v36, v47, v36
	ds_bpermute_b32 v33, v47, v33
	;; [unrolled: 1-line block ×4, first 2 shown]
	s_waitcnt lgkmcnt(3)
	v_cndmask_b32_e64 v32, v36, v32, s[16:17]
	s_waitcnt lgkmcnt(2)
	v_cndmask_b32_e64 v29, v33, v29, s[16:17]
	;; [unrolled: 2-line block ×4, first 2 shown]
	v_cndmask_b32_e64 v36, v32, v0, s[18:19]
	v_mov_b32_e32 v0, s28
	v_cndmask_b32_e64 v35, v31, v37, s[18:19]
	v_cndmask_b32_e64 v34, v30, v38, s[18:19]
	;; [unrolled: 1-line block ×3, first 2 shown]
	v_add_f64 v[41:42], v[25:26], v[33:34]
	v_add_f64 v[43:44], v[27:28], v[35:36]
	;; [unrolled: 1-line block ×14, first 2 shown]
	s_cbranch_scc0 .LBB215_25
; %bb.24:                               ;   in Loop: Header=BB215_1 Depth=1
	v_mov_b32_e32 v12, v3
	v_mov_b32_e32 v10, v1
	;; [unrolled: 1-line block ×28, first 2 shown]
	s_branch .LBB215_1
.LBB215_25:
	v_mov_b32_e32 v9, s27
	v_add_co_u32_e32 v8, vcc, s26, v45
	v_addc_co_u32_e32 v9, vcc, v9, v46, vcc
	global_store_dwordx4 v[8:9], v[33:36], off
	global_store_dwordx4 v[8:9], v[41:44], off offset:16
	global_store_dwordx4 v[8:9], v[37:40], off offset:32
	;; [unrolled: 1-line block ×7, first 2 shown]
	s_endpgm
	.section	.rodata,"a",@progbits
	.p2align	6, 0x0
	.amdhsa_kernel _Z6kernelI14exclusive_scanILN6hipcub18BlockScanAlgorithmE0EEN15benchmark_utils11custom_typeIddEELj256ELj8ELj100EEvPKT0_PS7_S7_
		.amdhsa_group_segment_fixed_size 64
		.amdhsa_private_segment_fixed_size 0
		.amdhsa_kernarg_size 288
		.amdhsa_user_sgpr_count 6
		.amdhsa_user_sgpr_private_segment_buffer 1
		.amdhsa_user_sgpr_dispatch_ptr 0
		.amdhsa_user_sgpr_queue_ptr 0
		.amdhsa_user_sgpr_kernarg_segment_ptr 1
		.amdhsa_user_sgpr_dispatch_id 0
		.amdhsa_user_sgpr_flat_scratch_init 0
		.amdhsa_user_sgpr_private_segment_size 0
		.amdhsa_uses_dynamic_stack 0
		.amdhsa_system_sgpr_private_segment_wavefront_offset 0
		.amdhsa_system_sgpr_workgroup_id_x 1
		.amdhsa_system_sgpr_workgroup_id_y 0
		.amdhsa_system_sgpr_workgroup_id_z 0
		.amdhsa_system_sgpr_workgroup_info 0
		.amdhsa_system_vgpr_workitem_id 0
		.amdhsa_next_free_vgpr 51
		.amdhsa_next_free_sgpr 36
		.amdhsa_reserve_vcc 1
		.amdhsa_reserve_flat_scratch 0
		.amdhsa_float_round_mode_32 0
		.amdhsa_float_round_mode_16_64 0
		.amdhsa_float_denorm_mode_32 3
		.amdhsa_float_denorm_mode_16_64 3
		.amdhsa_dx10_clamp 1
		.amdhsa_ieee_mode 1
		.amdhsa_fp16_overflow 0
		.amdhsa_exception_fp_ieee_invalid_op 0
		.amdhsa_exception_fp_denorm_src 0
		.amdhsa_exception_fp_ieee_div_zero 0
		.amdhsa_exception_fp_ieee_overflow 0
		.amdhsa_exception_fp_ieee_underflow 0
		.amdhsa_exception_fp_ieee_inexact 0
		.amdhsa_exception_int_div_zero 0
	.end_amdhsa_kernel
	.section	.text._Z6kernelI14exclusive_scanILN6hipcub18BlockScanAlgorithmE0EEN15benchmark_utils11custom_typeIddEELj256ELj8ELj100EEvPKT0_PS7_S7_,"axG",@progbits,_Z6kernelI14exclusive_scanILN6hipcub18BlockScanAlgorithmE0EEN15benchmark_utils11custom_typeIddEELj256ELj8ELj100EEvPKT0_PS7_S7_,comdat
.Lfunc_end215:
	.size	_Z6kernelI14exclusive_scanILN6hipcub18BlockScanAlgorithmE0EEN15benchmark_utils11custom_typeIddEELj256ELj8ELj100EEvPKT0_PS7_S7_, .Lfunc_end215-_Z6kernelI14exclusive_scanILN6hipcub18BlockScanAlgorithmE0EEN15benchmark_utils11custom_typeIddEELj256ELj8ELj100EEvPKT0_PS7_S7_
                                        ; -- End function
	.set _Z6kernelI14exclusive_scanILN6hipcub18BlockScanAlgorithmE0EEN15benchmark_utils11custom_typeIddEELj256ELj8ELj100EEvPKT0_PS7_S7_.num_vgpr, 51
	.set _Z6kernelI14exclusive_scanILN6hipcub18BlockScanAlgorithmE0EEN15benchmark_utils11custom_typeIddEELj256ELj8ELj100EEvPKT0_PS7_S7_.num_agpr, 0
	.set _Z6kernelI14exclusive_scanILN6hipcub18BlockScanAlgorithmE0EEN15benchmark_utils11custom_typeIddEELj256ELj8ELj100EEvPKT0_PS7_S7_.numbered_sgpr, 36
	.set _Z6kernelI14exclusive_scanILN6hipcub18BlockScanAlgorithmE0EEN15benchmark_utils11custom_typeIddEELj256ELj8ELj100EEvPKT0_PS7_S7_.num_named_barrier, 0
	.set _Z6kernelI14exclusive_scanILN6hipcub18BlockScanAlgorithmE0EEN15benchmark_utils11custom_typeIddEELj256ELj8ELj100EEvPKT0_PS7_S7_.private_seg_size, 0
	.set _Z6kernelI14exclusive_scanILN6hipcub18BlockScanAlgorithmE0EEN15benchmark_utils11custom_typeIddEELj256ELj8ELj100EEvPKT0_PS7_S7_.uses_vcc, 1
	.set _Z6kernelI14exclusive_scanILN6hipcub18BlockScanAlgorithmE0EEN15benchmark_utils11custom_typeIddEELj256ELj8ELj100EEvPKT0_PS7_S7_.uses_flat_scratch, 0
	.set _Z6kernelI14exclusive_scanILN6hipcub18BlockScanAlgorithmE0EEN15benchmark_utils11custom_typeIddEELj256ELj8ELj100EEvPKT0_PS7_S7_.has_dyn_sized_stack, 0
	.set _Z6kernelI14exclusive_scanILN6hipcub18BlockScanAlgorithmE0EEN15benchmark_utils11custom_typeIddEELj256ELj8ELj100EEvPKT0_PS7_S7_.has_recursion, 0
	.set _Z6kernelI14exclusive_scanILN6hipcub18BlockScanAlgorithmE0EEN15benchmark_utils11custom_typeIddEELj256ELj8ELj100EEvPKT0_PS7_S7_.has_indirect_call, 0
	.section	.AMDGPU.csdata,"",@progbits
; Kernel info:
; codeLenInByte = 1520
; TotalNumSgprs: 40
; NumVgprs: 51
; ScratchSize: 0
; MemoryBound: 0
; FloatMode: 240
; IeeeMode: 1
; LDSByteSize: 64 bytes/workgroup (compile time only)
; SGPRBlocks: 4
; VGPRBlocks: 12
; NumSGPRsForWavesPerEU: 40
; NumVGPRsForWavesPerEU: 51
; Occupancy: 4
; WaveLimiterHint : 0
; COMPUTE_PGM_RSRC2:SCRATCH_EN: 0
; COMPUTE_PGM_RSRC2:USER_SGPR: 6
; COMPUTE_PGM_RSRC2:TRAP_HANDLER: 0
; COMPUTE_PGM_RSRC2:TGID_X_EN: 1
; COMPUTE_PGM_RSRC2:TGID_Y_EN: 0
; COMPUTE_PGM_RSRC2:TGID_Z_EN: 0
; COMPUTE_PGM_RSRC2:TIDIG_COMP_CNT: 0
	.section	.AMDGPU.gpr_maximums,"",@progbits
	.set amdgpu.max_num_vgpr, 0
	.set amdgpu.max_num_agpr, 0
	.set amdgpu.max_num_sgpr, 0
	.section	.AMDGPU.csdata,"",@progbits
	.type	__hip_cuid_1bec72b08a65fe89,@object ; @__hip_cuid_1bec72b08a65fe89
	.section	.bss,"aw",@nobits
	.globl	__hip_cuid_1bec72b08a65fe89
__hip_cuid_1bec72b08a65fe89:
	.byte	0                               ; 0x0
	.size	__hip_cuid_1bec72b08a65fe89, 1

	.ident	"AMD clang version 22.0.0git (https://github.com/RadeonOpenCompute/llvm-project roc-7.2.4 26084 f58b06dce1f9c15707c5f808fd002e18c2accf7e)"
	.section	".note.GNU-stack","",@progbits
	.addrsig
	.addrsig_sym __hip_cuid_1bec72b08a65fe89
	.amdgpu_metadata
---
amdhsa.kernels:
  - .args:
      - .address_space:  global
        .offset:         0
        .size:           8
        .value_kind:     global_buffer
      - .address_space:  global
        .offset:         8
        .size:           8
        .value_kind:     global_buffer
      - .offset:         16
        .size:           4
        .value_kind:     by_value
      - .offset:         24
        .size:           4
        .value_kind:     hidden_block_count_x
      - .offset:         28
        .size:           4
        .value_kind:     hidden_block_count_y
      - .offset:         32
        .size:           4
        .value_kind:     hidden_block_count_z
      - .offset:         36
        .size:           2
        .value_kind:     hidden_group_size_x
      - .offset:         38
        .size:           2
        .value_kind:     hidden_group_size_y
      - .offset:         40
        .size:           2
        .value_kind:     hidden_group_size_z
      - .offset:         42
        .size:           2
        .value_kind:     hidden_remainder_x
      - .offset:         44
        .size:           2
        .value_kind:     hidden_remainder_y
      - .offset:         46
        .size:           2
        .value_kind:     hidden_remainder_z
      - .offset:         64
        .size:           8
        .value_kind:     hidden_global_offset_x
      - .offset:         72
        .size:           8
        .value_kind:     hidden_global_offset_y
      - .offset:         80
        .size:           8
        .value_kind:     hidden_global_offset_z
      - .offset:         88
        .size:           2
        .value_kind:     hidden_grid_dims
    .group_segment_fixed_size: 4
    .kernarg_segment_align: 8
    .kernarg_segment_size: 280
    .language:       OpenCL C
    .language_version:
      - 2
      - 0
    .max_flat_workgroup_size: 64
    .name:           _Z6kernelI14inclusive_scanILN6hipcub18BlockScanAlgorithmE1EEiLj64ELj1ELj100EEvPKT0_PS4_S4_
    .private_segment_fixed_size: 0
    .sgpr_count:     21
    .sgpr_spill_count: 0
    .symbol:         _Z6kernelI14inclusive_scanILN6hipcub18BlockScanAlgorithmE1EEiLj64ELj1ELj100EEvPKT0_PS4_S4_.kd
    .uniform_work_group_size: 1
    .uses_dynamic_stack: false
    .vgpr_count:     7
    .vgpr_spill_count: 0
    .wavefront_size: 64
  - .args:
      - .address_space:  global
        .offset:         0
        .size:           8
        .value_kind:     global_buffer
      - .address_space:  global
        .offset:         8
        .size:           8
        .value_kind:     global_buffer
      - .offset:         16
        .size:           4
        .value_kind:     by_value
      - .offset:         24
        .size:           4
        .value_kind:     hidden_block_count_x
      - .offset:         28
        .size:           4
        .value_kind:     hidden_block_count_y
      - .offset:         32
        .size:           4
        .value_kind:     hidden_block_count_z
      - .offset:         36
        .size:           2
        .value_kind:     hidden_group_size_x
      - .offset:         38
        .size:           2
        .value_kind:     hidden_group_size_y
      - .offset:         40
        .size:           2
        .value_kind:     hidden_group_size_z
      - .offset:         42
        .size:           2
        .value_kind:     hidden_remainder_x
      - .offset:         44
        .size:           2
        .value_kind:     hidden_remainder_y
      - .offset:         46
        .size:           2
        .value_kind:     hidden_remainder_z
      - .offset:         64
        .size:           8
        .value_kind:     hidden_global_offset_x
      - .offset:         72
        .size:           8
        .value_kind:     hidden_global_offset_y
      - .offset:         80
        .size:           8
        .value_kind:     hidden_global_offset_z
      - .offset:         88
        .size:           2
        .value_kind:     hidden_grid_dims
    .group_segment_fixed_size: 4
    .kernarg_segment_align: 8
    .kernarg_segment_size: 280
    .language:       OpenCL C
    .language_version:
      - 2
      - 0
    .max_flat_workgroup_size: 64
    .name:           _Z6kernelI14inclusive_scanILN6hipcub18BlockScanAlgorithmE1EEiLj64ELj3ELj100EEvPKT0_PS4_S4_
    .private_segment_fixed_size: 0
    .sgpr_count:     23
    .sgpr_spill_count: 0
    .symbol:         _Z6kernelI14inclusive_scanILN6hipcub18BlockScanAlgorithmE1EEiLj64ELj3ELj100EEvPKT0_PS4_S4_.kd
    .uniform_work_group_size: 1
    .uses_dynamic_stack: false
    .vgpr_count:     17
    .vgpr_spill_count: 0
    .wavefront_size: 64
  - .args:
      - .address_space:  global
        .offset:         0
        .size:           8
        .value_kind:     global_buffer
      - .address_space:  global
        .offset:         8
        .size:           8
        .value_kind:     global_buffer
      - .offset:         16
        .size:           4
        .value_kind:     by_value
      - .offset:         24
        .size:           4
        .value_kind:     hidden_block_count_x
      - .offset:         28
        .size:           4
        .value_kind:     hidden_block_count_y
      - .offset:         32
        .size:           4
        .value_kind:     hidden_block_count_z
      - .offset:         36
        .size:           2
        .value_kind:     hidden_group_size_x
      - .offset:         38
        .size:           2
        .value_kind:     hidden_group_size_y
      - .offset:         40
        .size:           2
        .value_kind:     hidden_group_size_z
      - .offset:         42
        .size:           2
        .value_kind:     hidden_remainder_x
      - .offset:         44
        .size:           2
        .value_kind:     hidden_remainder_y
      - .offset:         46
        .size:           2
        .value_kind:     hidden_remainder_z
      - .offset:         64
        .size:           8
        .value_kind:     hidden_global_offset_x
      - .offset:         72
        .size:           8
        .value_kind:     hidden_global_offset_y
      - .offset:         80
        .size:           8
        .value_kind:     hidden_global_offset_z
      - .offset:         88
        .size:           2
        .value_kind:     hidden_grid_dims
    .group_segment_fixed_size: 4
    .kernarg_segment_align: 8
    .kernarg_segment_size: 280
    .language:       OpenCL C
    .language_version:
      - 2
      - 0
    .max_flat_workgroup_size: 64
    .name:           _Z6kernelI14inclusive_scanILN6hipcub18BlockScanAlgorithmE1EEiLj64ELj4ELj100EEvPKT0_PS4_S4_
    .private_segment_fixed_size: 0
    .sgpr_count:     23
    .sgpr_spill_count: 0
    .symbol:         _Z6kernelI14inclusive_scanILN6hipcub18BlockScanAlgorithmE1EEiLj64ELj4ELj100EEvPKT0_PS4_S4_.kd
    .uniform_work_group_size: 1
    .uses_dynamic_stack: false
    .vgpr_count:     11
    .vgpr_spill_count: 0
    .wavefront_size: 64
  - .args:
      - .address_space:  global
        .offset:         0
        .size:           8
        .value_kind:     global_buffer
      - .address_space:  global
        .offset:         8
        .size:           8
        .value_kind:     global_buffer
      - .offset:         16
        .size:           4
        .value_kind:     by_value
      - .offset:         24
        .size:           4
        .value_kind:     hidden_block_count_x
      - .offset:         28
        .size:           4
        .value_kind:     hidden_block_count_y
      - .offset:         32
        .size:           4
        .value_kind:     hidden_block_count_z
      - .offset:         36
        .size:           2
        .value_kind:     hidden_group_size_x
      - .offset:         38
        .size:           2
        .value_kind:     hidden_group_size_y
      - .offset:         40
        .size:           2
        .value_kind:     hidden_group_size_z
      - .offset:         42
        .size:           2
        .value_kind:     hidden_remainder_x
      - .offset:         44
        .size:           2
        .value_kind:     hidden_remainder_y
      - .offset:         46
        .size:           2
        .value_kind:     hidden_remainder_z
      - .offset:         64
        .size:           8
        .value_kind:     hidden_global_offset_x
      - .offset:         72
        .size:           8
        .value_kind:     hidden_global_offset_y
      - .offset:         80
        .size:           8
        .value_kind:     hidden_global_offset_z
      - .offset:         88
        .size:           2
        .value_kind:     hidden_grid_dims
    .group_segment_fixed_size: 4
    .kernarg_segment_align: 8
    .kernarg_segment_size: 280
    .language:       OpenCL C
    .language_version:
      - 2
      - 0
    .max_flat_workgroup_size: 64
    .name:           _Z6kernelI14inclusive_scanILN6hipcub18BlockScanAlgorithmE1EEiLj64ELj8ELj100EEvPKT0_PS4_S4_
    .private_segment_fixed_size: 0
    .sgpr_count:     23
    .sgpr_spill_count: 0
    .symbol:         _Z6kernelI14inclusive_scanILN6hipcub18BlockScanAlgorithmE1EEiLj64ELj8ELj100EEvPKT0_PS4_S4_.kd
    .uniform_work_group_size: 1
    .uses_dynamic_stack: false
    .vgpr_count:     15
    .vgpr_spill_count: 0
    .wavefront_size: 64
  - .args:
      - .address_space:  global
        .offset:         0
        .size:           8
        .value_kind:     global_buffer
      - .address_space:  global
        .offset:         8
        .size:           8
        .value_kind:     global_buffer
      - .offset:         16
        .size:           4
        .value_kind:     by_value
      - .offset:         24
        .size:           4
        .value_kind:     hidden_block_count_x
      - .offset:         28
        .size:           4
        .value_kind:     hidden_block_count_y
      - .offset:         32
        .size:           4
        .value_kind:     hidden_block_count_z
      - .offset:         36
        .size:           2
        .value_kind:     hidden_group_size_x
      - .offset:         38
        .size:           2
        .value_kind:     hidden_group_size_y
      - .offset:         40
        .size:           2
        .value_kind:     hidden_group_size_z
      - .offset:         42
        .size:           2
        .value_kind:     hidden_remainder_x
      - .offset:         44
        .size:           2
        .value_kind:     hidden_remainder_y
      - .offset:         46
        .size:           2
        .value_kind:     hidden_remainder_z
      - .offset:         64
        .size:           8
        .value_kind:     hidden_global_offset_x
      - .offset:         72
        .size:           8
        .value_kind:     hidden_global_offset_y
      - .offset:         80
        .size:           8
        .value_kind:     hidden_global_offset_z
      - .offset:         88
        .size:           2
        .value_kind:     hidden_grid_dims
    .group_segment_fixed_size: 4
    .kernarg_segment_align: 8
    .kernarg_segment_size: 280
    .language:       OpenCL C
    .language_version:
      - 2
      - 0
    .max_flat_workgroup_size: 64
    .name:           _Z6kernelI14inclusive_scanILN6hipcub18BlockScanAlgorithmE1EEiLj64ELj11ELj100EEvPKT0_PS4_S4_
    .private_segment_fixed_size: 0
    .sgpr_count:     23
    .sgpr_spill_count: 0
    .symbol:         _Z6kernelI14inclusive_scanILN6hipcub18BlockScanAlgorithmE1EEiLj64ELj11ELj100EEvPKT0_PS4_S4_.kd
    .uniform_work_group_size: 1
    .uses_dynamic_stack: false
    .vgpr_count:     43
    .vgpr_spill_count: 0
    .wavefront_size: 64
  - .args:
      - .address_space:  global
        .offset:         0
        .size:           8
        .value_kind:     global_buffer
      - .address_space:  global
        .offset:         8
        .size:           8
        .value_kind:     global_buffer
      - .offset:         16
        .size:           4
        .value_kind:     by_value
      - .offset:         24
        .size:           4
        .value_kind:     hidden_block_count_x
      - .offset:         28
        .size:           4
        .value_kind:     hidden_block_count_y
      - .offset:         32
        .size:           4
        .value_kind:     hidden_block_count_z
      - .offset:         36
        .size:           2
        .value_kind:     hidden_group_size_x
      - .offset:         38
        .size:           2
        .value_kind:     hidden_group_size_y
      - .offset:         40
        .size:           2
        .value_kind:     hidden_group_size_z
      - .offset:         42
        .size:           2
        .value_kind:     hidden_remainder_x
      - .offset:         44
        .size:           2
        .value_kind:     hidden_remainder_y
      - .offset:         46
        .size:           2
        .value_kind:     hidden_remainder_z
      - .offset:         64
        .size:           8
        .value_kind:     hidden_global_offset_x
      - .offset:         72
        .size:           8
        .value_kind:     hidden_global_offset_y
      - .offset:         80
        .size:           8
        .value_kind:     hidden_global_offset_z
      - .offset:         88
        .size:           2
        .value_kind:     hidden_grid_dims
    .group_segment_fixed_size: 4
    .kernarg_segment_align: 8
    .kernarg_segment_size: 280
    .language:       OpenCL C
    .language_version:
      - 2
      - 0
    .max_flat_workgroup_size: 64
    .name:           _Z6kernelI14inclusive_scanILN6hipcub18BlockScanAlgorithmE1EEiLj64ELj16ELj100EEvPKT0_PS4_S4_
    .private_segment_fixed_size: 0
    .sgpr_count:     23
    .sgpr_spill_count: 0
    .symbol:         _Z6kernelI14inclusive_scanILN6hipcub18BlockScanAlgorithmE1EEiLj64ELj16ELj100EEvPKT0_PS4_S4_.kd
    .uniform_work_group_size: 1
    .uses_dynamic_stack: false
    .vgpr_count:     23
    .vgpr_spill_count: 0
    .wavefront_size: 64
  - .args:
      - .address_space:  global
        .offset:         0
        .size:           8
        .value_kind:     global_buffer
      - .address_space:  global
        .offset:         8
        .size:           8
        .value_kind:     global_buffer
      - .offset:         16
        .size:           4
        .value_kind:     by_value
      - .offset:         24
        .size:           4
        .value_kind:     hidden_block_count_x
      - .offset:         28
        .size:           4
        .value_kind:     hidden_block_count_y
      - .offset:         32
        .size:           4
        .value_kind:     hidden_block_count_z
      - .offset:         36
        .size:           2
        .value_kind:     hidden_group_size_x
      - .offset:         38
        .size:           2
        .value_kind:     hidden_group_size_y
      - .offset:         40
        .size:           2
        .value_kind:     hidden_group_size_z
      - .offset:         42
        .size:           2
        .value_kind:     hidden_remainder_x
      - .offset:         44
        .size:           2
        .value_kind:     hidden_remainder_y
      - .offset:         46
        .size:           2
        .value_kind:     hidden_remainder_z
      - .offset:         64
        .size:           8
        .value_kind:     hidden_global_offset_x
      - .offset:         72
        .size:           8
        .value_kind:     hidden_global_offset_y
      - .offset:         80
        .size:           8
        .value_kind:     hidden_global_offset_z
      - .offset:         88
        .size:           2
        .value_kind:     hidden_grid_dims
    .group_segment_fixed_size: 4
    .kernarg_segment_align: 8
    .kernarg_segment_size: 280
    .language:       OpenCL C
    .language_version:
      - 2
      - 0
    .max_flat_workgroup_size: 64
    .name:           _Z6kernelI14inclusive_scanILN6hipcub18BlockScanAlgorithmE1EEfLj64ELj1ELj100EEvPKT0_PS4_S4_
    .private_segment_fixed_size: 0
    .sgpr_count:     21
    .sgpr_spill_count: 0
    .symbol:         _Z6kernelI14inclusive_scanILN6hipcub18BlockScanAlgorithmE1EEfLj64ELj1ELj100EEvPKT0_PS4_S4_.kd
    .uniform_work_group_size: 1
    .uses_dynamic_stack: false
    .vgpr_count:     7
    .vgpr_spill_count: 0
    .wavefront_size: 64
  - .args:
      - .address_space:  global
        .offset:         0
        .size:           8
        .value_kind:     global_buffer
      - .address_space:  global
        .offset:         8
        .size:           8
        .value_kind:     global_buffer
      - .offset:         16
        .size:           4
        .value_kind:     by_value
      - .offset:         24
        .size:           4
        .value_kind:     hidden_block_count_x
      - .offset:         28
        .size:           4
        .value_kind:     hidden_block_count_y
      - .offset:         32
        .size:           4
        .value_kind:     hidden_block_count_z
      - .offset:         36
        .size:           2
        .value_kind:     hidden_group_size_x
      - .offset:         38
        .size:           2
        .value_kind:     hidden_group_size_y
      - .offset:         40
        .size:           2
        .value_kind:     hidden_group_size_z
      - .offset:         42
        .size:           2
        .value_kind:     hidden_remainder_x
      - .offset:         44
        .size:           2
        .value_kind:     hidden_remainder_y
      - .offset:         46
        .size:           2
        .value_kind:     hidden_remainder_z
      - .offset:         64
        .size:           8
        .value_kind:     hidden_global_offset_x
      - .offset:         72
        .size:           8
        .value_kind:     hidden_global_offset_y
      - .offset:         80
        .size:           8
        .value_kind:     hidden_global_offset_z
      - .offset:         88
        .size:           2
        .value_kind:     hidden_grid_dims
    .group_segment_fixed_size: 4
    .kernarg_segment_align: 8
    .kernarg_segment_size: 280
    .language:       OpenCL C
    .language_version:
      - 2
      - 0
    .max_flat_workgroup_size: 64
    .name:           _Z6kernelI14inclusive_scanILN6hipcub18BlockScanAlgorithmE1EEfLj64ELj3ELj100EEvPKT0_PS4_S4_
    .private_segment_fixed_size: 0
    .sgpr_count:     23
    .sgpr_spill_count: 0
    .symbol:         _Z6kernelI14inclusive_scanILN6hipcub18BlockScanAlgorithmE1EEfLj64ELj3ELj100EEvPKT0_PS4_S4_.kd
    .uniform_work_group_size: 1
    .uses_dynamic_stack: false
    .vgpr_count:     17
    .vgpr_spill_count: 0
    .wavefront_size: 64
  - .args:
      - .address_space:  global
        .offset:         0
        .size:           8
        .value_kind:     global_buffer
      - .address_space:  global
        .offset:         8
        .size:           8
        .value_kind:     global_buffer
      - .offset:         16
        .size:           4
        .value_kind:     by_value
      - .offset:         24
        .size:           4
        .value_kind:     hidden_block_count_x
      - .offset:         28
        .size:           4
        .value_kind:     hidden_block_count_y
      - .offset:         32
        .size:           4
        .value_kind:     hidden_block_count_z
      - .offset:         36
        .size:           2
        .value_kind:     hidden_group_size_x
      - .offset:         38
        .size:           2
        .value_kind:     hidden_group_size_y
      - .offset:         40
        .size:           2
        .value_kind:     hidden_group_size_z
      - .offset:         42
        .size:           2
        .value_kind:     hidden_remainder_x
      - .offset:         44
        .size:           2
        .value_kind:     hidden_remainder_y
      - .offset:         46
        .size:           2
        .value_kind:     hidden_remainder_z
      - .offset:         64
        .size:           8
        .value_kind:     hidden_global_offset_x
      - .offset:         72
        .size:           8
        .value_kind:     hidden_global_offset_y
      - .offset:         80
        .size:           8
        .value_kind:     hidden_global_offset_z
      - .offset:         88
        .size:           2
        .value_kind:     hidden_grid_dims
    .group_segment_fixed_size: 4
    .kernarg_segment_align: 8
    .kernarg_segment_size: 280
    .language:       OpenCL C
    .language_version:
      - 2
      - 0
    .max_flat_workgroup_size: 64
    .name:           _Z6kernelI14inclusive_scanILN6hipcub18BlockScanAlgorithmE1EEfLj64ELj4ELj100EEvPKT0_PS4_S4_
    .private_segment_fixed_size: 0
    .sgpr_count:     23
    .sgpr_spill_count: 0
    .symbol:         _Z6kernelI14inclusive_scanILN6hipcub18BlockScanAlgorithmE1EEfLj64ELj4ELj100EEvPKT0_PS4_S4_.kd
    .uniform_work_group_size: 1
    .uses_dynamic_stack: false
    .vgpr_count:     11
    .vgpr_spill_count: 0
    .wavefront_size: 64
  - .args:
      - .address_space:  global
        .offset:         0
        .size:           8
        .value_kind:     global_buffer
      - .address_space:  global
        .offset:         8
        .size:           8
        .value_kind:     global_buffer
      - .offset:         16
        .size:           4
        .value_kind:     by_value
      - .offset:         24
        .size:           4
        .value_kind:     hidden_block_count_x
      - .offset:         28
        .size:           4
        .value_kind:     hidden_block_count_y
      - .offset:         32
        .size:           4
        .value_kind:     hidden_block_count_z
      - .offset:         36
        .size:           2
        .value_kind:     hidden_group_size_x
      - .offset:         38
        .size:           2
        .value_kind:     hidden_group_size_y
      - .offset:         40
        .size:           2
        .value_kind:     hidden_group_size_z
      - .offset:         42
        .size:           2
        .value_kind:     hidden_remainder_x
      - .offset:         44
        .size:           2
        .value_kind:     hidden_remainder_y
      - .offset:         46
        .size:           2
        .value_kind:     hidden_remainder_z
      - .offset:         64
        .size:           8
        .value_kind:     hidden_global_offset_x
      - .offset:         72
        .size:           8
        .value_kind:     hidden_global_offset_y
      - .offset:         80
        .size:           8
        .value_kind:     hidden_global_offset_z
      - .offset:         88
        .size:           2
        .value_kind:     hidden_grid_dims
    .group_segment_fixed_size: 4
    .kernarg_segment_align: 8
    .kernarg_segment_size: 280
    .language:       OpenCL C
    .language_version:
      - 2
      - 0
    .max_flat_workgroup_size: 64
    .name:           _Z6kernelI14inclusive_scanILN6hipcub18BlockScanAlgorithmE1EEfLj64ELj8ELj100EEvPKT0_PS4_S4_
    .private_segment_fixed_size: 0
    .sgpr_count:     23
    .sgpr_spill_count: 0
    .symbol:         _Z6kernelI14inclusive_scanILN6hipcub18BlockScanAlgorithmE1EEfLj64ELj8ELj100EEvPKT0_PS4_S4_.kd
    .uniform_work_group_size: 1
    .uses_dynamic_stack: false
    .vgpr_count:     15
    .vgpr_spill_count: 0
    .wavefront_size: 64
  - .args:
      - .address_space:  global
        .offset:         0
        .size:           8
        .value_kind:     global_buffer
      - .address_space:  global
        .offset:         8
        .size:           8
        .value_kind:     global_buffer
      - .offset:         16
        .size:           4
        .value_kind:     by_value
      - .offset:         24
        .size:           4
        .value_kind:     hidden_block_count_x
      - .offset:         28
        .size:           4
        .value_kind:     hidden_block_count_y
      - .offset:         32
        .size:           4
        .value_kind:     hidden_block_count_z
      - .offset:         36
        .size:           2
        .value_kind:     hidden_group_size_x
      - .offset:         38
        .size:           2
        .value_kind:     hidden_group_size_y
      - .offset:         40
        .size:           2
        .value_kind:     hidden_group_size_z
      - .offset:         42
        .size:           2
        .value_kind:     hidden_remainder_x
      - .offset:         44
        .size:           2
        .value_kind:     hidden_remainder_y
      - .offset:         46
        .size:           2
        .value_kind:     hidden_remainder_z
      - .offset:         64
        .size:           8
        .value_kind:     hidden_global_offset_x
      - .offset:         72
        .size:           8
        .value_kind:     hidden_global_offset_y
      - .offset:         80
        .size:           8
        .value_kind:     hidden_global_offset_z
      - .offset:         88
        .size:           2
        .value_kind:     hidden_grid_dims
    .group_segment_fixed_size: 4
    .kernarg_segment_align: 8
    .kernarg_segment_size: 280
    .language:       OpenCL C
    .language_version:
      - 2
      - 0
    .max_flat_workgroup_size: 64
    .name:           _Z6kernelI14inclusive_scanILN6hipcub18BlockScanAlgorithmE1EEfLj64ELj11ELj100EEvPKT0_PS4_S4_
    .private_segment_fixed_size: 0
    .sgpr_count:     23
    .sgpr_spill_count: 0
    .symbol:         _Z6kernelI14inclusive_scanILN6hipcub18BlockScanAlgorithmE1EEfLj64ELj11ELj100EEvPKT0_PS4_S4_.kd
    .uniform_work_group_size: 1
    .uses_dynamic_stack: false
    .vgpr_count:     43
    .vgpr_spill_count: 0
    .wavefront_size: 64
  - .args:
      - .address_space:  global
        .offset:         0
        .size:           8
        .value_kind:     global_buffer
      - .address_space:  global
        .offset:         8
        .size:           8
        .value_kind:     global_buffer
      - .offset:         16
        .size:           4
        .value_kind:     by_value
      - .offset:         24
        .size:           4
        .value_kind:     hidden_block_count_x
      - .offset:         28
        .size:           4
        .value_kind:     hidden_block_count_y
      - .offset:         32
        .size:           4
        .value_kind:     hidden_block_count_z
      - .offset:         36
        .size:           2
        .value_kind:     hidden_group_size_x
      - .offset:         38
        .size:           2
        .value_kind:     hidden_group_size_y
      - .offset:         40
        .size:           2
        .value_kind:     hidden_group_size_z
      - .offset:         42
        .size:           2
        .value_kind:     hidden_remainder_x
      - .offset:         44
        .size:           2
        .value_kind:     hidden_remainder_y
      - .offset:         46
        .size:           2
        .value_kind:     hidden_remainder_z
      - .offset:         64
        .size:           8
        .value_kind:     hidden_global_offset_x
      - .offset:         72
        .size:           8
        .value_kind:     hidden_global_offset_y
      - .offset:         80
        .size:           8
        .value_kind:     hidden_global_offset_z
      - .offset:         88
        .size:           2
        .value_kind:     hidden_grid_dims
    .group_segment_fixed_size: 4
    .kernarg_segment_align: 8
    .kernarg_segment_size: 280
    .language:       OpenCL C
    .language_version:
      - 2
      - 0
    .max_flat_workgroup_size: 64
    .name:           _Z6kernelI14inclusive_scanILN6hipcub18BlockScanAlgorithmE1EEfLj64ELj16ELj100EEvPKT0_PS4_S4_
    .private_segment_fixed_size: 0
    .sgpr_count:     23
    .sgpr_spill_count: 0
    .symbol:         _Z6kernelI14inclusive_scanILN6hipcub18BlockScanAlgorithmE1EEfLj64ELj16ELj100EEvPKT0_PS4_S4_.kd
    .uniform_work_group_size: 1
    .uses_dynamic_stack: false
    .vgpr_count:     23
    .vgpr_spill_count: 0
    .wavefront_size: 64
  - .args:
      - .address_space:  global
        .offset:         0
        .size:           8
        .value_kind:     global_buffer
      - .address_space:  global
        .offset:         8
        .size:           8
        .value_kind:     global_buffer
      - .offset:         16
        .size:           8
        .value_kind:     by_value
      - .offset:         24
        .size:           4
        .value_kind:     hidden_block_count_x
      - .offset:         28
        .size:           4
        .value_kind:     hidden_block_count_y
      - .offset:         32
        .size:           4
        .value_kind:     hidden_block_count_z
      - .offset:         36
        .size:           2
        .value_kind:     hidden_group_size_x
      - .offset:         38
        .size:           2
        .value_kind:     hidden_group_size_y
      - .offset:         40
        .size:           2
        .value_kind:     hidden_group_size_z
      - .offset:         42
        .size:           2
        .value_kind:     hidden_remainder_x
      - .offset:         44
        .size:           2
        .value_kind:     hidden_remainder_y
      - .offset:         46
        .size:           2
        .value_kind:     hidden_remainder_z
      - .offset:         64
        .size:           8
        .value_kind:     hidden_global_offset_x
      - .offset:         72
        .size:           8
        .value_kind:     hidden_global_offset_y
      - .offset:         80
        .size:           8
        .value_kind:     hidden_global_offset_z
      - .offset:         88
        .size:           2
        .value_kind:     hidden_grid_dims
    .group_segment_fixed_size: 8
    .kernarg_segment_align: 8
    .kernarg_segment_size: 280
    .language:       OpenCL C
    .language_version:
      - 2
      - 0
    .max_flat_workgroup_size: 64
    .name:           _Z6kernelI14inclusive_scanILN6hipcub18BlockScanAlgorithmE1EEdLj64ELj1ELj100EEvPKT0_PS4_S4_
    .private_segment_fixed_size: 0
    .sgpr_count:     21
    .sgpr_spill_count: 0
    .symbol:         _Z6kernelI14inclusive_scanILN6hipcub18BlockScanAlgorithmE1EEdLj64ELj1ELj100EEvPKT0_PS4_S4_.kd
    .uniform_work_group_size: 1
    .uses_dynamic_stack: false
    .vgpr_count:     8
    .vgpr_spill_count: 0
    .wavefront_size: 64
  - .args:
      - .address_space:  global
        .offset:         0
        .size:           8
        .value_kind:     global_buffer
      - .address_space:  global
        .offset:         8
        .size:           8
        .value_kind:     global_buffer
      - .offset:         16
        .size:           8
        .value_kind:     by_value
      - .offset:         24
        .size:           4
        .value_kind:     hidden_block_count_x
      - .offset:         28
        .size:           4
        .value_kind:     hidden_block_count_y
      - .offset:         32
        .size:           4
        .value_kind:     hidden_block_count_z
      - .offset:         36
        .size:           2
        .value_kind:     hidden_group_size_x
      - .offset:         38
        .size:           2
        .value_kind:     hidden_group_size_y
      - .offset:         40
        .size:           2
        .value_kind:     hidden_group_size_z
      - .offset:         42
        .size:           2
        .value_kind:     hidden_remainder_x
      - .offset:         44
        .size:           2
        .value_kind:     hidden_remainder_y
      - .offset:         46
        .size:           2
        .value_kind:     hidden_remainder_z
      - .offset:         64
        .size:           8
        .value_kind:     hidden_global_offset_x
      - .offset:         72
        .size:           8
        .value_kind:     hidden_global_offset_y
      - .offset:         80
        .size:           8
        .value_kind:     hidden_global_offset_z
      - .offset:         88
        .size:           2
        .value_kind:     hidden_grid_dims
    .group_segment_fixed_size: 8
    .kernarg_segment_align: 8
    .kernarg_segment_size: 280
    .language:       OpenCL C
    .language_version:
      - 2
      - 0
    .max_flat_workgroup_size: 64
    .name:           _Z6kernelI14inclusive_scanILN6hipcub18BlockScanAlgorithmE1EEdLj64ELj3ELj100EEvPKT0_PS4_S4_
    .private_segment_fixed_size: 0
    .sgpr_count:     23
    .sgpr_spill_count: 0
    .symbol:         _Z6kernelI14inclusive_scanILN6hipcub18BlockScanAlgorithmE1EEdLj64ELj3ELj100EEvPKT0_PS4_S4_.kd
    .uniform_work_group_size: 1
    .uses_dynamic_stack: false
    .vgpr_count:     21
    .vgpr_spill_count: 0
    .wavefront_size: 64
  - .args:
      - .address_space:  global
        .offset:         0
        .size:           8
        .value_kind:     global_buffer
      - .address_space:  global
        .offset:         8
        .size:           8
        .value_kind:     global_buffer
      - .offset:         16
        .size:           8
        .value_kind:     by_value
      - .offset:         24
        .size:           4
        .value_kind:     hidden_block_count_x
      - .offset:         28
        .size:           4
        .value_kind:     hidden_block_count_y
      - .offset:         32
        .size:           4
        .value_kind:     hidden_block_count_z
      - .offset:         36
        .size:           2
        .value_kind:     hidden_group_size_x
      - .offset:         38
        .size:           2
        .value_kind:     hidden_group_size_y
      - .offset:         40
        .size:           2
        .value_kind:     hidden_group_size_z
      - .offset:         42
        .size:           2
        .value_kind:     hidden_remainder_x
      - .offset:         44
        .size:           2
        .value_kind:     hidden_remainder_y
      - .offset:         46
        .size:           2
        .value_kind:     hidden_remainder_z
      - .offset:         64
        .size:           8
        .value_kind:     hidden_global_offset_x
      - .offset:         72
        .size:           8
        .value_kind:     hidden_global_offset_y
      - .offset:         80
        .size:           8
        .value_kind:     hidden_global_offset_z
      - .offset:         88
        .size:           2
        .value_kind:     hidden_grid_dims
    .group_segment_fixed_size: 8
    .kernarg_segment_align: 8
    .kernarg_segment_size: 280
    .language:       OpenCL C
    .language_version:
      - 2
      - 0
    .max_flat_workgroup_size: 64
    .name:           _Z6kernelI14inclusive_scanILN6hipcub18BlockScanAlgorithmE1EEdLj64ELj4ELj100EEvPKT0_PS4_S4_
    .private_segment_fixed_size: 0
    .sgpr_count:     23
    .sgpr_spill_count: 0
    .symbol:         _Z6kernelI14inclusive_scanILN6hipcub18BlockScanAlgorithmE1EEdLj64ELj4ELj100EEvPKT0_PS4_S4_.kd
    .uniform_work_group_size: 1
    .uses_dynamic_stack: false
    .vgpr_count:     17
    .vgpr_spill_count: 0
    .wavefront_size: 64
  - .args:
      - .address_space:  global
        .offset:         0
        .size:           8
        .value_kind:     global_buffer
      - .address_space:  global
        .offset:         8
        .size:           8
        .value_kind:     global_buffer
      - .offset:         16
        .size:           8
        .value_kind:     by_value
      - .offset:         24
        .size:           4
        .value_kind:     hidden_block_count_x
      - .offset:         28
        .size:           4
        .value_kind:     hidden_block_count_y
      - .offset:         32
        .size:           4
        .value_kind:     hidden_block_count_z
      - .offset:         36
        .size:           2
        .value_kind:     hidden_group_size_x
      - .offset:         38
        .size:           2
        .value_kind:     hidden_group_size_y
      - .offset:         40
        .size:           2
        .value_kind:     hidden_group_size_z
      - .offset:         42
        .size:           2
        .value_kind:     hidden_remainder_x
      - .offset:         44
        .size:           2
        .value_kind:     hidden_remainder_y
      - .offset:         46
        .size:           2
        .value_kind:     hidden_remainder_z
      - .offset:         64
        .size:           8
        .value_kind:     hidden_global_offset_x
      - .offset:         72
        .size:           8
        .value_kind:     hidden_global_offset_y
      - .offset:         80
        .size:           8
        .value_kind:     hidden_global_offset_z
      - .offset:         88
        .size:           2
        .value_kind:     hidden_grid_dims
    .group_segment_fixed_size: 8
    .kernarg_segment_align: 8
    .kernarg_segment_size: 280
    .language:       OpenCL C
    .language_version:
      - 2
      - 0
    .max_flat_workgroup_size: 64
    .name:           _Z6kernelI14inclusive_scanILN6hipcub18BlockScanAlgorithmE1EEdLj64ELj8ELj100EEvPKT0_PS4_S4_
    .private_segment_fixed_size: 0
    .sgpr_count:     23
    .sgpr_spill_count: 0
    .symbol:         _Z6kernelI14inclusive_scanILN6hipcub18BlockScanAlgorithmE1EEdLj64ELj8ELj100EEvPKT0_PS4_S4_.kd
    .uniform_work_group_size: 1
    .uses_dynamic_stack: false
    .vgpr_count:     25
    .vgpr_spill_count: 0
    .wavefront_size: 64
  - .args:
      - .address_space:  global
        .offset:         0
        .size:           8
        .value_kind:     global_buffer
      - .address_space:  global
        .offset:         8
        .size:           8
        .value_kind:     global_buffer
      - .offset:         16
        .size:           8
        .value_kind:     by_value
      - .offset:         24
        .size:           4
        .value_kind:     hidden_block_count_x
      - .offset:         28
        .size:           4
        .value_kind:     hidden_block_count_y
      - .offset:         32
        .size:           4
        .value_kind:     hidden_block_count_z
      - .offset:         36
        .size:           2
        .value_kind:     hidden_group_size_x
      - .offset:         38
        .size:           2
        .value_kind:     hidden_group_size_y
      - .offset:         40
        .size:           2
        .value_kind:     hidden_group_size_z
      - .offset:         42
        .size:           2
        .value_kind:     hidden_remainder_x
      - .offset:         44
        .size:           2
        .value_kind:     hidden_remainder_y
      - .offset:         46
        .size:           2
        .value_kind:     hidden_remainder_z
      - .offset:         64
        .size:           8
        .value_kind:     hidden_global_offset_x
      - .offset:         72
        .size:           8
        .value_kind:     hidden_global_offset_y
      - .offset:         80
        .size:           8
        .value_kind:     hidden_global_offset_z
      - .offset:         88
        .size:           2
        .value_kind:     hidden_grid_dims
    .group_segment_fixed_size: 8
    .kernarg_segment_align: 8
    .kernarg_segment_size: 280
    .language:       OpenCL C
    .language_version:
      - 2
      - 0
    .max_flat_workgroup_size: 64
    .name:           _Z6kernelI14inclusive_scanILN6hipcub18BlockScanAlgorithmE1EEdLj64ELj11ELj100EEvPKT0_PS4_S4_
    .private_segment_fixed_size: 0
    .sgpr_count:     23
    .sgpr_spill_count: 0
    .symbol:         _Z6kernelI14inclusive_scanILN6hipcub18BlockScanAlgorithmE1EEdLj64ELj11ELj100EEvPKT0_PS4_S4_.kd
    .uniform_work_group_size: 1
    .uses_dynamic_stack: false
    .vgpr_count:     65
    .vgpr_spill_count: 0
    .wavefront_size: 64
  - .args:
      - .address_space:  global
        .offset:         0
        .size:           8
        .value_kind:     global_buffer
      - .address_space:  global
        .offset:         8
        .size:           8
        .value_kind:     global_buffer
      - .offset:         16
        .size:           8
        .value_kind:     by_value
      - .offset:         24
        .size:           4
        .value_kind:     hidden_block_count_x
      - .offset:         28
        .size:           4
        .value_kind:     hidden_block_count_y
      - .offset:         32
        .size:           4
        .value_kind:     hidden_block_count_z
      - .offset:         36
        .size:           2
        .value_kind:     hidden_group_size_x
      - .offset:         38
        .size:           2
        .value_kind:     hidden_group_size_y
      - .offset:         40
        .size:           2
        .value_kind:     hidden_group_size_z
      - .offset:         42
        .size:           2
        .value_kind:     hidden_remainder_x
      - .offset:         44
        .size:           2
        .value_kind:     hidden_remainder_y
      - .offset:         46
        .size:           2
        .value_kind:     hidden_remainder_z
      - .offset:         64
        .size:           8
        .value_kind:     hidden_global_offset_x
      - .offset:         72
        .size:           8
        .value_kind:     hidden_global_offset_y
      - .offset:         80
        .size:           8
        .value_kind:     hidden_global_offset_z
      - .offset:         88
        .size:           2
        .value_kind:     hidden_grid_dims
    .group_segment_fixed_size: 8
    .kernarg_segment_align: 8
    .kernarg_segment_size: 280
    .language:       OpenCL C
    .language_version:
      - 2
      - 0
    .max_flat_workgroup_size: 64
    .name:           _Z6kernelI14inclusive_scanILN6hipcub18BlockScanAlgorithmE1EEdLj64ELj16ELj100EEvPKT0_PS4_S4_
    .private_segment_fixed_size: 0
    .sgpr_count:     23
    .sgpr_spill_count: 0
    .symbol:         _Z6kernelI14inclusive_scanILN6hipcub18BlockScanAlgorithmE1EEdLj64ELj16ELj100EEvPKT0_PS4_S4_.kd
    .uniform_work_group_size: 1
    .uses_dynamic_stack: false
    .vgpr_count:     41
    .vgpr_spill_count: 0
    .wavefront_size: 64
  - .args:
      - .address_space:  global
        .offset:         0
        .size:           8
        .value_kind:     global_buffer
      - .address_space:  global
        .offset:         8
        .size:           8
        .value_kind:     global_buffer
      - .offset:         16
        .size:           1
        .value_kind:     by_value
      - .offset:         24
        .size:           4
        .value_kind:     hidden_block_count_x
      - .offset:         28
        .size:           4
        .value_kind:     hidden_block_count_y
      - .offset:         32
        .size:           4
        .value_kind:     hidden_block_count_z
      - .offset:         36
        .size:           2
        .value_kind:     hidden_group_size_x
      - .offset:         38
        .size:           2
        .value_kind:     hidden_group_size_y
      - .offset:         40
        .size:           2
        .value_kind:     hidden_group_size_z
      - .offset:         42
        .size:           2
        .value_kind:     hidden_remainder_x
      - .offset:         44
        .size:           2
        .value_kind:     hidden_remainder_y
      - .offset:         46
        .size:           2
        .value_kind:     hidden_remainder_z
      - .offset:         64
        .size:           8
        .value_kind:     hidden_global_offset_x
      - .offset:         72
        .size:           8
        .value_kind:     hidden_global_offset_y
      - .offset:         80
        .size:           8
        .value_kind:     hidden_global_offset_z
      - .offset:         88
        .size:           2
        .value_kind:     hidden_grid_dims
    .group_segment_fixed_size: 1
    .kernarg_segment_align: 8
    .kernarg_segment_size: 280
    .language:       OpenCL C
    .language_version:
      - 2
      - 0
    .max_flat_workgroup_size: 64
    .name:           _Z6kernelI14inclusive_scanILN6hipcub18BlockScanAlgorithmE1EEhLj64ELj1ELj100EEvPKT0_PS4_S4_
    .private_segment_fixed_size: 0
    .sgpr_count:     21
    .sgpr_spill_count: 0
    .symbol:         _Z6kernelI14inclusive_scanILN6hipcub18BlockScanAlgorithmE1EEhLj64ELj1ELj100EEvPKT0_PS4_S4_.kd
    .uniform_work_group_size: 1
    .uses_dynamic_stack: false
    .vgpr_count:     6
    .vgpr_spill_count: 0
    .wavefront_size: 64
  - .args:
      - .address_space:  global
        .offset:         0
        .size:           8
        .value_kind:     global_buffer
      - .address_space:  global
        .offset:         8
        .size:           8
        .value_kind:     global_buffer
      - .offset:         16
        .size:           1
        .value_kind:     by_value
      - .offset:         24
        .size:           4
        .value_kind:     hidden_block_count_x
      - .offset:         28
        .size:           4
        .value_kind:     hidden_block_count_y
      - .offset:         32
        .size:           4
        .value_kind:     hidden_block_count_z
      - .offset:         36
        .size:           2
        .value_kind:     hidden_group_size_x
      - .offset:         38
        .size:           2
        .value_kind:     hidden_group_size_y
      - .offset:         40
        .size:           2
        .value_kind:     hidden_group_size_z
      - .offset:         42
        .size:           2
        .value_kind:     hidden_remainder_x
      - .offset:         44
        .size:           2
        .value_kind:     hidden_remainder_y
      - .offset:         46
        .size:           2
        .value_kind:     hidden_remainder_z
      - .offset:         64
        .size:           8
        .value_kind:     hidden_global_offset_x
      - .offset:         72
        .size:           8
        .value_kind:     hidden_global_offset_y
      - .offset:         80
        .size:           8
        .value_kind:     hidden_global_offset_z
      - .offset:         88
        .size:           2
        .value_kind:     hidden_grid_dims
    .group_segment_fixed_size: 1
    .kernarg_segment_align: 8
    .kernarg_segment_size: 280
    .language:       OpenCL C
    .language_version:
      - 2
      - 0
    .max_flat_workgroup_size: 64
    .name:           _Z6kernelI14inclusive_scanILN6hipcub18BlockScanAlgorithmE1EEhLj64ELj3ELj100EEvPKT0_PS4_S4_
    .private_segment_fixed_size: 0
    .sgpr_count:     23
    .sgpr_spill_count: 0
    .symbol:         _Z6kernelI14inclusive_scanILN6hipcub18BlockScanAlgorithmE1EEhLj64ELj3ELj100EEvPKT0_PS4_S4_.kd
    .uniform_work_group_size: 1
    .uses_dynamic_stack: false
    .vgpr_count:     11
    .vgpr_spill_count: 0
    .wavefront_size: 64
  - .args:
      - .address_space:  global
        .offset:         0
        .size:           8
        .value_kind:     global_buffer
      - .address_space:  global
        .offset:         8
        .size:           8
        .value_kind:     global_buffer
      - .offset:         16
        .size:           1
        .value_kind:     by_value
      - .offset:         24
        .size:           4
        .value_kind:     hidden_block_count_x
      - .offset:         28
        .size:           4
        .value_kind:     hidden_block_count_y
      - .offset:         32
        .size:           4
        .value_kind:     hidden_block_count_z
      - .offset:         36
        .size:           2
        .value_kind:     hidden_group_size_x
      - .offset:         38
        .size:           2
        .value_kind:     hidden_group_size_y
      - .offset:         40
        .size:           2
        .value_kind:     hidden_group_size_z
      - .offset:         42
        .size:           2
        .value_kind:     hidden_remainder_x
      - .offset:         44
        .size:           2
        .value_kind:     hidden_remainder_y
      - .offset:         46
        .size:           2
        .value_kind:     hidden_remainder_z
      - .offset:         64
        .size:           8
        .value_kind:     hidden_global_offset_x
      - .offset:         72
        .size:           8
        .value_kind:     hidden_global_offset_y
      - .offset:         80
        .size:           8
        .value_kind:     hidden_global_offset_z
      - .offset:         88
        .size:           2
        .value_kind:     hidden_grid_dims
    .group_segment_fixed_size: 1
    .kernarg_segment_align: 8
    .kernarg_segment_size: 280
    .language:       OpenCL C
    .language_version:
      - 2
      - 0
    .max_flat_workgroup_size: 64
    .name:           _Z6kernelI14inclusive_scanILN6hipcub18BlockScanAlgorithmE1EEhLj64ELj4ELj100EEvPKT0_PS4_S4_
    .private_segment_fixed_size: 0
    .sgpr_count:     24
    .sgpr_spill_count: 0
    .symbol:         _Z6kernelI14inclusive_scanILN6hipcub18BlockScanAlgorithmE1EEhLj64ELj4ELj100EEvPKT0_PS4_S4_.kd
    .uniform_work_group_size: 1
    .uses_dynamic_stack: false
    .vgpr_count:     9
    .vgpr_spill_count: 0
    .wavefront_size: 64
  - .args:
      - .address_space:  global
        .offset:         0
        .size:           8
        .value_kind:     global_buffer
      - .address_space:  global
        .offset:         8
        .size:           8
        .value_kind:     global_buffer
      - .offset:         16
        .size:           1
        .value_kind:     by_value
      - .offset:         24
        .size:           4
        .value_kind:     hidden_block_count_x
      - .offset:         28
        .size:           4
        .value_kind:     hidden_block_count_y
      - .offset:         32
        .size:           4
        .value_kind:     hidden_block_count_z
      - .offset:         36
        .size:           2
        .value_kind:     hidden_group_size_x
      - .offset:         38
        .size:           2
        .value_kind:     hidden_group_size_y
      - .offset:         40
        .size:           2
        .value_kind:     hidden_group_size_z
      - .offset:         42
        .size:           2
        .value_kind:     hidden_remainder_x
      - .offset:         44
        .size:           2
        .value_kind:     hidden_remainder_y
      - .offset:         46
        .size:           2
        .value_kind:     hidden_remainder_z
      - .offset:         64
        .size:           8
        .value_kind:     hidden_global_offset_x
      - .offset:         72
        .size:           8
        .value_kind:     hidden_global_offset_y
      - .offset:         80
        .size:           8
        .value_kind:     hidden_global_offset_z
      - .offset:         88
        .size:           2
        .value_kind:     hidden_grid_dims
    .group_segment_fixed_size: 1
    .kernarg_segment_align: 8
    .kernarg_segment_size: 280
    .language:       OpenCL C
    .language_version:
      - 2
      - 0
    .max_flat_workgroup_size: 64
    .name:           _Z6kernelI14inclusive_scanILN6hipcub18BlockScanAlgorithmE1EEhLj64ELj8ELj100EEvPKT0_PS4_S4_
    .private_segment_fixed_size: 0
    .sgpr_count:     23
    .sgpr_spill_count: 0
    .symbol:         _Z6kernelI14inclusive_scanILN6hipcub18BlockScanAlgorithmE1EEhLj64ELj8ELj100EEvPKT0_PS4_S4_.kd
    .uniform_work_group_size: 1
    .uses_dynamic_stack: false
    .vgpr_count:     14
    .vgpr_spill_count: 0
    .wavefront_size: 64
  - .args:
      - .address_space:  global
        .offset:         0
        .size:           8
        .value_kind:     global_buffer
      - .address_space:  global
        .offset:         8
        .size:           8
        .value_kind:     global_buffer
      - .offset:         16
        .size:           1
        .value_kind:     by_value
      - .offset:         24
        .size:           4
        .value_kind:     hidden_block_count_x
      - .offset:         28
        .size:           4
        .value_kind:     hidden_block_count_y
      - .offset:         32
        .size:           4
        .value_kind:     hidden_block_count_z
      - .offset:         36
        .size:           2
        .value_kind:     hidden_group_size_x
      - .offset:         38
        .size:           2
        .value_kind:     hidden_group_size_y
      - .offset:         40
        .size:           2
        .value_kind:     hidden_group_size_z
      - .offset:         42
        .size:           2
        .value_kind:     hidden_remainder_x
      - .offset:         44
        .size:           2
        .value_kind:     hidden_remainder_y
      - .offset:         46
        .size:           2
        .value_kind:     hidden_remainder_z
      - .offset:         64
        .size:           8
        .value_kind:     hidden_global_offset_x
      - .offset:         72
        .size:           8
        .value_kind:     hidden_global_offset_y
      - .offset:         80
        .size:           8
        .value_kind:     hidden_global_offset_z
      - .offset:         88
        .size:           2
        .value_kind:     hidden_grid_dims
    .group_segment_fixed_size: 1
    .kernarg_segment_align: 8
    .kernarg_segment_size: 280
    .language:       OpenCL C
    .language_version:
      - 2
      - 0
    .max_flat_workgroup_size: 64
    .name:           _Z6kernelI14inclusive_scanILN6hipcub18BlockScanAlgorithmE1EEhLj64ELj11ELj100EEvPKT0_PS4_S4_
    .private_segment_fixed_size: 0
    .sgpr_count:     24
    .sgpr_spill_count: 0
    .symbol:         _Z6kernelI14inclusive_scanILN6hipcub18BlockScanAlgorithmE1EEhLj64ELj11ELj100EEvPKT0_PS4_S4_.kd
    .uniform_work_group_size: 1
    .uses_dynamic_stack: false
    .vgpr_count:     27
    .vgpr_spill_count: 0
    .wavefront_size: 64
  - .args:
      - .address_space:  global
        .offset:         0
        .size:           8
        .value_kind:     global_buffer
      - .address_space:  global
        .offset:         8
        .size:           8
        .value_kind:     global_buffer
      - .offset:         16
        .size:           1
        .value_kind:     by_value
      - .offset:         24
        .size:           4
        .value_kind:     hidden_block_count_x
      - .offset:         28
        .size:           4
        .value_kind:     hidden_block_count_y
      - .offset:         32
        .size:           4
        .value_kind:     hidden_block_count_z
      - .offset:         36
        .size:           2
        .value_kind:     hidden_group_size_x
      - .offset:         38
        .size:           2
        .value_kind:     hidden_group_size_y
      - .offset:         40
        .size:           2
        .value_kind:     hidden_group_size_z
      - .offset:         42
        .size:           2
        .value_kind:     hidden_remainder_x
      - .offset:         44
        .size:           2
        .value_kind:     hidden_remainder_y
      - .offset:         46
        .size:           2
        .value_kind:     hidden_remainder_z
      - .offset:         64
        .size:           8
        .value_kind:     hidden_global_offset_x
      - .offset:         72
        .size:           8
        .value_kind:     hidden_global_offset_y
      - .offset:         80
        .size:           8
        .value_kind:     hidden_global_offset_z
      - .offset:         88
        .size:           2
        .value_kind:     hidden_grid_dims
    .group_segment_fixed_size: 1
    .kernarg_segment_align: 8
    .kernarg_segment_size: 280
    .language:       OpenCL C
    .language_version:
      - 2
      - 0
    .max_flat_workgroup_size: 64
    .name:           _Z6kernelI14inclusive_scanILN6hipcub18BlockScanAlgorithmE1EEhLj64ELj16ELj100EEvPKT0_PS4_S4_
    .private_segment_fixed_size: 0
    .sgpr_count:     23
    .sgpr_spill_count: 0
    .symbol:         _Z6kernelI14inclusive_scanILN6hipcub18BlockScanAlgorithmE1EEhLj64ELj16ELj100EEvPKT0_PS4_S4_.kd
    .uniform_work_group_size: 1
    .uses_dynamic_stack: false
    .vgpr_count:     23
    .vgpr_spill_count: 0
    .wavefront_size: 64
  - .args:
      - .address_space:  global
        .offset:         0
        .size:           8
        .value_kind:     global_buffer
      - .address_space:  global
        .offset:         8
        .size:           8
        .value_kind:     global_buffer
      - .offset:         16
        .size:           4
        .value_kind:     by_value
      - .offset:         24
        .size:           4
        .value_kind:     hidden_block_count_x
      - .offset:         28
        .size:           4
        .value_kind:     hidden_block_count_y
      - .offset:         32
        .size:           4
        .value_kind:     hidden_block_count_z
      - .offset:         36
        .size:           2
        .value_kind:     hidden_group_size_x
      - .offset:         38
        .size:           2
        .value_kind:     hidden_group_size_y
      - .offset:         40
        .size:           2
        .value_kind:     hidden_group_size_z
      - .offset:         42
        .size:           2
        .value_kind:     hidden_remainder_x
      - .offset:         44
        .size:           2
        .value_kind:     hidden_remainder_y
      - .offset:         46
        .size:           2
        .value_kind:     hidden_remainder_z
      - .offset:         64
        .size:           8
        .value_kind:     hidden_global_offset_x
      - .offset:         72
        .size:           8
        .value_kind:     hidden_global_offset_y
      - .offset:         80
        .size:           8
        .value_kind:     hidden_global_offset_z
      - .offset:         88
        .size:           2
        .value_kind:     hidden_grid_dims
    .group_segment_fixed_size: 1056
    .kernarg_segment_align: 8
    .kernarg_segment_size: 280
    .language:       OpenCL C
    .language_version:
      - 2
      - 0
    .max_flat_workgroup_size: 256
    .name:           _Z6kernelI14inclusive_scanILN6hipcub18BlockScanAlgorithmE1EEiLj256ELj1ELj100EEvPKT0_PS4_S4_
    .private_segment_fixed_size: 0
    .sgpr_count:     16
    .sgpr_spill_count: 0
    .symbol:         _Z6kernelI14inclusive_scanILN6hipcub18BlockScanAlgorithmE1EEiLj256ELj1ELj100EEvPKT0_PS4_S4_.kd
    .uniform_work_group_size: 1
    .uses_dynamic_stack: false
    .vgpr_count:     16
    .vgpr_spill_count: 0
    .wavefront_size: 64
  - .args:
      - .address_space:  global
        .offset:         0
        .size:           8
        .value_kind:     global_buffer
      - .address_space:  global
        .offset:         8
        .size:           8
        .value_kind:     global_buffer
      - .offset:         16
        .size:           4
        .value_kind:     by_value
      - .offset:         24
        .size:           4
        .value_kind:     hidden_block_count_x
      - .offset:         28
        .size:           4
        .value_kind:     hidden_block_count_y
      - .offset:         32
        .size:           4
        .value_kind:     hidden_block_count_z
      - .offset:         36
        .size:           2
        .value_kind:     hidden_group_size_x
      - .offset:         38
        .size:           2
        .value_kind:     hidden_group_size_y
      - .offset:         40
        .size:           2
        .value_kind:     hidden_group_size_z
      - .offset:         42
        .size:           2
        .value_kind:     hidden_remainder_x
      - .offset:         44
        .size:           2
        .value_kind:     hidden_remainder_y
      - .offset:         46
        .size:           2
        .value_kind:     hidden_remainder_z
      - .offset:         64
        .size:           8
        .value_kind:     hidden_global_offset_x
      - .offset:         72
        .size:           8
        .value_kind:     hidden_global_offset_y
      - .offset:         80
        .size:           8
        .value_kind:     hidden_global_offset_z
      - .offset:         88
        .size:           2
        .value_kind:     hidden_grid_dims
    .group_segment_fixed_size: 1056
    .kernarg_segment_align: 8
    .kernarg_segment_size: 280
    .language:       OpenCL C
    .language_version:
      - 2
      - 0
    .max_flat_workgroup_size: 256
    .name:           _Z6kernelI14inclusive_scanILN6hipcub18BlockScanAlgorithmE1EEiLj256ELj3ELj100EEvPKT0_PS4_S4_
    .private_segment_fixed_size: 0
    .sgpr_count:     16
    .sgpr_spill_count: 0
    .symbol:         _Z6kernelI14inclusive_scanILN6hipcub18BlockScanAlgorithmE1EEiLj256ELj3ELj100EEvPKT0_PS4_S4_.kd
    .uniform_work_group_size: 1
    .uses_dynamic_stack: false
    .vgpr_count:     22
    .vgpr_spill_count: 0
    .wavefront_size: 64
  - .args:
      - .address_space:  global
        .offset:         0
        .size:           8
        .value_kind:     global_buffer
      - .address_space:  global
        .offset:         8
        .size:           8
        .value_kind:     global_buffer
      - .offset:         16
        .size:           4
        .value_kind:     by_value
      - .offset:         24
        .size:           4
        .value_kind:     hidden_block_count_x
      - .offset:         28
        .size:           4
        .value_kind:     hidden_block_count_y
      - .offset:         32
        .size:           4
        .value_kind:     hidden_block_count_z
      - .offset:         36
        .size:           2
        .value_kind:     hidden_group_size_x
      - .offset:         38
        .size:           2
        .value_kind:     hidden_group_size_y
      - .offset:         40
        .size:           2
        .value_kind:     hidden_group_size_z
      - .offset:         42
        .size:           2
        .value_kind:     hidden_remainder_x
      - .offset:         44
        .size:           2
        .value_kind:     hidden_remainder_y
      - .offset:         46
        .size:           2
        .value_kind:     hidden_remainder_z
      - .offset:         64
        .size:           8
        .value_kind:     hidden_global_offset_x
      - .offset:         72
        .size:           8
        .value_kind:     hidden_global_offset_y
      - .offset:         80
        .size:           8
        .value_kind:     hidden_global_offset_z
      - .offset:         88
        .size:           2
        .value_kind:     hidden_grid_dims
    .group_segment_fixed_size: 1056
    .kernarg_segment_align: 8
    .kernarg_segment_size: 280
    .language:       OpenCL C
    .language_version:
      - 2
      - 0
    .max_flat_workgroup_size: 256
    .name:           _Z6kernelI14inclusive_scanILN6hipcub18BlockScanAlgorithmE1EEiLj256ELj4ELj100EEvPKT0_PS4_S4_
    .private_segment_fixed_size: 0
    .sgpr_count:     16
    .sgpr_spill_count: 0
    .symbol:         _Z6kernelI14inclusive_scanILN6hipcub18BlockScanAlgorithmE1EEiLj256ELj4ELj100EEvPKT0_PS4_S4_.kd
    .uniform_work_group_size: 1
    .uses_dynamic_stack: false
    .vgpr_count:     20
    .vgpr_spill_count: 0
    .wavefront_size: 64
  - .args:
      - .address_space:  global
        .offset:         0
        .size:           8
        .value_kind:     global_buffer
      - .address_space:  global
        .offset:         8
        .size:           8
        .value_kind:     global_buffer
      - .offset:         16
        .size:           4
        .value_kind:     by_value
      - .offset:         24
        .size:           4
        .value_kind:     hidden_block_count_x
      - .offset:         28
        .size:           4
        .value_kind:     hidden_block_count_y
      - .offset:         32
        .size:           4
        .value_kind:     hidden_block_count_z
      - .offset:         36
        .size:           2
        .value_kind:     hidden_group_size_x
      - .offset:         38
        .size:           2
        .value_kind:     hidden_group_size_y
      - .offset:         40
        .size:           2
        .value_kind:     hidden_group_size_z
      - .offset:         42
        .size:           2
        .value_kind:     hidden_remainder_x
      - .offset:         44
        .size:           2
        .value_kind:     hidden_remainder_y
      - .offset:         46
        .size:           2
        .value_kind:     hidden_remainder_z
      - .offset:         64
        .size:           8
        .value_kind:     hidden_global_offset_x
      - .offset:         72
        .size:           8
        .value_kind:     hidden_global_offset_y
      - .offset:         80
        .size:           8
        .value_kind:     hidden_global_offset_z
      - .offset:         88
        .size:           2
        .value_kind:     hidden_grid_dims
    .group_segment_fixed_size: 1056
    .kernarg_segment_align: 8
    .kernarg_segment_size: 280
    .language:       OpenCL C
    .language_version:
      - 2
      - 0
    .max_flat_workgroup_size: 256
    .name:           _Z6kernelI14inclusive_scanILN6hipcub18BlockScanAlgorithmE1EEiLj256ELj8ELj100EEvPKT0_PS4_S4_
    .private_segment_fixed_size: 0
    .sgpr_count:     16
    .sgpr_spill_count: 0
    .symbol:         _Z6kernelI14inclusive_scanILN6hipcub18BlockScanAlgorithmE1EEiLj256ELj8ELj100EEvPKT0_PS4_S4_.kd
    .uniform_work_group_size: 1
    .uses_dynamic_stack: false
    .vgpr_count:     28
    .vgpr_spill_count: 0
    .wavefront_size: 64
  - .args:
      - .address_space:  global
        .offset:         0
        .size:           8
        .value_kind:     global_buffer
      - .address_space:  global
        .offset:         8
        .size:           8
        .value_kind:     global_buffer
      - .offset:         16
        .size:           4
        .value_kind:     by_value
      - .offset:         24
        .size:           4
        .value_kind:     hidden_block_count_x
      - .offset:         28
        .size:           4
        .value_kind:     hidden_block_count_y
      - .offset:         32
        .size:           4
        .value_kind:     hidden_block_count_z
      - .offset:         36
        .size:           2
        .value_kind:     hidden_group_size_x
      - .offset:         38
        .size:           2
        .value_kind:     hidden_group_size_y
      - .offset:         40
        .size:           2
        .value_kind:     hidden_group_size_z
      - .offset:         42
        .size:           2
        .value_kind:     hidden_remainder_x
      - .offset:         44
        .size:           2
        .value_kind:     hidden_remainder_y
      - .offset:         46
        .size:           2
        .value_kind:     hidden_remainder_z
      - .offset:         64
        .size:           8
        .value_kind:     hidden_global_offset_x
      - .offset:         72
        .size:           8
        .value_kind:     hidden_global_offset_y
      - .offset:         80
        .size:           8
        .value_kind:     hidden_global_offset_z
      - .offset:         88
        .size:           2
        .value_kind:     hidden_grid_dims
    .group_segment_fixed_size: 1056
    .kernarg_segment_align: 8
    .kernarg_segment_size: 280
    .language:       OpenCL C
    .language_version:
      - 2
      - 0
    .max_flat_workgroup_size: 256
    .name:           _Z6kernelI14inclusive_scanILN6hipcub18BlockScanAlgorithmE1EEiLj256ELj11ELj100EEvPKT0_PS4_S4_
    .private_segment_fixed_size: 0
    .sgpr_count:     17
    .sgpr_spill_count: 0
    .symbol:         _Z6kernelI14inclusive_scanILN6hipcub18BlockScanAlgorithmE1EEiLj256ELj11ELj100EEvPKT0_PS4_S4_.kd
    .uniform_work_group_size: 1
    .uses_dynamic_stack: false
    .vgpr_count:     54
    .vgpr_spill_count: 0
    .wavefront_size: 64
  - .args:
      - .address_space:  global
        .offset:         0
        .size:           8
        .value_kind:     global_buffer
      - .address_space:  global
        .offset:         8
        .size:           8
        .value_kind:     global_buffer
      - .offset:         16
        .size:           4
        .value_kind:     by_value
      - .offset:         24
        .size:           4
        .value_kind:     hidden_block_count_x
      - .offset:         28
        .size:           4
        .value_kind:     hidden_block_count_y
      - .offset:         32
        .size:           4
        .value_kind:     hidden_block_count_z
      - .offset:         36
        .size:           2
        .value_kind:     hidden_group_size_x
      - .offset:         38
        .size:           2
        .value_kind:     hidden_group_size_y
      - .offset:         40
        .size:           2
        .value_kind:     hidden_group_size_z
      - .offset:         42
        .size:           2
        .value_kind:     hidden_remainder_x
      - .offset:         44
        .size:           2
        .value_kind:     hidden_remainder_y
      - .offset:         46
        .size:           2
        .value_kind:     hidden_remainder_z
      - .offset:         64
        .size:           8
        .value_kind:     hidden_global_offset_x
      - .offset:         72
        .size:           8
        .value_kind:     hidden_global_offset_y
      - .offset:         80
        .size:           8
        .value_kind:     hidden_global_offset_z
      - .offset:         88
        .size:           2
        .value_kind:     hidden_grid_dims
    .group_segment_fixed_size: 1056
    .kernarg_segment_align: 8
    .kernarg_segment_size: 280
    .language:       OpenCL C
    .language_version:
      - 2
      - 0
    .max_flat_workgroup_size: 256
    .name:           _Z6kernelI14inclusive_scanILN6hipcub18BlockScanAlgorithmE1EEiLj256ELj16ELj100EEvPKT0_PS4_S4_
    .private_segment_fixed_size: 0
    .sgpr_count:     17
    .sgpr_spill_count: 0
    .symbol:         _Z6kernelI14inclusive_scanILN6hipcub18BlockScanAlgorithmE1EEiLj256ELj16ELj100EEvPKT0_PS4_S4_.kd
    .uniform_work_group_size: 1
    .uses_dynamic_stack: false
    .vgpr_count:     44
    .vgpr_spill_count: 0
    .wavefront_size: 64
  - .args:
      - .address_space:  global
        .offset:         0
        .size:           8
        .value_kind:     global_buffer
      - .address_space:  global
        .offset:         8
        .size:           8
        .value_kind:     global_buffer
      - .offset:         16
        .size:           4
        .value_kind:     by_value
      - .offset:         24
        .size:           4
        .value_kind:     hidden_block_count_x
      - .offset:         28
        .size:           4
        .value_kind:     hidden_block_count_y
      - .offset:         32
        .size:           4
        .value_kind:     hidden_block_count_z
      - .offset:         36
        .size:           2
        .value_kind:     hidden_group_size_x
      - .offset:         38
        .size:           2
        .value_kind:     hidden_group_size_y
      - .offset:         40
        .size:           2
        .value_kind:     hidden_group_size_z
      - .offset:         42
        .size:           2
        .value_kind:     hidden_remainder_x
      - .offset:         44
        .size:           2
        .value_kind:     hidden_remainder_y
      - .offset:         46
        .size:           2
        .value_kind:     hidden_remainder_z
      - .offset:         64
        .size:           8
        .value_kind:     hidden_global_offset_x
      - .offset:         72
        .size:           8
        .value_kind:     hidden_global_offset_y
      - .offset:         80
        .size:           8
        .value_kind:     hidden_global_offset_z
      - .offset:         88
        .size:           2
        .value_kind:     hidden_grid_dims
    .group_segment_fixed_size: 1056
    .kernarg_segment_align: 8
    .kernarg_segment_size: 280
    .language:       OpenCL C
    .language_version:
      - 2
      - 0
    .max_flat_workgroup_size: 256
    .name:           _Z6kernelI14inclusive_scanILN6hipcub18BlockScanAlgorithmE1EEfLj256ELj1ELj100EEvPKT0_PS4_S4_
    .private_segment_fixed_size: 0
    .sgpr_count:     16
    .sgpr_spill_count: 0
    .symbol:         _Z6kernelI14inclusive_scanILN6hipcub18BlockScanAlgorithmE1EEfLj256ELj1ELj100EEvPKT0_PS4_S4_.kd
    .uniform_work_group_size: 1
    .uses_dynamic_stack: false
    .vgpr_count:     16
    .vgpr_spill_count: 0
    .wavefront_size: 64
  - .args:
      - .address_space:  global
        .offset:         0
        .size:           8
        .value_kind:     global_buffer
      - .address_space:  global
        .offset:         8
        .size:           8
        .value_kind:     global_buffer
      - .offset:         16
        .size:           4
        .value_kind:     by_value
      - .offset:         24
        .size:           4
        .value_kind:     hidden_block_count_x
      - .offset:         28
        .size:           4
        .value_kind:     hidden_block_count_y
      - .offset:         32
        .size:           4
        .value_kind:     hidden_block_count_z
      - .offset:         36
        .size:           2
        .value_kind:     hidden_group_size_x
      - .offset:         38
        .size:           2
        .value_kind:     hidden_group_size_y
      - .offset:         40
        .size:           2
        .value_kind:     hidden_group_size_z
      - .offset:         42
        .size:           2
        .value_kind:     hidden_remainder_x
      - .offset:         44
        .size:           2
        .value_kind:     hidden_remainder_y
      - .offset:         46
        .size:           2
        .value_kind:     hidden_remainder_z
      - .offset:         64
        .size:           8
        .value_kind:     hidden_global_offset_x
      - .offset:         72
        .size:           8
        .value_kind:     hidden_global_offset_y
      - .offset:         80
        .size:           8
        .value_kind:     hidden_global_offset_z
      - .offset:         88
        .size:           2
        .value_kind:     hidden_grid_dims
    .group_segment_fixed_size: 1056
    .kernarg_segment_align: 8
    .kernarg_segment_size: 280
    .language:       OpenCL C
    .language_version:
      - 2
      - 0
    .max_flat_workgroup_size: 256
    .name:           _Z6kernelI14inclusive_scanILN6hipcub18BlockScanAlgorithmE1EEfLj256ELj3ELj100EEvPKT0_PS4_S4_
    .private_segment_fixed_size: 0
    .sgpr_count:     16
    .sgpr_spill_count: 0
    .symbol:         _Z6kernelI14inclusive_scanILN6hipcub18BlockScanAlgorithmE1EEfLj256ELj3ELj100EEvPKT0_PS4_S4_.kd
    .uniform_work_group_size: 1
    .uses_dynamic_stack: false
    .vgpr_count:     22
    .vgpr_spill_count: 0
    .wavefront_size: 64
  - .args:
      - .address_space:  global
        .offset:         0
        .size:           8
        .value_kind:     global_buffer
      - .address_space:  global
        .offset:         8
        .size:           8
        .value_kind:     global_buffer
      - .offset:         16
        .size:           4
        .value_kind:     by_value
      - .offset:         24
        .size:           4
        .value_kind:     hidden_block_count_x
      - .offset:         28
        .size:           4
        .value_kind:     hidden_block_count_y
      - .offset:         32
        .size:           4
        .value_kind:     hidden_block_count_z
      - .offset:         36
        .size:           2
        .value_kind:     hidden_group_size_x
      - .offset:         38
        .size:           2
        .value_kind:     hidden_group_size_y
      - .offset:         40
        .size:           2
        .value_kind:     hidden_group_size_z
      - .offset:         42
        .size:           2
        .value_kind:     hidden_remainder_x
      - .offset:         44
        .size:           2
        .value_kind:     hidden_remainder_y
      - .offset:         46
        .size:           2
        .value_kind:     hidden_remainder_z
      - .offset:         64
        .size:           8
        .value_kind:     hidden_global_offset_x
      - .offset:         72
        .size:           8
        .value_kind:     hidden_global_offset_y
      - .offset:         80
        .size:           8
        .value_kind:     hidden_global_offset_z
      - .offset:         88
        .size:           2
        .value_kind:     hidden_grid_dims
    .group_segment_fixed_size: 1056
    .kernarg_segment_align: 8
    .kernarg_segment_size: 280
    .language:       OpenCL C
    .language_version:
      - 2
      - 0
    .max_flat_workgroup_size: 256
    .name:           _Z6kernelI14inclusive_scanILN6hipcub18BlockScanAlgorithmE1EEfLj256ELj4ELj100EEvPKT0_PS4_S4_
    .private_segment_fixed_size: 0
    .sgpr_count:     16
    .sgpr_spill_count: 0
    .symbol:         _Z6kernelI14inclusive_scanILN6hipcub18BlockScanAlgorithmE1EEfLj256ELj4ELj100EEvPKT0_PS4_S4_.kd
    .uniform_work_group_size: 1
    .uses_dynamic_stack: false
    .vgpr_count:     20
    .vgpr_spill_count: 0
    .wavefront_size: 64
  - .args:
      - .address_space:  global
        .offset:         0
        .size:           8
        .value_kind:     global_buffer
      - .address_space:  global
        .offset:         8
        .size:           8
        .value_kind:     global_buffer
      - .offset:         16
        .size:           4
        .value_kind:     by_value
      - .offset:         24
        .size:           4
        .value_kind:     hidden_block_count_x
      - .offset:         28
        .size:           4
        .value_kind:     hidden_block_count_y
      - .offset:         32
        .size:           4
        .value_kind:     hidden_block_count_z
      - .offset:         36
        .size:           2
        .value_kind:     hidden_group_size_x
      - .offset:         38
        .size:           2
        .value_kind:     hidden_group_size_y
      - .offset:         40
        .size:           2
        .value_kind:     hidden_group_size_z
      - .offset:         42
        .size:           2
        .value_kind:     hidden_remainder_x
      - .offset:         44
        .size:           2
        .value_kind:     hidden_remainder_y
      - .offset:         46
        .size:           2
        .value_kind:     hidden_remainder_z
      - .offset:         64
        .size:           8
        .value_kind:     hidden_global_offset_x
      - .offset:         72
        .size:           8
        .value_kind:     hidden_global_offset_y
      - .offset:         80
        .size:           8
        .value_kind:     hidden_global_offset_z
      - .offset:         88
        .size:           2
        .value_kind:     hidden_grid_dims
    .group_segment_fixed_size: 1056
    .kernarg_segment_align: 8
    .kernarg_segment_size: 280
    .language:       OpenCL C
    .language_version:
      - 2
      - 0
    .max_flat_workgroup_size: 256
    .name:           _Z6kernelI14inclusive_scanILN6hipcub18BlockScanAlgorithmE1EEfLj256ELj8ELj100EEvPKT0_PS4_S4_
    .private_segment_fixed_size: 0
    .sgpr_count:     16
    .sgpr_spill_count: 0
    .symbol:         _Z6kernelI14inclusive_scanILN6hipcub18BlockScanAlgorithmE1EEfLj256ELj8ELj100EEvPKT0_PS4_S4_.kd
    .uniform_work_group_size: 1
    .uses_dynamic_stack: false
    .vgpr_count:     28
    .vgpr_spill_count: 0
    .wavefront_size: 64
  - .args:
      - .address_space:  global
        .offset:         0
        .size:           8
        .value_kind:     global_buffer
      - .address_space:  global
        .offset:         8
        .size:           8
        .value_kind:     global_buffer
      - .offset:         16
        .size:           4
        .value_kind:     by_value
      - .offset:         24
        .size:           4
        .value_kind:     hidden_block_count_x
      - .offset:         28
        .size:           4
        .value_kind:     hidden_block_count_y
      - .offset:         32
        .size:           4
        .value_kind:     hidden_block_count_z
      - .offset:         36
        .size:           2
        .value_kind:     hidden_group_size_x
      - .offset:         38
        .size:           2
        .value_kind:     hidden_group_size_y
      - .offset:         40
        .size:           2
        .value_kind:     hidden_group_size_z
      - .offset:         42
        .size:           2
        .value_kind:     hidden_remainder_x
      - .offset:         44
        .size:           2
        .value_kind:     hidden_remainder_y
      - .offset:         46
        .size:           2
        .value_kind:     hidden_remainder_z
      - .offset:         64
        .size:           8
        .value_kind:     hidden_global_offset_x
      - .offset:         72
        .size:           8
        .value_kind:     hidden_global_offset_y
      - .offset:         80
        .size:           8
        .value_kind:     hidden_global_offset_z
      - .offset:         88
        .size:           2
        .value_kind:     hidden_grid_dims
    .group_segment_fixed_size: 1056
    .kernarg_segment_align: 8
    .kernarg_segment_size: 280
    .language:       OpenCL C
    .language_version:
      - 2
      - 0
    .max_flat_workgroup_size: 256
    .name:           _Z6kernelI14inclusive_scanILN6hipcub18BlockScanAlgorithmE1EEfLj256ELj11ELj100EEvPKT0_PS4_S4_
    .private_segment_fixed_size: 0
    .sgpr_count:     17
    .sgpr_spill_count: 0
    .symbol:         _Z6kernelI14inclusive_scanILN6hipcub18BlockScanAlgorithmE1EEfLj256ELj11ELj100EEvPKT0_PS4_S4_.kd
    .uniform_work_group_size: 1
    .uses_dynamic_stack: false
    .vgpr_count:     54
    .vgpr_spill_count: 0
    .wavefront_size: 64
  - .args:
      - .address_space:  global
        .offset:         0
        .size:           8
        .value_kind:     global_buffer
      - .address_space:  global
        .offset:         8
        .size:           8
        .value_kind:     global_buffer
      - .offset:         16
        .size:           4
        .value_kind:     by_value
      - .offset:         24
        .size:           4
        .value_kind:     hidden_block_count_x
      - .offset:         28
        .size:           4
        .value_kind:     hidden_block_count_y
      - .offset:         32
        .size:           4
        .value_kind:     hidden_block_count_z
      - .offset:         36
        .size:           2
        .value_kind:     hidden_group_size_x
      - .offset:         38
        .size:           2
        .value_kind:     hidden_group_size_y
      - .offset:         40
        .size:           2
        .value_kind:     hidden_group_size_z
      - .offset:         42
        .size:           2
        .value_kind:     hidden_remainder_x
      - .offset:         44
        .size:           2
        .value_kind:     hidden_remainder_y
      - .offset:         46
        .size:           2
        .value_kind:     hidden_remainder_z
      - .offset:         64
        .size:           8
        .value_kind:     hidden_global_offset_x
      - .offset:         72
        .size:           8
        .value_kind:     hidden_global_offset_y
      - .offset:         80
        .size:           8
        .value_kind:     hidden_global_offset_z
      - .offset:         88
        .size:           2
        .value_kind:     hidden_grid_dims
    .group_segment_fixed_size: 1056
    .kernarg_segment_align: 8
    .kernarg_segment_size: 280
    .language:       OpenCL C
    .language_version:
      - 2
      - 0
    .max_flat_workgroup_size: 256
    .name:           _Z6kernelI14inclusive_scanILN6hipcub18BlockScanAlgorithmE1EEfLj256ELj16ELj100EEvPKT0_PS4_S4_
    .private_segment_fixed_size: 0
    .sgpr_count:     17
    .sgpr_spill_count: 0
    .symbol:         _Z6kernelI14inclusive_scanILN6hipcub18BlockScanAlgorithmE1EEfLj256ELj16ELj100EEvPKT0_PS4_S4_.kd
    .uniform_work_group_size: 1
    .uses_dynamic_stack: false
    .vgpr_count:     44
    .vgpr_spill_count: 0
    .wavefront_size: 64
  - .args:
      - .address_space:  global
        .offset:         0
        .size:           8
        .value_kind:     global_buffer
      - .address_space:  global
        .offset:         8
        .size:           8
        .value_kind:     global_buffer
      - .offset:         16
        .size:           8
        .value_kind:     by_value
      - .offset:         24
        .size:           4
        .value_kind:     hidden_block_count_x
      - .offset:         28
        .size:           4
        .value_kind:     hidden_block_count_y
      - .offset:         32
        .size:           4
        .value_kind:     hidden_block_count_z
      - .offset:         36
        .size:           2
        .value_kind:     hidden_group_size_x
      - .offset:         38
        .size:           2
        .value_kind:     hidden_group_size_y
      - .offset:         40
        .size:           2
        .value_kind:     hidden_group_size_z
      - .offset:         42
        .size:           2
        .value_kind:     hidden_remainder_x
      - .offset:         44
        .size:           2
        .value_kind:     hidden_remainder_y
      - .offset:         46
        .size:           2
        .value_kind:     hidden_remainder_z
      - .offset:         64
        .size:           8
        .value_kind:     hidden_global_offset_x
      - .offset:         72
        .size:           8
        .value_kind:     hidden_global_offset_y
      - .offset:         80
        .size:           8
        .value_kind:     hidden_global_offset_z
      - .offset:         88
        .size:           2
        .value_kind:     hidden_grid_dims
    .group_segment_fixed_size: 2112
    .kernarg_segment_align: 8
    .kernarg_segment_size: 280
    .language:       OpenCL C
    .language_version:
      - 2
      - 0
    .max_flat_workgroup_size: 256
    .name:           _Z6kernelI14inclusive_scanILN6hipcub18BlockScanAlgorithmE1EEdLj256ELj1ELj100EEvPKT0_PS4_S4_
    .private_segment_fixed_size: 0
    .sgpr_count:     16
    .sgpr_spill_count: 0
    .symbol:         _Z6kernelI14inclusive_scanILN6hipcub18BlockScanAlgorithmE1EEdLj256ELj1ELj100EEvPKT0_PS4_S4_.kd
    .uniform_work_group_size: 1
    .uses_dynamic_stack: false
    .vgpr_count:     22
    .vgpr_spill_count: 0
    .wavefront_size: 64
  - .args:
      - .address_space:  global
        .offset:         0
        .size:           8
        .value_kind:     global_buffer
      - .address_space:  global
        .offset:         8
        .size:           8
        .value_kind:     global_buffer
      - .offset:         16
        .size:           8
        .value_kind:     by_value
      - .offset:         24
        .size:           4
        .value_kind:     hidden_block_count_x
      - .offset:         28
        .size:           4
        .value_kind:     hidden_block_count_y
      - .offset:         32
        .size:           4
        .value_kind:     hidden_block_count_z
      - .offset:         36
        .size:           2
        .value_kind:     hidden_group_size_x
      - .offset:         38
        .size:           2
        .value_kind:     hidden_group_size_y
      - .offset:         40
        .size:           2
        .value_kind:     hidden_group_size_z
      - .offset:         42
        .size:           2
        .value_kind:     hidden_remainder_x
      - .offset:         44
        .size:           2
        .value_kind:     hidden_remainder_y
      - .offset:         46
        .size:           2
        .value_kind:     hidden_remainder_z
      - .offset:         64
        .size:           8
        .value_kind:     hidden_global_offset_x
      - .offset:         72
        .size:           8
        .value_kind:     hidden_global_offset_y
      - .offset:         80
        .size:           8
        .value_kind:     hidden_global_offset_z
      - .offset:         88
        .size:           2
        .value_kind:     hidden_grid_dims
    .group_segment_fixed_size: 2112
    .kernarg_segment_align: 8
    .kernarg_segment_size: 280
    .language:       OpenCL C
    .language_version:
      - 2
      - 0
    .max_flat_workgroup_size: 256
    .name:           _Z6kernelI14inclusive_scanILN6hipcub18BlockScanAlgorithmE1EEdLj256ELj3ELj100EEvPKT0_PS4_S4_
    .private_segment_fixed_size: 0
    .sgpr_count:     17
    .sgpr_spill_count: 0
    .symbol:         _Z6kernelI14inclusive_scanILN6hipcub18BlockScanAlgorithmE1EEdLj256ELj3ELj100EEvPKT0_PS4_S4_.kd
    .uniform_work_group_size: 1
    .uses_dynamic_stack: false
    .vgpr_count:     34
    .vgpr_spill_count: 0
    .wavefront_size: 64
  - .args:
      - .address_space:  global
        .offset:         0
        .size:           8
        .value_kind:     global_buffer
      - .address_space:  global
        .offset:         8
        .size:           8
        .value_kind:     global_buffer
      - .offset:         16
        .size:           8
        .value_kind:     by_value
      - .offset:         24
        .size:           4
        .value_kind:     hidden_block_count_x
      - .offset:         28
        .size:           4
        .value_kind:     hidden_block_count_y
      - .offset:         32
        .size:           4
        .value_kind:     hidden_block_count_z
      - .offset:         36
        .size:           2
        .value_kind:     hidden_group_size_x
      - .offset:         38
        .size:           2
        .value_kind:     hidden_group_size_y
      - .offset:         40
        .size:           2
        .value_kind:     hidden_group_size_z
      - .offset:         42
        .size:           2
        .value_kind:     hidden_remainder_x
      - .offset:         44
        .size:           2
        .value_kind:     hidden_remainder_y
      - .offset:         46
        .size:           2
        .value_kind:     hidden_remainder_z
      - .offset:         64
        .size:           8
        .value_kind:     hidden_global_offset_x
      - .offset:         72
        .size:           8
        .value_kind:     hidden_global_offset_y
      - .offset:         80
        .size:           8
        .value_kind:     hidden_global_offset_z
      - .offset:         88
        .size:           2
        .value_kind:     hidden_grid_dims
    .group_segment_fixed_size: 2112
    .kernarg_segment_align: 8
    .kernarg_segment_size: 280
    .language:       OpenCL C
    .language_version:
      - 2
      - 0
    .max_flat_workgroup_size: 256
    .name:           _Z6kernelI14inclusive_scanILN6hipcub18BlockScanAlgorithmE1EEdLj256ELj4ELj100EEvPKT0_PS4_S4_
    .private_segment_fixed_size: 0
    .sgpr_count:     17
    .sgpr_spill_count: 0
    .symbol:         _Z6kernelI14inclusive_scanILN6hipcub18BlockScanAlgorithmE1EEdLj256ELj4ELj100EEvPKT0_PS4_S4_.kd
    .uniform_work_group_size: 1
    .uses_dynamic_stack: false
    .vgpr_count:     34
    .vgpr_spill_count: 0
    .wavefront_size: 64
  - .args:
      - .address_space:  global
        .offset:         0
        .size:           8
        .value_kind:     global_buffer
      - .address_space:  global
        .offset:         8
        .size:           8
        .value_kind:     global_buffer
      - .offset:         16
        .size:           8
        .value_kind:     by_value
      - .offset:         24
        .size:           4
        .value_kind:     hidden_block_count_x
      - .offset:         28
        .size:           4
        .value_kind:     hidden_block_count_y
      - .offset:         32
        .size:           4
        .value_kind:     hidden_block_count_z
      - .offset:         36
        .size:           2
        .value_kind:     hidden_group_size_x
      - .offset:         38
        .size:           2
        .value_kind:     hidden_group_size_y
      - .offset:         40
        .size:           2
        .value_kind:     hidden_group_size_z
      - .offset:         42
        .size:           2
        .value_kind:     hidden_remainder_x
      - .offset:         44
        .size:           2
        .value_kind:     hidden_remainder_y
      - .offset:         46
        .size:           2
        .value_kind:     hidden_remainder_z
      - .offset:         64
        .size:           8
        .value_kind:     hidden_global_offset_x
      - .offset:         72
        .size:           8
        .value_kind:     hidden_global_offset_y
      - .offset:         80
        .size:           8
        .value_kind:     hidden_global_offset_z
      - .offset:         88
        .size:           2
        .value_kind:     hidden_grid_dims
    .group_segment_fixed_size: 2112
    .kernarg_segment_align: 8
    .kernarg_segment_size: 280
    .language:       OpenCL C
    .language_version:
      - 2
      - 0
    .max_flat_workgroup_size: 256
    .name:           _Z6kernelI14inclusive_scanILN6hipcub18BlockScanAlgorithmE1EEdLj256ELj8ELj100EEvPKT0_PS4_S4_
    .private_segment_fixed_size: 0
    .sgpr_count:     17
    .sgpr_spill_count: 0
    .symbol:         _Z6kernelI14inclusive_scanILN6hipcub18BlockScanAlgorithmE1EEdLj256ELj8ELj100EEvPKT0_PS4_S4_.kd
    .uniform_work_group_size: 1
    .uses_dynamic_stack: false
    .vgpr_count:     50
    .vgpr_spill_count: 0
    .wavefront_size: 64
  - .args:
      - .address_space:  global
        .offset:         0
        .size:           8
        .value_kind:     global_buffer
      - .address_space:  global
        .offset:         8
        .size:           8
        .value_kind:     global_buffer
      - .offset:         16
        .size:           8
        .value_kind:     by_value
      - .offset:         24
        .size:           4
        .value_kind:     hidden_block_count_x
      - .offset:         28
        .size:           4
        .value_kind:     hidden_block_count_y
      - .offset:         32
        .size:           4
        .value_kind:     hidden_block_count_z
      - .offset:         36
        .size:           2
        .value_kind:     hidden_group_size_x
      - .offset:         38
        .size:           2
        .value_kind:     hidden_group_size_y
      - .offset:         40
        .size:           2
        .value_kind:     hidden_group_size_z
      - .offset:         42
        .size:           2
        .value_kind:     hidden_remainder_x
      - .offset:         44
        .size:           2
        .value_kind:     hidden_remainder_y
      - .offset:         46
        .size:           2
        .value_kind:     hidden_remainder_z
      - .offset:         64
        .size:           8
        .value_kind:     hidden_global_offset_x
      - .offset:         72
        .size:           8
        .value_kind:     hidden_global_offset_y
      - .offset:         80
        .size:           8
        .value_kind:     hidden_global_offset_z
      - .offset:         88
        .size:           2
        .value_kind:     hidden_grid_dims
    .group_segment_fixed_size: 2112
    .kernarg_segment_align: 8
    .kernarg_segment_size: 280
    .language:       OpenCL C
    .language_version:
      - 2
      - 0
    .max_flat_workgroup_size: 256
    .name:           _Z6kernelI14inclusive_scanILN6hipcub18BlockScanAlgorithmE1EEdLj256ELj11ELj100EEvPKT0_PS4_S4_
    .private_segment_fixed_size: 0
    .sgpr_count:     17
    .sgpr_spill_count: 0
    .symbol:         _Z6kernelI14inclusive_scanILN6hipcub18BlockScanAlgorithmE1EEdLj256ELj11ELj100EEvPKT0_PS4_S4_.kd
    .uniform_work_group_size: 1
    .uses_dynamic_stack: false
    .vgpr_count:     82
    .vgpr_spill_count: 0
    .wavefront_size: 64
  - .args:
      - .address_space:  global
        .offset:         0
        .size:           8
        .value_kind:     global_buffer
      - .address_space:  global
        .offset:         8
        .size:           8
        .value_kind:     global_buffer
      - .offset:         16
        .size:           8
        .value_kind:     by_value
      - .offset:         24
        .size:           4
        .value_kind:     hidden_block_count_x
      - .offset:         28
        .size:           4
        .value_kind:     hidden_block_count_y
      - .offset:         32
        .size:           4
        .value_kind:     hidden_block_count_z
      - .offset:         36
        .size:           2
        .value_kind:     hidden_group_size_x
      - .offset:         38
        .size:           2
        .value_kind:     hidden_group_size_y
      - .offset:         40
        .size:           2
        .value_kind:     hidden_group_size_z
      - .offset:         42
        .size:           2
        .value_kind:     hidden_remainder_x
      - .offset:         44
        .size:           2
        .value_kind:     hidden_remainder_y
      - .offset:         46
        .size:           2
        .value_kind:     hidden_remainder_z
      - .offset:         64
        .size:           8
        .value_kind:     hidden_global_offset_x
      - .offset:         72
        .size:           8
        .value_kind:     hidden_global_offset_y
      - .offset:         80
        .size:           8
        .value_kind:     hidden_global_offset_z
      - .offset:         88
        .size:           2
        .value_kind:     hidden_grid_dims
    .group_segment_fixed_size: 2112
    .kernarg_segment_align: 8
    .kernarg_segment_size: 280
    .language:       OpenCL C
    .language_version:
      - 2
      - 0
    .max_flat_workgroup_size: 256
    .name:           _Z6kernelI14inclusive_scanILN6hipcub18BlockScanAlgorithmE1EEdLj256ELj16ELj100EEvPKT0_PS4_S4_
    .private_segment_fixed_size: 0
    .sgpr_count:     17
    .sgpr_spill_count: 0
    .symbol:         _Z6kernelI14inclusive_scanILN6hipcub18BlockScanAlgorithmE1EEdLj256ELj16ELj100EEvPKT0_PS4_S4_.kd
    .uniform_work_group_size: 1
    .uses_dynamic_stack: false
    .vgpr_count:     82
    .vgpr_spill_count: 0
    .wavefront_size: 64
  - .args:
      - .address_space:  global
        .offset:         0
        .size:           8
        .value_kind:     global_buffer
      - .address_space:  global
        .offset:         8
        .size:           8
        .value_kind:     global_buffer
      - .offset:         16
        .size:           1
        .value_kind:     by_value
      - .offset:         24
        .size:           4
        .value_kind:     hidden_block_count_x
      - .offset:         28
        .size:           4
        .value_kind:     hidden_block_count_y
      - .offset:         32
        .size:           4
        .value_kind:     hidden_block_count_z
      - .offset:         36
        .size:           2
        .value_kind:     hidden_group_size_x
      - .offset:         38
        .size:           2
        .value_kind:     hidden_group_size_y
      - .offset:         40
        .size:           2
        .value_kind:     hidden_group_size_z
      - .offset:         42
        .size:           2
        .value_kind:     hidden_remainder_x
      - .offset:         44
        .size:           2
        .value_kind:     hidden_remainder_y
      - .offset:         46
        .size:           2
        .value_kind:     hidden_remainder_z
      - .offset:         64
        .size:           8
        .value_kind:     hidden_global_offset_x
      - .offset:         72
        .size:           8
        .value_kind:     hidden_global_offset_y
      - .offset:         80
        .size:           8
        .value_kind:     hidden_global_offset_z
      - .offset:         88
        .size:           2
        .value_kind:     hidden_grid_dims
    .group_segment_fixed_size: 264
    .kernarg_segment_align: 8
    .kernarg_segment_size: 280
    .language:       OpenCL C
    .language_version:
      - 2
      - 0
    .max_flat_workgroup_size: 256
    .name:           _Z6kernelI14inclusive_scanILN6hipcub18BlockScanAlgorithmE1EEhLj256ELj1ELj100EEvPKT0_PS4_S4_
    .private_segment_fixed_size: 0
    .sgpr_count:     16
    .sgpr_spill_count: 0
    .symbol:         _Z6kernelI14inclusive_scanILN6hipcub18BlockScanAlgorithmE1EEhLj256ELj1ELj100EEvPKT0_PS4_S4_.kd
    .uniform_work_group_size: 1
    .uses_dynamic_stack: false
    .vgpr_count:     15
    .vgpr_spill_count: 0
    .wavefront_size: 64
  - .args:
      - .address_space:  global
        .offset:         0
        .size:           8
        .value_kind:     global_buffer
      - .address_space:  global
        .offset:         8
        .size:           8
        .value_kind:     global_buffer
      - .offset:         16
        .size:           1
        .value_kind:     by_value
      - .offset:         24
        .size:           4
        .value_kind:     hidden_block_count_x
      - .offset:         28
        .size:           4
        .value_kind:     hidden_block_count_y
      - .offset:         32
        .size:           4
        .value_kind:     hidden_block_count_z
      - .offset:         36
        .size:           2
        .value_kind:     hidden_group_size_x
      - .offset:         38
        .size:           2
        .value_kind:     hidden_group_size_y
      - .offset:         40
        .size:           2
        .value_kind:     hidden_group_size_z
      - .offset:         42
        .size:           2
        .value_kind:     hidden_remainder_x
      - .offset:         44
        .size:           2
        .value_kind:     hidden_remainder_y
      - .offset:         46
        .size:           2
        .value_kind:     hidden_remainder_z
      - .offset:         64
        .size:           8
        .value_kind:     hidden_global_offset_x
      - .offset:         72
        .size:           8
        .value_kind:     hidden_global_offset_y
      - .offset:         80
        .size:           8
        .value_kind:     hidden_global_offset_z
      - .offset:         88
        .size:           2
        .value_kind:     hidden_grid_dims
    .group_segment_fixed_size: 264
    .kernarg_segment_align: 8
    .kernarg_segment_size: 280
    .language:       OpenCL C
    .language_version:
      - 2
      - 0
    .max_flat_workgroup_size: 256
    .name:           _Z6kernelI14inclusive_scanILN6hipcub18BlockScanAlgorithmE1EEhLj256ELj3ELj100EEvPKT0_PS4_S4_
    .private_segment_fixed_size: 0
    .sgpr_count:     16
    .sgpr_spill_count: 0
    .symbol:         _Z6kernelI14inclusive_scanILN6hipcub18BlockScanAlgorithmE1EEhLj256ELj3ELj100EEvPKT0_PS4_S4_.kd
    .uniform_work_group_size: 1
    .uses_dynamic_stack: false
    .vgpr_count:     19
    .vgpr_spill_count: 0
    .wavefront_size: 64
  - .args:
      - .address_space:  global
        .offset:         0
        .size:           8
        .value_kind:     global_buffer
      - .address_space:  global
        .offset:         8
        .size:           8
        .value_kind:     global_buffer
      - .offset:         16
        .size:           1
        .value_kind:     by_value
      - .offset:         24
        .size:           4
        .value_kind:     hidden_block_count_x
      - .offset:         28
        .size:           4
        .value_kind:     hidden_block_count_y
      - .offset:         32
        .size:           4
        .value_kind:     hidden_block_count_z
      - .offset:         36
        .size:           2
        .value_kind:     hidden_group_size_x
      - .offset:         38
        .size:           2
        .value_kind:     hidden_group_size_y
      - .offset:         40
        .size:           2
        .value_kind:     hidden_group_size_z
      - .offset:         42
        .size:           2
        .value_kind:     hidden_remainder_x
      - .offset:         44
        .size:           2
        .value_kind:     hidden_remainder_y
      - .offset:         46
        .size:           2
        .value_kind:     hidden_remainder_z
      - .offset:         64
        .size:           8
        .value_kind:     hidden_global_offset_x
      - .offset:         72
        .size:           8
        .value_kind:     hidden_global_offset_y
      - .offset:         80
        .size:           8
        .value_kind:     hidden_global_offset_z
      - .offset:         88
        .size:           2
        .value_kind:     hidden_grid_dims
    .group_segment_fixed_size: 264
    .kernarg_segment_align: 8
    .kernarg_segment_size: 280
    .language:       OpenCL C
    .language_version:
      - 2
      - 0
    .max_flat_workgroup_size: 256
    .name:           _Z6kernelI14inclusive_scanILN6hipcub18BlockScanAlgorithmE1EEhLj256ELj4ELj100EEvPKT0_PS4_S4_
    .private_segment_fixed_size: 0
    .sgpr_count:     16
    .sgpr_spill_count: 0
    .symbol:         _Z6kernelI14inclusive_scanILN6hipcub18BlockScanAlgorithmE1EEhLj256ELj4ELj100EEvPKT0_PS4_S4_.kd
    .uniform_work_group_size: 1
    .uses_dynamic_stack: false
    .vgpr_count:     20
    .vgpr_spill_count: 0
    .wavefront_size: 64
  - .args:
      - .address_space:  global
        .offset:         0
        .size:           8
        .value_kind:     global_buffer
      - .address_space:  global
        .offset:         8
        .size:           8
        .value_kind:     global_buffer
      - .offset:         16
        .size:           1
        .value_kind:     by_value
      - .offset:         24
        .size:           4
        .value_kind:     hidden_block_count_x
      - .offset:         28
        .size:           4
        .value_kind:     hidden_block_count_y
      - .offset:         32
        .size:           4
        .value_kind:     hidden_block_count_z
      - .offset:         36
        .size:           2
        .value_kind:     hidden_group_size_x
      - .offset:         38
        .size:           2
        .value_kind:     hidden_group_size_y
      - .offset:         40
        .size:           2
        .value_kind:     hidden_group_size_z
      - .offset:         42
        .size:           2
        .value_kind:     hidden_remainder_x
      - .offset:         44
        .size:           2
        .value_kind:     hidden_remainder_y
      - .offset:         46
        .size:           2
        .value_kind:     hidden_remainder_z
      - .offset:         64
        .size:           8
        .value_kind:     hidden_global_offset_x
      - .offset:         72
        .size:           8
        .value_kind:     hidden_global_offset_y
      - .offset:         80
        .size:           8
        .value_kind:     hidden_global_offset_z
      - .offset:         88
        .size:           2
        .value_kind:     hidden_grid_dims
    .group_segment_fixed_size: 264
    .kernarg_segment_align: 8
    .kernarg_segment_size: 280
    .language:       OpenCL C
    .language_version:
      - 2
      - 0
    .max_flat_workgroup_size: 256
    .name:           _Z6kernelI14inclusive_scanILN6hipcub18BlockScanAlgorithmE1EEhLj256ELj8ELj100EEvPKT0_PS4_S4_
    .private_segment_fixed_size: 0
    .sgpr_count:     16
    .sgpr_spill_count: 0
    .symbol:         _Z6kernelI14inclusive_scanILN6hipcub18BlockScanAlgorithmE1EEhLj256ELj8ELj100EEvPKT0_PS4_S4_.kd
    .uniform_work_group_size: 1
    .uses_dynamic_stack: false
    .vgpr_count:     23
    .vgpr_spill_count: 0
    .wavefront_size: 64
  - .args:
      - .address_space:  global
        .offset:         0
        .size:           8
        .value_kind:     global_buffer
      - .address_space:  global
        .offset:         8
        .size:           8
        .value_kind:     global_buffer
      - .offset:         16
        .size:           1
        .value_kind:     by_value
      - .offset:         24
        .size:           4
        .value_kind:     hidden_block_count_x
      - .offset:         28
        .size:           4
        .value_kind:     hidden_block_count_y
      - .offset:         32
        .size:           4
        .value_kind:     hidden_block_count_z
      - .offset:         36
        .size:           2
        .value_kind:     hidden_group_size_x
      - .offset:         38
        .size:           2
        .value_kind:     hidden_group_size_y
      - .offset:         40
        .size:           2
        .value_kind:     hidden_group_size_z
      - .offset:         42
        .size:           2
        .value_kind:     hidden_remainder_x
      - .offset:         44
        .size:           2
        .value_kind:     hidden_remainder_y
      - .offset:         46
        .size:           2
        .value_kind:     hidden_remainder_z
      - .offset:         64
        .size:           8
        .value_kind:     hidden_global_offset_x
      - .offset:         72
        .size:           8
        .value_kind:     hidden_global_offset_y
      - .offset:         80
        .size:           8
        .value_kind:     hidden_global_offset_z
      - .offset:         88
        .size:           2
        .value_kind:     hidden_grid_dims
    .group_segment_fixed_size: 264
    .kernarg_segment_align: 8
    .kernarg_segment_size: 280
    .language:       OpenCL C
    .language_version:
      - 2
      - 0
    .max_flat_workgroup_size: 256
    .name:           _Z6kernelI14inclusive_scanILN6hipcub18BlockScanAlgorithmE1EEhLj256ELj11ELj100EEvPKT0_PS4_S4_
    .private_segment_fixed_size: 0
    .sgpr_count:     16
    .sgpr_spill_count: 0
    .symbol:         _Z6kernelI14inclusive_scanILN6hipcub18BlockScanAlgorithmE1EEhLj256ELj11ELj100EEvPKT0_PS4_S4_.kd
    .uniform_work_group_size: 1
    .uses_dynamic_stack: false
    .vgpr_count:     39
    .vgpr_spill_count: 0
    .wavefront_size: 64
  - .args:
      - .address_space:  global
        .offset:         0
        .size:           8
        .value_kind:     global_buffer
      - .address_space:  global
        .offset:         8
        .size:           8
        .value_kind:     global_buffer
      - .offset:         16
        .size:           1
        .value_kind:     by_value
      - .offset:         24
        .size:           4
        .value_kind:     hidden_block_count_x
      - .offset:         28
        .size:           4
        .value_kind:     hidden_block_count_y
      - .offset:         32
        .size:           4
        .value_kind:     hidden_block_count_z
      - .offset:         36
        .size:           2
        .value_kind:     hidden_group_size_x
      - .offset:         38
        .size:           2
        .value_kind:     hidden_group_size_y
      - .offset:         40
        .size:           2
        .value_kind:     hidden_group_size_z
      - .offset:         42
        .size:           2
        .value_kind:     hidden_remainder_x
      - .offset:         44
        .size:           2
        .value_kind:     hidden_remainder_y
      - .offset:         46
        .size:           2
        .value_kind:     hidden_remainder_z
      - .offset:         64
        .size:           8
        .value_kind:     hidden_global_offset_x
      - .offset:         72
        .size:           8
        .value_kind:     hidden_global_offset_y
      - .offset:         80
        .size:           8
        .value_kind:     hidden_global_offset_z
      - .offset:         88
        .size:           2
        .value_kind:     hidden_grid_dims
    .group_segment_fixed_size: 264
    .kernarg_segment_align: 8
    .kernarg_segment_size: 280
    .language:       OpenCL C
    .language_version:
      - 2
      - 0
    .max_flat_workgroup_size: 256
    .name:           _Z6kernelI14inclusive_scanILN6hipcub18BlockScanAlgorithmE1EEhLj256ELj16ELj100EEvPKT0_PS4_S4_
    .private_segment_fixed_size: 0
    .sgpr_count:     16
    .sgpr_spill_count: 0
    .symbol:         _Z6kernelI14inclusive_scanILN6hipcub18BlockScanAlgorithmE1EEhLj256ELj16ELj100EEvPKT0_PS4_S4_.kd
    .uniform_work_group_size: 1
    .uses_dynamic_stack: false
    .vgpr_count:     35
    .vgpr_spill_count: 0
    .wavefront_size: 64
  - .args:
      - .address_space:  global
        .offset:         0
        .size:           8
        .value_kind:     global_buffer
      - .address_space:  global
        .offset:         8
        .size:           8
        .value_kind:     global_buffer
      - .offset:         16
        .size:           8
        .value_kind:     by_value
      - .offset:         24
        .size:           4
        .value_kind:     hidden_block_count_x
      - .offset:         28
        .size:           4
        .value_kind:     hidden_block_count_y
      - .offset:         32
        .size:           4
        .value_kind:     hidden_block_count_z
      - .offset:         36
        .size:           2
        .value_kind:     hidden_group_size_x
      - .offset:         38
        .size:           2
        .value_kind:     hidden_group_size_y
      - .offset:         40
        .size:           2
        .value_kind:     hidden_group_size_z
      - .offset:         42
        .size:           2
        .value_kind:     hidden_remainder_x
      - .offset:         44
        .size:           2
        .value_kind:     hidden_remainder_y
      - .offset:         46
        .size:           2
        .value_kind:     hidden_remainder_z
      - .offset:         64
        .size:           8
        .value_kind:     hidden_global_offset_x
      - .offset:         72
        .size:           8
        .value_kind:     hidden_global_offset_y
      - .offset:         80
        .size:           8
        .value_kind:     hidden_global_offset_z
      - .offset:         88
        .size:           2
        .value_kind:     hidden_grid_dims
    .group_segment_fixed_size: 2112
    .kernarg_segment_align: 8
    .kernarg_segment_size: 280
    .language:       OpenCL C
    .language_version:
      - 2
      - 0
    .max_flat_workgroup_size: 256
    .name:           _Z6kernelI14inclusive_scanILN6hipcub18BlockScanAlgorithmE1EEN15benchmark_utils11custom_typeIffEELj256ELj1ELj100EEvPKT0_PS7_S7_
    .private_segment_fixed_size: 0
    .sgpr_count:     16
    .sgpr_spill_count: 0
    .symbol:         _Z6kernelI14inclusive_scanILN6hipcub18BlockScanAlgorithmE1EEN15benchmark_utils11custom_typeIffEELj256ELj1ELj100EEvPKT0_PS7_S7_.kd
    .uniform_work_group_size: 1
    .uses_dynamic_stack: false
    .vgpr_count:     21
    .vgpr_spill_count: 0
    .wavefront_size: 64
  - .args:
      - .address_space:  global
        .offset:         0
        .size:           8
        .value_kind:     global_buffer
      - .address_space:  global
        .offset:         8
        .size:           8
        .value_kind:     global_buffer
      - .offset:         16
        .size:           8
        .value_kind:     by_value
      - .offset:         24
        .size:           4
        .value_kind:     hidden_block_count_x
      - .offset:         28
        .size:           4
        .value_kind:     hidden_block_count_y
      - .offset:         32
        .size:           4
        .value_kind:     hidden_block_count_z
      - .offset:         36
        .size:           2
        .value_kind:     hidden_group_size_x
      - .offset:         38
        .size:           2
        .value_kind:     hidden_group_size_y
      - .offset:         40
        .size:           2
        .value_kind:     hidden_group_size_z
      - .offset:         42
        .size:           2
        .value_kind:     hidden_remainder_x
      - .offset:         44
        .size:           2
        .value_kind:     hidden_remainder_y
      - .offset:         46
        .size:           2
        .value_kind:     hidden_remainder_z
      - .offset:         64
        .size:           8
        .value_kind:     hidden_global_offset_x
      - .offset:         72
        .size:           8
        .value_kind:     hidden_global_offset_y
      - .offset:         80
        .size:           8
        .value_kind:     hidden_global_offset_z
      - .offset:         88
        .size:           2
        .value_kind:     hidden_grid_dims
    .group_segment_fixed_size: 2112
    .kernarg_segment_align: 8
    .kernarg_segment_size: 280
    .language:       OpenCL C
    .language_version:
      - 2
      - 0
    .max_flat_workgroup_size: 256
    .name:           _Z6kernelI14inclusive_scanILN6hipcub18BlockScanAlgorithmE1EEN15benchmark_utils11custom_typeIffEELj256ELj4ELj100EEvPKT0_PS7_S7_
    .private_segment_fixed_size: 0
    .sgpr_count:     17
    .sgpr_spill_count: 0
    .symbol:         _Z6kernelI14inclusive_scanILN6hipcub18BlockScanAlgorithmE1EEN15benchmark_utils11custom_typeIffEELj256ELj4ELj100EEvPKT0_PS7_S7_.kd
    .uniform_work_group_size: 1
    .uses_dynamic_stack: false
    .vgpr_count:     33
    .vgpr_spill_count: 0
    .wavefront_size: 64
  - .args:
      - .address_space:  global
        .offset:         0
        .size:           8
        .value_kind:     global_buffer
      - .address_space:  global
        .offset:         8
        .size:           8
        .value_kind:     global_buffer
      - .offset:         16
        .size:           8
        .value_kind:     by_value
      - .offset:         24
        .size:           4
        .value_kind:     hidden_block_count_x
      - .offset:         28
        .size:           4
        .value_kind:     hidden_block_count_y
      - .offset:         32
        .size:           4
        .value_kind:     hidden_block_count_z
      - .offset:         36
        .size:           2
        .value_kind:     hidden_group_size_x
      - .offset:         38
        .size:           2
        .value_kind:     hidden_group_size_y
      - .offset:         40
        .size:           2
        .value_kind:     hidden_group_size_z
      - .offset:         42
        .size:           2
        .value_kind:     hidden_remainder_x
      - .offset:         44
        .size:           2
        .value_kind:     hidden_remainder_y
      - .offset:         46
        .size:           2
        .value_kind:     hidden_remainder_z
      - .offset:         64
        .size:           8
        .value_kind:     hidden_global_offset_x
      - .offset:         72
        .size:           8
        .value_kind:     hidden_global_offset_y
      - .offset:         80
        .size:           8
        .value_kind:     hidden_global_offset_z
      - .offset:         88
        .size:           2
        .value_kind:     hidden_grid_dims
    .group_segment_fixed_size: 2112
    .kernarg_segment_align: 8
    .kernarg_segment_size: 280
    .language:       OpenCL C
    .language_version:
      - 2
      - 0
    .max_flat_workgroup_size: 256
    .name:           _Z6kernelI14inclusive_scanILN6hipcub18BlockScanAlgorithmE1EEN15benchmark_utils11custom_typeIffEELj256ELj8ELj100EEvPKT0_PS7_S7_
    .private_segment_fixed_size: 0
    .sgpr_count:     17
    .sgpr_spill_count: 0
    .symbol:         _Z6kernelI14inclusive_scanILN6hipcub18BlockScanAlgorithmE1EEN15benchmark_utils11custom_typeIffEELj256ELj8ELj100EEvPKT0_PS7_S7_.kd
    .uniform_work_group_size: 1
    .uses_dynamic_stack: false
    .vgpr_count:     49
    .vgpr_spill_count: 0
    .wavefront_size: 64
  - .args:
      - .address_space:  global
        .offset:         0
        .size:           8
        .value_kind:     global_buffer
      - .address_space:  global
        .offset:         8
        .size:           8
        .value_kind:     global_buffer
      - .offset:         16
        .size:           16
        .value_kind:     by_value
      - .offset:         32
        .size:           4
        .value_kind:     hidden_block_count_x
      - .offset:         36
        .size:           4
        .value_kind:     hidden_block_count_y
      - .offset:         40
        .size:           4
        .value_kind:     hidden_block_count_z
      - .offset:         44
        .size:           2
        .value_kind:     hidden_group_size_x
      - .offset:         46
        .size:           2
        .value_kind:     hidden_group_size_y
      - .offset:         48
        .size:           2
        .value_kind:     hidden_group_size_z
      - .offset:         50
        .size:           2
        .value_kind:     hidden_remainder_x
      - .offset:         52
        .size:           2
        .value_kind:     hidden_remainder_y
      - .offset:         54
        .size:           2
        .value_kind:     hidden_remainder_z
      - .offset:         72
        .size:           8
        .value_kind:     hidden_global_offset_x
      - .offset:         80
        .size:           8
        .value_kind:     hidden_global_offset_y
      - .offset:         88
        .size:           8
        .value_kind:     hidden_global_offset_z
      - .offset:         96
        .size:           2
        .value_kind:     hidden_grid_dims
    .group_segment_fixed_size: 4224
    .kernarg_segment_align: 8
    .kernarg_segment_size: 288
    .language:       OpenCL C
    .language_version:
      - 2
      - 0
    .max_flat_workgroup_size: 256
    .name:           _Z6kernelI14inclusive_scanILN6hipcub18BlockScanAlgorithmE1EEN15benchmark_utils11custom_typeIddEELj256ELj1ELj100EEvPKT0_PS7_S7_
    .private_segment_fixed_size: 0
    .sgpr_count:     16
    .sgpr_spill_count: 0
    .symbol:         _Z6kernelI14inclusive_scanILN6hipcub18BlockScanAlgorithmE1EEN15benchmark_utils11custom_typeIddEELj256ELj1ELj100EEvPKT0_PS7_S7_.kd
    .uniform_work_group_size: 1
    .uses_dynamic_stack: false
    .vgpr_count:     35
    .vgpr_spill_count: 0
    .wavefront_size: 64
  - .args:
      - .address_space:  global
        .offset:         0
        .size:           8
        .value_kind:     global_buffer
      - .address_space:  global
        .offset:         8
        .size:           8
        .value_kind:     global_buffer
      - .offset:         16
        .size:           16
        .value_kind:     by_value
      - .offset:         32
        .size:           4
        .value_kind:     hidden_block_count_x
      - .offset:         36
        .size:           4
        .value_kind:     hidden_block_count_y
      - .offset:         40
        .size:           4
        .value_kind:     hidden_block_count_z
      - .offset:         44
        .size:           2
        .value_kind:     hidden_group_size_x
      - .offset:         46
        .size:           2
        .value_kind:     hidden_group_size_y
      - .offset:         48
        .size:           2
        .value_kind:     hidden_group_size_z
      - .offset:         50
        .size:           2
        .value_kind:     hidden_remainder_x
      - .offset:         52
        .size:           2
        .value_kind:     hidden_remainder_y
      - .offset:         54
        .size:           2
        .value_kind:     hidden_remainder_z
      - .offset:         72
        .size:           8
        .value_kind:     hidden_global_offset_x
      - .offset:         80
        .size:           8
        .value_kind:     hidden_global_offset_y
      - .offset:         88
        .size:           8
        .value_kind:     hidden_global_offset_z
      - .offset:         96
        .size:           2
        .value_kind:     hidden_grid_dims
    .group_segment_fixed_size: 4224
    .kernarg_segment_align: 8
    .kernarg_segment_size: 288
    .language:       OpenCL C
    .language_version:
      - 2
      - 0
    .max_flat_workgroup_size: 256
    .name:           _Z6kernelI14inclusive_scanILN6hipcub18BlockScanAlgorithmE1EEN15benchmark_utils11custom_typeIddEELj256ELj4ELj100EEvPKT0_PS7_S7_
    .private_segment_fixed_size: 0
    .sgpr_count:     17
    .sgpr_spill_count: 0
    .symbol:         _Z6kernelI14inclusive_scanILN6hipcub18BlockScanAlgorithmE1EEN15benchmark_utils11custom_typeIddEELj256ELj4ELj100EEvPKT0_PS7_S7_.kd
    .uniform_work_group_size: 1
    .uses_dynamic_stack: false
    .vgpr_count:     60
    .vgpr_spill_count: 0
    .wavefront_size: 64
  - .args:
      - .address_space:  global
        .offset:         0
        .size:           8
        .value_kind:     global_buffer
      - .address_space:  global
        .offset:         8
        .size:           8
        .value_kind:     global_buffer
      - .offset:         16
        .size:           16
        .value_kind:     by_value
      - .offset:         32
        .size:           4
        .value_kind:     hidden_block_count_x
      - .offset:         36
        .size:           4
        .value_kind:     hidden_block_count_y
      - .offset:         40
        .size:           4
        .value_kind:     hidden_block_count_z
      - .offset:         44
        .size:           2
        .value_kind:     hidden_group_size_x
      - .offset:         46
        .size:           2
        .value_kind:     hidden_group_size_y
      - .offset:         48
        .size:           2
        .value_kind:     hidden_group_size_z
      - .offset:         50
        .size:           2
        .value_kind:     hidden_remainder_x
      - .offset:         52
        .size:           2
        .value_kind:     hidden_remainder_y
      - .offset:         54
        .size:           2
        .value_kind:     hidden_remainder_z
      - .offset:         72
        .size:           8
        .value_kind:     hidden_global_offset_x
      - .offset:         80
        .size:           8
        .value_kind:     hidden_global_offset_y
      - .offset:         88
        .size:           8
        .value_kind:     hidden_global_offset_z
      - .offset:         96
        .size:           2
        .value_kind:     hidden_grid_dims
    .group_segment_fixed_size: 4224
    .kernarg_segment_align: 8
    .kernarg_segment_size: 288
    .language:       OpenCL C
    .language_version:
      - 2
      - 0
    .max_flat_workgroup_size: 256
    .name:           _Z6kernelI14inclusive_scanILN6hipcub18BlockScanAlgorithmE1EEN15benchmark_utils11custom_typeIddEELj256ELj8ELj100EEvPKT0_PS7_S7_
    .private_segment_fixed_size: 0
    .sgpr_count:     17
    .sgpr_spill_count: 0
    .symbol:         _Z6kernelI14inclusive_scanILN6hipcub18BlockScanAlgorithmE1EEN15benchmark_utils11custom_typeIddEELj256ELj8ELj100EEvPKT0_PS7_S7_.kd
    .uniform_work_group_size: 1
    .uses_dynamic_stack: false
    .vgpr_count:     91
    .vgpr_spill_count: 0
    .wavefront_size: 64
  - .args:
      - .address_space:  global
        .offset:         0
        .size:           8
        .value_kind:     global_buffer
      - .address_space:  global
        .offset:         8
        .size:           8
        .value_kind:     global_buffer
      - .offset:         16
        .size:           4
        .value_kind:     by_value
      - .offset:         24
        .size:           4
        .value_kind:     hidden_block_count_x
      - .offset:         28
        .size:           4
        .value_kind:     hidden_block_count_y
      - .offset:         32
        .size:           4
        .value_kind:     hidden_block_count_z
      - .offset:         36
        .size:           2
        .value_kind:     hidden_group_size_x
      - .offset:         38
        .size:           2
        .value_kind:     hidden_group_size_y
      - .offset:         40
        .size:           2
        .value_kind:     hidden_group_size_z
      - .offset:         42
        .size:           2
        .value_kind:     hidden_remainder_x
      - .offset:         44
        .size:           2
        .value_kind:     hidden_remainder_y
      - .offset:         46
        .size:           2
        .value_kind:     hidden_remainder_z
      - .offset:         64
        .size:           8
        .value_kind:     hidden_global_offset_x
      - .offset:         72
        .size:           8
        .value_kind:     hidden_global_offset_y
      - .offset:         80
        .size:           8
        .value_kind:     hidden_global_offset_z
      - .offset:         88
        .size:           2
        .value_kind:     hidden_grid_dims
    .group_segment_fixed_size: 4
    .kernarg_segment_align: 8
    .kernarg_segment_size: 280
    .language:       OpenCL C
    .language_version:
      - 2
      - 0
    .max_flat_workgroup_size: 64
    .name:           _Z6kernelI14inclusive_scanILN6hipcub18BlockScanAlgorithmE0EEiLj64ELj1ELj100EEvPKT0_PS4_S4_
    .private_segment_fixed_size: 0
    .sgpr_count:     21
    .sgpr_spill_count: 0
    .symbol:         _Z6kernelI14inclusive_scanILN6hipcub18BlockScanAlgorithmE0EEiLj64ELj1ELj100EEvPKT0_PS4_S4_.kd
    .uniform_work_group_size: 1
    .uses_dynamic_stack: false
    .vgpr_count:     7
    .vgpr_spill_count: 0
    .wavefront_size: 64
  - .args:
      - .address_space:  global
        .offset:         0
        .size:           8
        .value_kind:     global_buffer
      - .address_space:  global
        .offset:         8
        .size:           8
        .value_kind:     global_buffer
      - .offset:         16
        .size:           4
        .value_kind:     by_value
      - .offset:         24
        .size:           4
        .value_kind:     hidden_block_count_x
      - .offset:         28
        .size:           4
        .value_kind:     hidden_block_count_y
      - .offset:         32
        .size:           4
        .value_kind:     hidden_block_count_z
      - .offset:         36
        .size:           2
        .value_kind:     hidden_group_size_x
      - .offset:         38
        .size:           2
        .value_kind:     hidden_group_size_y
      - .offset:         40
        .size:           2
        .value_kind:     hidden_group_size_z
      - .offset:         42
        .size:           2
        .value_kind:     hidden_remainder_x
      - .offset:         44
        .size:           2
        .value_kind:     hidden_remainder_y
      - .offset:         46
        .size:           2
        .value_kind:     hidden_remainder_z
      - .offset:         64
        .size:           8
        .value_kind:     hidden_global_offset_x
      - .offset:         72
        .size:           8
        .value_kind:     hidden_global_offset_y
      - .offset:         80
        .size:           8
        .value_kind:     hidden_global_offset_z
      - .offset:         88
        .size:           2
        .value_kind:     hidden_grid_dims
    .group_segment_fixed_size: 4
    .kernarg_segment_align: 8
    .kernarg_segment_size: 280
    .language:       OpenCL C
    .language_version:
      - 2
      - 0
    .max_flat_workgroup_size: 64
    .name:           _Z6kernelI14inclusive_scanILN6hipcub18BlockScanAlgorithmE0EEiLj64ELj3ELj100EEvPKT0_PS4_S4_
    .private_segment_fixed_size: 0
    .sgpr_count:     23
    .sgpr_spill_count: 0
    .symbol:         _Z6kernelI14inclusive_scanILN6hipcub18BlockScanAlgorithmE0EEiLj64ELj3ELj100EEvPKT0_PS4_S4_.kd
    .uniform_work_group_size: 1
    .uses_dynamic_stack: false
    .vgpr_count:     17
    .vgpr_spill_count: 0
    .wavefront_size: 64
  - .args:
      - .address_space:  global
        .offset:         0
        .size:           8
        .value_kind:     global_buffer
      - .address_space:  global
        .offset:         8
        .size:           8
        .value_kind:     global_buffer
      - .offset:         16
        .size:           4
        .value_kind:     by_value
      - .offset:         24
        .size:           4
        .value_kind:     hidden_block_count_x
      - .offset:         28
        .size:           4
        .value_kind:     hidden_block_count_y
      - .offset:         32
        .size:           4
        .value_kind:     hidden_block_count_z
      - .offset:         36
        .size:           2
        .value_kind:     hidden_group_size_x
      - .offset:         38
        .size:           2
        .value_kind:     hidden_group_size_y
      - .offset:         40
        .size:           2
        .value_kind:     hidden_group_size_z
      - .offset:         42
        .size:           2
        .value_kind:     hidden_remainder_x
      - .offset:         44
        .size:           2
        .value_kind:     hidden_remainder_y
      - .offset:         46
        .size:           2
        .value_kind:     hidden_remainder_z
      - .offset:         64
        .size:           8
        .value_kind:     hidden_global_offset_x
      - .offset:         72
        .size:           8
        .value_kind:     hidden_global_offset_y
      - .offset:         80
        .size:           8
        .value_kind:     hidden_global_offset_z
      - .offset:         88
        .size:           2
        .value_kind:     hidden_grid_dims
    .group_segment_fixed_size: 4
    .kernarg_segment_align: 8
    .kernarg_segment_size: 280
    .language:       OpenCL C
    .language_version:
      - 2
      - 0
    .max_flat_workgroup_size: 64
    .name:           _Z6kernelI14inclusive_scanILN6hipcub18BlockScanAlgorithmE0EEiLj64ELj4ELj100EEvPKT0_PS4_S4_
    .private_segment_fixed_size: 0
    .sgpr_count:     23
    .sgpr_spill_count: 0
    .symbol:         _Z6kernelI14inclusive_scanILN6hipcub18BlockScanAlgorithmE0EEiLj64ELj4ELj100EEvPKT0_PS4_S4_.kd
    .uniform_work_group_size: 1
    .uses_dynamic_stack: false
    .vgpr_count:     11
    .vgpr_spill_count: 0
    .wavefront_size: 64
  - .args:
      - .address_space:  global
        .offset:         0
        .size:           8
        .value_kind:     global_buffer
      - .address_space:  global
        .offset:         8
        .size:           8
        .value_kind:     global_buffer
      - .offset:         16
        .size:           4
        .value_kind:     by_value
      - .offset:         24
        .size:           4
        .value_kind:     hidden_block_count_x
      - .offset:         28
        .size:           4
        .value_kind:     hidden_block_count_y
      - .offset:         32
        .size:           4
        .value_kind:     hidden_block_count_z
      - .offset:         36
        .size:           2
        .value_kind:     hidden_group_size_x
      - .offset:         38
        .size:           2
        .value_kind:     hidden_group_size_y
      - .offset:         40
        .size:           2
        .value_kind:     hidden_group_size_z
      - .offset:         42
        .size:           2
        .value_kind:     hidden_remainder_x
      - .offset:         44
        .size:           2
        .value_kind:     hidden_remainder_y
      - .offset:         46
        .size:           2
        .value_kind:     hidden_remainder_z
      - .offset:         64
        .size:           8
        .value_kind:     hidden_global_offset_x
      - .offset:         72
        .size:           8
        .value_kind:     hidden_global_offset_y
      - .offset:         80
        .size:           8
        .value_kind:     hidden_global_offset_z
      - .offset:         88
        .size:           2
        .value_kind:     hidden_grid_dims
    .group_segment_fixed_size: 4
    .kernarg_segment_align: 8
    .kernarg_segment_size: 280
    .language:       OpenCL C
    .language_version:
      - 2
      - 0
    .max_flat_workgroup_size: 64
    .name:           _Z6kernelI14inclusive_scanILN6hipcub18BlockScanAlgorithmE0EEiLj64ELj8ELj100EEvPKT0_PS4_S4_
    .private_segment_fixed_size: 0
    .sgpr_count:     23
    .sgpr_spill_count: 0
    .symbol:         _Z6kernelI14inclusive_scanILN6hipcub18BlockScanAlgorithmE0EEiLj64ELj8ELj100EEvPKT0_PS4_S4_.kd
    .uniform_work_group_size: 1
    .uses_dynamic_stack: false
    .vgpr_count:     15
    .vgpr_spill_count: 0
    .wavefront_size: 64
  - .args:
      - .address_space:  global
        .offset:         0
        .size:           8
        .value_kind:     global_buffer
      - .address_space:  global
        .offset:         8
        .size:           8
        .value_kind:     global_buffer
      - .offset:         16
        .size:           4
        .value_kind:     by_value
      - .offset:         24
        .size:           4
        .value_kind:     hidden_block_count_x
      - .offset:         28
        .size:           4
        .value_kind:     hidden_block_count_y
      - .offset:         32
        .size:           4
        .value_kind:     hidden_block_count_z
      - .offset:         36
        .size:           2
        .value_kind:     hidden_group_size_x
      - .offset:         38
        .size:           2
        .value_kind:     hidden_group_size_y
      - .offset:         40
        .size:           2
        .value_kind:     hidden_group_size_z
      - .offset:         42
        .size:           2
        .value_kind:     hidden_remainder_x
      - .offset:         44
        .size:           2
        .value_kind:     hidden_remainder_y
      - .offset:         46
        .size:           2
        .value_kind:     hidden_remainder_z
      - .offset:         64
        .size:           8
        .value_kind:     hidden_global_offset_x
      - .offset:         72
        .size:           8
        .value_kind:     hidden_global_offset_y
      - .offset:         80
        .size:           8
        .value_kind:     hidden_global_offset_z
      - .offset:         88
        .size:           2
        .value_kind:     hidden_grid_dims
    .group_segment_fixed_size: 4
    .kernarg_segment_align: 8
    .kernarg_segment_size: 280
    .language:       OpenCL C
    .language_version:
      - 2
      - 0
    .max_flat_workgroup_size: 64
    .name:           _Z6kernelI14inclusive_scanILN6hipcub18BlockScanAlgorithmE0EEiLj64ELj11ELj100EEvPKT0_PS4_S4_
    .private_segment_fixed_size: 0
    .sgpr_count:     23
    .sgpr_spill_count: 0
    .symbol:         _Z6kernelI14inclusive_scanILN6hipcub18BlockScanAlgorithmE0EEiLj64ELj11ELj100EEvPKT0_PS4_S4_.kd
    .uniform_work_group_size: 1
    .uses_dynamic_stack: false
    .vgpr_count:     43
    .vgpr_spill_count: 0
    .wavefront_size: 64
  - .args:
      - .address_space:  global
        .offset:         0
        .size:           8
        .value_kind:     global_buffer
      - .address_space:  global
        .offset:         8
        .size:           8
        .value_kind:     global_buffer
      - .offset:         16
        .size:           4
        .value_kind:     by_value
      - .offset:         24
        .size:           4
        .value_kind:     hidden_block_count_x
      - .offset:         28
        .size:           4
        .value_kind:     hidden_block_count_y
      - .offset:         32
        .size:           4
        .value_kind:     hidden_block_count_z
      - .offset:         36
        .size:           2
        .value_kind:     hidden_group_size_x
      - .offset:         38
        .size:           2
        .value_kind:     hidden_group_size_y
      - .offset:         40
        .size:           2
        .value_kind:     hidden_group_size_z
      - .offset:         42
        .size:           2
        .value_kind:     hidden_remainder_x
      - .offset:         44
        .size:           2
        .value_kind:     hidden_remainder_y
      - .offset:         46
        .size:           2
        .value_kind:     hidden_remainder_z
      - .offset:         64
        .size:           8
        .value_kind:     hidden_global_offset_x
      - .offset:         72
        .size:           8
        .value_kind:     hidden_global_offset_y
      - .offset:         80
        .size:           8
        .value_kind:     hidden_global_offset_z
      - .offset:         88
        .size:           2
        .value_kind:     hidden_grid_dims
    .group_segment_fixed_size: 4
    .kernarg_segment_align: 8
    .kernarg_segment_size: 280
    .language:       OpenCL C
    .language_version:
      - 2
      - 0
    .max_flat_workgroup_size: 64
    .name:           _Z6kernelI14inclusive_scanILN6hipcub18BlockScanAlgorithmE0EEiLj64ELj16ELj100EEvPKT0_PS4_S4_
    .private_segment_fixed_size: 0
    .sgpr_count:     23
    .sgpr_spill_count: 0
    .symbol:         _Z6kernelI14inclusive_scanILN6hipcub18BlockScanAlgorithmE0EEiLj64ELj16ELj100EEvPKT0_PS4_S4_.kd
    .uniform_work_group_size: 1
    .uses_dynamic_stack: false
    .vgpr_count:     23
    .vgpr_spill_count: 0
    .wavefront_size: 64
  - .args:
      - .address_space:  global
        .offset:         0
        .size:           8
        .value_kind:     global_buffer
      - .address_space:  global
        .offset:         8
        .size:           8
        .value_kind:     global_buffer
      - .offset:         16
        .size:           4
        .value_kind:     by_value
      - .offset:         24
        .size:           4
        .value_kind:     hidden_block_count_x
      - .offset:         28
        .size:           4
        .value_kind:     hidden_block_count_y
      - .offset:         32
        .size:           4
        .value_kind:     hidden_block_count_z
      - .offset:         36
        .size:           2
        .value_kind:     hidden_group_size_x
      - .offset:         38
        .size:           2
        .value_kind:     hidden_group_size_y
      - .offset:         40
        .size:           2
        .value_kind:     hidden_group_size_z
      - .offset:         42
        .size:           2
        .value_kind:     hidden_remainder_x
      - .offset:         44
        .size:           2
        .value_kind:     hidden_remainder_y
      - .offset:         46
        .size:           2
        .value_kind:     hidden_remainder_z
      - .offset:         64
        .size:           8
        .value_kind:     hidden_global_offset_x
      - .offset:         72
        .size:           8
        .value_kind:     hidden_global_offset_y
      - .offset:         80
        .size:           8
        .value_kind:     hidden_global_offset_z
      - .offset:         88
        .size:           2
        .value_kind:     hidden_grid_dims
    .group_segment_fixed_size: 4
    .kernarg_segment_align: 8
    .kernarg_segment_size: 280
    .language:       OpenCL C
    .language_version:
      - 2
      - 0
    .max_flat_workgroup_size: 64
    .name:           _Z6kernelI14inclusive_scanILN6hipcub18BlockScanAlgorithmE0EEfLj64ELj1ELj100EEvPKT0_PS4_S4_
    .private_segment_fixed_size: 0
    .sgpr_count:     21
    .sgpr_spill_count: 0
    .symbol:         _Z6kernelI14inclusive_scanILN6hipcub18BlockScanAlgorithmE0EEfLj64ELj1ELj100EEvPKT0_PS4_S4_.kd
    .uniform_work_group_size: 1
    .uses_dynamic_stack: false
    .vgpr_count:     7
    .vgpr_spill_count: 0
    .wavefront_size: 64
  - .args:
      - .address_space:  global
        .offset:         0
        .size:           8
        .value_kind:     global_buffer
      - .address_space:  global
        .offset:         8
        .size:           8
        .value_kind:     global_buffer
      - .offset:         16
        .size:           4
        .value_kind:     by_value
      - .offset:         24
        .size:           4
        .value_kind:     hidden_block_count_x
      - .offset:         28
        .size:           4
        .value_kind:     hidden_block_count_y
      - .offset:         32
        .size:           4
        .value_kind:     hidden_block_count_z
      - .offset:         36
        .size:           2
        .value_kind:     hidden_group_size_x
      - .offset:         38
        .size:           2
        .value_kind:     hidden_group_size_y
      - .offset:         40
        .size:           2
        .value_kind:     hidden_group_size_z
      - .offset:         42
        .size:           2
        .value_kind:     hidden_remainder_x
      - .offset:         44
        .size:           2
        .value_kind:     hidden_remainder_y
      - .offset:         46
        .size:           2
        .value_kind:     hidden_remainder_z
      - .offset:         64
        .size:           8
        .value_kind:     hidden_global_offset_x
      - .offset:         72
        .size:           8
        .value_kind:     hidden_global_offset_y
      - .offset:         80
        .size:           8
        .value_kind:     hidden_global_offset_z
      - .offset:         88
        .size:           2
        .value_kind:     hidden_grid_dims
    .group_segment_fixed_size: 4
    .kernarg_segment_align: 8
    .kernarg_segment_size: 280
    .language:       OpenCL C
    .language_version:
      - 2
      - 0
    .max_flat_workgroup_size: 64
    .name:           _Z6kernelI14inclusive_scanILN6hipcub18BlockScanAlgorithmE0EEfLj64ELj3ELj100EEvPKT0_PS4_S4_
    .private_segment_fixed_size: 0
    .sgpr_count:     23
    .sgpr_spill_count: 0
    .symbol:         _Z6kernelI14inclusive_scanILN6hipcub18BlockScanAlgorithmE0EEfLj64ELj3ELj100EEvPKT0_PS4_S4_.kd
    .uniform_work_group_size: 1
    .uses_dynamic_stack: false
    .vgpr_count:     17
    .vgpr_spill_count: 0
    .wavefront_size: 64
  - .args:
      - .address_space:  global
        .offset:         0
        .size:           8
        .value_kind:     global_buffer
      - .address_space:  global
        .offset:         8
        .size:           8
        .value_kind:     global_buffer
      - .offset:         16
        .size:           4
        .value_kind:     by_value
      - .offset:         24
        .size:           4
        .value_kind:     hidden_block_count_x
      - .offset:         28
        .size:           4
        .value_kind:     hidden_block_count_y
      - .offset:         32
        .size:           4
        .value_kind:     hidden_block_count_z
      - .offset:         36
        .size:           2
        .value_kind:     hidden_group_size_x
      - .offset:         38
        .size:           2
        .value_kind:     hidden_group_size_y
      - .offset:         40
        .size:           2
        .value_kind:     hidden_group_size_z
      - .offset:         42
        .size:           2
        .value_kind:     hidden_remainder_x
      - .offset:         44
        .size:           2
        .value_kind:     hidden_remainder_y
      - .offset:         46
        .size:           2
        .value_kind:     hidden_remainder_z
      - .offset:         64
        .size:           8
        .value_kind:     hidden_global_offset_x
      - .offset:         72
        .size:           8
        .value_kind:     hidden_global_offset_y
      - .offset:         80
        .size:           8
        .value_kind:     hidden_global_offset_z
      - .offset:         88
        .size:           2
        .value_kind:     hidden_grid_dims
    .group_segment_fixed_size: 4
    .kernarg_segment_align: 8
    .kernarg_segment_size: 280
    .language:       OpenCL C
    .language_version:
      - 2
      - 0
    .max_flat_workgroup_size: 64
    .name:           _Z6kernelI14inclusive_scanILN6hipcub18BlockScanAlgorithmE0EEfLj64ELj4ELj100EEvPKT0_PS4_S4_
    .private_segment_fixed_size: 0
    .sgpr_count:     23
    .sgpr_spill_count: 0
    .symbol:         _Z6kernelI14inclusive_scanILN6hipcub18BlockScanAlgorithmE0EEfLj64ELj4ELj100EEvPKT0_PS4_S4_.kd
    .uniform_work_group_size: 1
    .uses_dynamic_stack: false
    .vgpr_count:     11
    .vgpr_spill_count: 0
    .wavefront_size: 64
  - .args:
      - .address_space:  global
        .offset:         0
        .size:           8
        .value_kind:     global_buffer
      - .address_space:  global
        .offset:         8
        .size:           8
        .value_kind:     global_buffer
      - .offset:         16
        .size:           4
        .value_kind:     by_value
      - .offset:         24
        .size:           4
        .value_kind:     hidden_block_count_x
      - .offset:         28
        .size:           4
        .value_kind:     hidden_block_count_y
      - .offset:         32
        .size:           4
        .value_kind:     hidden_block_count_z
      - .offset:         36
        .size:           2
        .value_kind:     hidden_group_size_x
      - .offset:         38
        .size:           2
        .value_kind:     hidden_group_size_y
      - .offset:         40
        .size:           2
        .value_kind:     hidden_group_size_z
      - .offset:         42
        .size:           2
        .value_kind:     hidden_remainder_x
      - .offset:         44
        .size:           2
        .value_kind:     hidden_remainder_y
      - .offset:         46
        .size:           2
        .value_kind:     hidden_remainder_z
      - .offset:         64
        .size:           8
        .value_kind:     hidden_global_offset_x
      - .offset:         72
        .size:           8
        .value_kind:     hidden_global_offset_y
      - .offset:         80
        .size:           8
        .value_kind:     hidden_global_offset_z
      - .offset:         88
        .size:           2
        .value_kind:     hidden_grid_dims
    .group_segment_fixed_size: 4
    .kernarg_segment_align: 8
    .kernarg_segment_size: 280
    .language:       OpenCL C
    .language_version:
      - 2
      - 0
    .max_flat_workgroup_size: 64
    .name:           _Z6kernelI14inclusive_scanILN6hipcub18BlockScanAlgorithmE0EEfLj64ELj8ELj100EEvPKT0_PS4_S4_
    .private_segment_fixed_size: 0
    .sgpr_count:     23
    .sgpr_spill_count: 0
    .symbol:         _Z6kernelI14inclusive_scanILN6hipcub18BlockScanAlgorithmE0EEfLj64ELj8ELj100EEvPKT0_PS4_S4_.kd
    .uniform_work_group_size: 1
    .uses_dynamic_stack: false
    .vgpr_count:     15
    .vgpr_spill_count: 0
    .wavefront_size: 64
  - .args:
      - .address_space:  global
        .offset:         0
        .size:           8
        .value_kind:     global_buffer
      - .address_space:  global
        .offset:         8
        .size:           8
        .value_kind:     global_buffer
      - .offset:         16
        .size:           4
        .value_kind:     by_value
      - .offset:         24
        .size:           4
        .value_kind:     hidden_block_count_x
      - .offset:         28
        .size:           4
        .value_kind:     hidden_block_count_y
      - .offset:         32
        .size:           4
        .value_kind:     hidden_block_count_z
      - .offset:         36
        .size:           2
        .value_kind:     hidden_group_size_x
      - .offset:         38
        .size:           2
        .value_kind:     hidden_group_size_y
      - .offset:         40
        .size:           2
        .value_kind:     hidden_group_size_z
      - .offset:         42
        .size:           2
        .value_kind:     hidden_remainder_x
      - .offset:         44
        .size:           2
        .value_kind:     hidden_remainder_y
      - .offset:         46
        .size:           2
        .value_kind:     hidden_remainder_z
      - .offset:         64
        .size:           8
        .value_kind:     hidden_global_offset_x
      - .offset:         72
        .size:           8
        .value_kind:     hidden_global_offset_y
      - .offset:         80
        .size:           8
        .value_kind:     hidden_global_offset_z
      - .offset:         88
        .size:           2
        .value_kind:     hidden_grid_dims
    .group_segment_fixed_size: 4
    .kernarg_segment_align: 8
    .kernarg_segment_size: 280
    .language:       OpenCL C
    .language_version:
      - 2
      - 0
    .max_flat_workgroup_size: 64
    .name:           _Z6kernelI14inclusive_scanILN6hipcub18BlockScanAlgorithmE0EEfLj64ELj11ELj100EEvPKT0_PS4_S4_
    .private_segment_fixed_size: 0
    .sgpr_count:     23
    .sgpr_spill_count: 0
    .symbol:         _Z6kernelI14inclusive_scanILN6hipcub18BlockScanAlgorithmE0EEfLj64ELj11ELj100EEvPKT0_PS4_S4_.kd
    .uniform_work_group_size: 1
    .uses_dynamic_stack: false
    .vgpr_count:     43
    .vgpr_spill_count: 0
    .wavefront_size: 64
  - .args:
      - .address_space:  global
        .offset:         0
        .size:           8
        .value_kind:     global_buffer
      - .address_space:  global
        .offset:         8
        .size:           8
        .value_kind:     global_buffer
      - .offset:         16
        .size:           4
        .value_kind:     by_value
      - .offset:         24
        .size:           4
        .value_kind:     hidden_block_count_x
      - .offset:         28
        .size:           4
        .value_kind:     hidden_block_count_y
      - .offset:         32
        .size:           4
        .value_kind:     hidden_block_count_z
      - .offset:         36
        .size:           2
        .value_kind:     hidden_group_size_x
      - .offset:         38
        .size:           2
        .value_kind:     hidden_group_size_y
      - .offset:         40
        .size:           2
        .value_kind:     hidden_group_size_z
      - .offset:         42
        .size:           2
        .value_kind:     hidden_remainder_x
      - .offset:         44
        .size:           2
        .value_kind:     hidden_remainder_y
      - .offset:         46
        .size:           2
        .value_kind:     hidden_remainder_z
      - .offset:         64
        .size:           8
        .value_kind:     hidden_global_offset_x
      - .offset:         72
        .size:           8
        .value_kind:     hidden_global_offset_y
      - .offset:         80
        .size:           8
        .value_kind:     hidden_global_offset_z
      - .offset:         88
        .size:           2
        .value_kind:     hidden_grid_dims
    .group_segment_fixed_size: 4
    .kernarg_segment_align: 8
    .kernarg_segment_size: 280
    .language:       OpenCL C
    .language_version:
      - 2
      - 0
    .max_flat_workgroup_size: 64
    .name:           _Z6kernelI14inclusive_scanILN6hipcub18BlockScanAlgorithmE0EEfLj64ELj16ELj100EEvPKT0_PS4_S4_
    .private_segment_fixed_size: 0
    .sgpr_count:     23
    .sgpr_spill_count: 0
    .symbol:         _Z6kernelI14inclusive_scanILN6hipcub18BlockScanAlgorithmE0EEfLj64ELj16ELj100EEvPKT0_PS4_S4_.kd
    .uniform_work_group_size: 1
    .uses_dynamic_stack: false
    .vgpr_count:     23
    .vgpr_spill_count: 0
    .wavefront_size: 64
  - .args:
      - .address_space:  global
        .offset:         0
        .size:           8
        .value_kind:     global_buffer
      - .address_space:  global
        .offset:         8
        .size:           8
        .value_kind:     global_buffer
      - .offset:         16
        .size:           8
        .value_kind:     by_value
      - .offset:         24
        .size:           4
        .value_kind:     hidden_block_count_x
      - .offset:         28
        .size:           4
        .value_kind:     hidden_block_count_y
      - .offset:         32
        .size:           4
        .value_kind:     hidden_block_count_z
      - .offset:         36
        .size:           2
        .value_kind:     hidden_group_size_x
      - .offset:         38
        .size:           2
        .value_kind:     hidden_group_size_y
      - .offset:         40
        .size:           2
        .value_kind:     hidden_group_size_z
      - .offset:         42
        .size:           2
        .value_kind:     hidden_remainder_x
      - .offset:         44
        .size:           2
        .value_kind:     hidden_remainder_y
      - .offset:         46
        .size:           2
        .value_kind:     hidden_remainder_z
      - .offset:         64
        .size:           8
        .value_kind:     hidden_global_offset_x
      - .offset:         72
        .size:           8
        .value_kind:     hidden_global_offset_y
      - .offset:         80
        .size:           8
        .value_kind:     hidden_global_offset_z
      - .offset:         88
        .size:           2
        .value_kind:     hidden_grid_dims
    .group_segment_fixed_size: 8
    .kernarg_segment_align: 8
    .kernarg_segment_size: 280
    .language:       OpenCL C
    .language_version:
      - 2
      - 0
    .max_flat_workgroup_size: 64
    .name:           _Z6kernelI14inclusive_scanILN6hipcub18BlockScanAlgorithmE0EEdLj64ELj1ELj100EEvPKT0_PS4_S4_
    .private_segment_fixed_size: 0
    .sgpr_count:     21
    .sgpr_spill_count: 0
    .symbol:         _Z6kernelI14inclusive_scanILN6hipcub18BlockScanAlgorithmE0EEdLj64ELj1ELj100EEvPKT0_PS4_S4_.kd
    .uniform_work_group_size: 1
    .uses_dynamic_stack: false
    .vgpr_count:     8
    .vgpr_spill_count: 0
    .wavefront_size: 64
  - .args:
      - .address_space:  global
        .offset:         0
        .size:           8
        .value_kind:     global_buffer
      - .address_space:  global
        .offset:         8
        .size:           8
        .value_kind:     global_buffer
      - .offset:         16
        .size:           8
        .value_kind:     by_value
      - .offset:         24
        .size:           4
        .value_kind:     hidden_block_count_x
      - .offset:         28
        .size:           4
        .value_kind:     hidden_block_count_y
      - .offset:         32
        .size:           4
        .value_kind:     hidden_block_count_z
      - .offset:         36
        .size:           2
        .value_kind:     hidden_group_size_x
      - .offset:         38
        .size:           2
        .value_kind:     hidden_group_size_y
      - .offset:         40
        .size:           2
        .value_kind:     hidden_group_size_z
      - .offset:         42
        .size:           2
        .value_kind:     hidden_remainder_x
      - .offset:         44
        .size:           2
        .value_kind:     hidden_remainder_y
      - .offset:         46
        .size:           2
        .value_kind:     hidden_remainder_z
      - .offset:         64
        .size:           8
        .value_kind:     hidden_global_offset_x
      - .offset:         72
        .size:           8
        .value_kind:     hidden_global_offset_y
      - .offset:         80
        .size:           8
        .value_kind:     hidden_global_offset_z
      - .offset:         88
        .size:           2
        .value_kind:     hidden_grid_dims
    .group_segment_fixed_size: 8
    .kernarg_segment_align: 8
    .kernarg_segment_size: 280
    .language:       OpenCL C
    .language_version:
      - 2
      - 0
    .max_flat_workgroup_size: 64
    .name:           _Z6kernelI14inclusive_scanILN6hipcub18BlockScanAlgorithmE0EEdLj64ELj3ELj100EEvPKT0_PS4_S4_
    .private_segment_fixed_size: 0
    .sgpr_count:     23
    .sgpr_spill_count: 0
    .symbol:         _Z6kernelI14inclusive_scanILN6hipcub18BlockScanAlgorithmE0EEdLj64ELj3ELj100EEvPKT0_PS4_S4_.kd
    .uniform_work_group_size: 1
    .uses_dynamic_stack: false
    .vgpr_count:     21
    .vgpr_spill_count: 0
    .wavefront_size: 64
  - .args:
      - .address_space:  global
        .offset:         0
        .size:           8
        .value_kind:     global_buffer
      - .address_space:  global
        .offset:         8
        .size:           8
        .value_kind:     global_buffer
      - .offset:         16
        .size:           8
        .value_kind:     by_value
      - .offset:         24
        .size:           4
        .value_kind:     hidden_block_count_x
      - .offset:         28
        .size:           4
        .value_kind:     hidden_block_count_y
      - .offset:         32
        .size:           4
        .value_kind:     hidden_block_count_z
      - .offset:         36
        .size:           2
        .value_kind:     hidden_group_size_x
      - .offset:         38
        .size:           2
        .value_kind:     hidden_group_size_y
      - .offset:         40
        .size:           2
        .value_kind:     hidden_group_size_z
      - .offset:         42
        .size:           2
        .value_kind:     hidden_remainder_x
      - .offset:         44
        .size:           2
        .value_kind:     hidden_remainder_y
      - .offset:         46
        .size:           2
        .value_kind:     hidden_remainder_z
      - .offset:         64
        .size:           8
        .value_kind:     hidden_global_offset_x
      - .offset:         72
        .size:           8
        .value_kind:     hidden_global_offset_y
      - .offset:         80
        .size:           8
        .value_kind:     hidden_global_offset_z
      - .offset:         88
        .size:           2
        .value_kind:     hidden_grid_dims
    .group_segment_fixed_size: 8
    .kernarg_segment_align: 8
    .kernarg_segment_size: 280
    .language:       OpenCL C
    .language_version:
      - 2
      - 0
    .max_flat_workgroup_size: 64
    .name:           _Z6kernelI14inclusive_scanILN6hipcub18BlockScanAlgorithmE0EEdLj64ELj4ELj100EEvPKT0_PS4_S4_
    .private_segment_fixed_size: 0
    .sgpr_count:     23
    .sgpr_spill_count: 0
    .symbol:         _Z6kernelI14inclusive_scanILN6hipcub18BlockScanAlgorithmE0EEdLj64ELj4ELj100EEvPKT0_PS4_S4_.kd
    .uniform_work_group_size: 1
    .uses_dynamic_stack: false
    .vgpr_count:     17
    .vgpr_spill_count: 0
    .wavefront_size: 64
  - .args:
      - .address_space:  global
        .offset:         0
        .size:           8
        .value_kind:     global_buffer
      - .address_space:  global
        .offset:         8
        .size:           8
        .value_kind:     global_buffer
      - .offset:         16
        .size:           8
        .value_kind:     by_value
      - .offset:         24
        .size:           4
        .value_kind:     hidden_block_count_x
      - .offset:         28
        .size:           4
        .value_kind:     hidden_block_count_y
      - .offset:         32
        .size:           4
        .value_kind:     hidden_block_count_z
      - .offset:         36
        .size:           2
        .value_kind:     hidden_group_size_x
      - .offset:         38
        .size:           2
        .value_kind:     hidden_group_size_y
      - .offset:         40
        .size:           2
        .value_kind:     hidden_group_size_z
      - .offset:         42
        .size:           2
        .value_kind:     hidden_remainder_x
      - .offset:         44
        .size:           2
        .value_kind:     hidden_remainder_y
      - .offset:         46
        .size:           2
        .value_kind:     hidden_remainder_z
      - .offset:         64
        .size:           8
        .value_kind:     hidden_global_offset_x
      - .offset:         72
        .size:           8
        .value_kind:     hidden_global_offset_y
      - .offset:         80
        .size:           8
        .value_kind:     hidden_global_offset_z
      - .offset:         88
        .size:           2
        .value_kind:     hidden_grid_dims
    .group_segment_fixed_size: 8
    .kernarg_segment_align: 8
    .kernarg_segment_size: 280
    .language:       OpenCL C
    .language_version:
      - 2
      - 0
    .max_flat_workgroup_size: 64
    .name:           _Z6kernelI14inclusive_scanILN6hipcub18BlockScanAlgorithmE0EEdLj64ELj8ELj100EEvPKT0_PS4_S4_
    .private_segment_fixed_size: 0
    .sgpr_count:     23
    .sgpr_spill_count: 0
    .symbol:         _Z6kernelI14inclusive_scanILN6hipcub18BlockScanAlgorithmE0EEdLj64ELj8ELj100EEvPKT0_PS4_S4_.kd
    .uniform_work_group_size: 1
    .uses_dynamic_stack: false
    .vgpr_count:     25
    .vgpr_spill_count: 0
    .wavefront_size: 64
  - .args:
      - .address_space:  global
        .offset:         0
        .size:           8
        .value_kind:     global_buffer
      - .address_space:  global
        .offset:         8
        .size:           8
        .value_kind:     global_buffer
      - .offset:         16
        .size:           8
        .value_kind:     by_value
      - .offset:         24
        .size:           4
        .value_kind:     hidden_block_count_x
      - .offset:         28
        .size:           4
        .value_kind:     hidden_block_count_y
      - .offset:         32
        .size:           4
        .value_kind:     hidden_block_count_z
      - .offset:         36
        .size:           2
        .value_kind:     hidden_group_size_x
      - .offset:         38
        .size:           2
        .value_kind:     hidden_group_size_y
      - .offset:         40
        .size:           2
        .value_kind:     hidden_group_size_z
      - .offset:         42
        .size:           2
        .value_kind:     hidden_remainder_x
      - .offset:         44
        .size:           2
        .value_kind:     hidden_remainder_y
      - .offset:         46
        .size:           2
        .value_kind:     hidden_remainder_z
      - .offset:         64
        .size:           8
        .value_kind:     hidden_global_offset_x
      - .offset:         72
        .size:           8
        .value_kind:     hidden_global_offset_y
      - .offset:         80
        .size:           8
        .value_kind:     hidden_global_offset_z
      - .offset:         88
        .size:           2
        .value_kind:     hidden_grid_dims
    .group_segment_fixed_size: 8
    .kernarg_segment_align: 8
    .kernarg_segment_size: 280
    .language:       OpenCL C
    .language_version:
      - 2
      - 0
    .max_flat_workgroup_size: 64
    .name:           _Z6kernelI14inclusive_scanILN6hipcub18BlockScanAlgorithmE0EEdLj64ELj11ELj100EEvPKT0_PS4_S4_
    .private_segment_fixed_size: 0
    .sgpr_count:     23
    .sgpr_spill_count: 0
    .symbol:         _Z6kernelI14inclusive_scanILN6hipcub18BlockScanAlgorithmE0EEdLj64ELj11ELj100EEvPKT0_PS4_S4_.kd
    .uniform_work_group_size: 1
    .uses_dynamic_stack: false
    .vgpr_count:     65
    .vgpr_spill_count: 0
    .wavefront_size: 64
  - .args:
      - .address_space:  global
        .offset:         0
        .size:           8
        .value_kind:     global_buffer
      - .address_space:  global
        .offset:         8
        .size:           8
        .value_kind:     global_buffer
      - .offset:         16
        .size:           8
        .value_kind:     by_value
      - .offset:         24
        .size:           4
        .value_kind:     hidden_block_count_x
      - .offset:         28
        .size:           4
        .value_kind:     hidden_block_count_y
      - .offset:         32
        .size:           4
        .value_kind:     hidden_block_count_z
      - .offset:         36
        .size:           2
        .value_kind:     hidden_group_size_x
      - .offset:         38
        .size:           2
        .value_kind:     hidden_group_size_y
      - .offset:         40
        .size:           2
        .value_kind:     hidden_group_size_z
      - .offset:         42
        .size:           2
        .value_kind:     hidden_remainder_x
      - .offset:         44
        .size:           2
        .value_kind:     hidden_remainder_y
      - .offset:         46
        .size:           2
        .value_kind:     hidden_remainder_z
      - .offset:         64
        .size:           8
        .value_kind:     hidden_global_offset_x
      - .offset:         72
        .size:           8
        .value_kind:     hidden_global_offset_y
      - .offset:         80
        .size:           8
        .value_kind:     hidden_global_offset_z
      - .offset:         88
        .size:           2
        .value_kind:     hidden_grid_dims
    .group_segment_fixed_size: 8
    .kernarg_segment_align: 8
    .kernarg_segment_size: 280
    .language:       OpenCL C
    .language_version:
      - 2
      - 0
    .max_flat_workgroup_size: 64
    .name:           _Z6kernelI14inclusive_scanILN6hipcub18BlockScanAlgorithmE0EEdLj64ELj16ELj100EEvPKT0_PS4_S4_
    .private_segment_fixed_size: 0
    .sgpr_count:     23
    .sgpr_spill_count: 0
    .symbol:         _Z6kernelI14inclusive_scanILN6hipcub18BlockScanAlgorithmE0EEdLj64ELj16ELj100EEvPKT0_PS4_S4_.kd
    .uniform_work_group_size: 1
    .uses_dynamic_stack: false
    .vgpr_count:     41
    .vgpr_spill_count: 0
    .wavefront_size: 64
  - .args:
      - .address_space:  global
        .offset:         0
        .size:           8
        .value_kind:     global_buffer
      - .address_space:  global
        .offset:         8
        .size:           8
        .value_kind:     global_buffer
      - .offset:         16
        .size:           1
        .value_kind:     by_value
      - .offset:         24
        .size:           4
        .value_kind:     hidden_block_count_x
      - .offset:         28
        .size:           4
        .value_kind:     hidden_block_count_y
      - .offset:         32
        .size:           4
        .value_kind:     hidden_block_count_z
      - .offset:         36
        .size:           2
        .value_kind:     hidden_group_size_x
      - .offset:         38
        .size:           2
        .value_kind:     hidden_group_size_y
      - .offset:         40
        .size:           2
        .value_kind:     hidden_group_size_z
      - .offset:         42
        .size:           2
        .value_kind:     hidden_remainder_x
      - .offset:         44
        .size:           2
        .value_kind:     hidden_remainder_y
      - .offset:         46
        .size:           2
        .value_kind:     hidden_remainder_z
      - .offset:         64
        .size:           8
        .value_kind:     hidden_global_offset_x
      - .offset:         72
        .size:           8
        .value_kind:     hidden_global_offset_y
      - .offset:         80
        .size:           8
        .value_kind:     hidden_global_offset_z
      - .offset:         88
        .size:           2
        .value_kind:     hidden_grid_dims
    .group_segment_fixed_size: 1
    .kernarg_segment_align: 8
    .kernarg_segment_size: 280
    .language:       OpenCL C
    .language_version:
      - 2
      - 0
    .max_flat_workgroup_size: 64
    .name:           _Z6kernelI14inclusive_scanILN6hipcub18BlockScanAlgorithmE0EEhLj64ELj1ELj100EEvPKT0_PS4_S4_
    .private_segment_fixed_size: 0
    .sgpr_count:     21
    .sgpr_spill_count: 0
    .symbol:         _Z6kernelI14inclusive_scanILN6hipcub18BlockScanAlgorithmE0EEhLj64ELj1ELj100EEvPKT0_PS4_S4_.kd
    .uniform_work_group_size: 1
    .uses_dynamic_stack: false
    .vgpr_count:     6
    .vgpr_spill_count: 0
    .wavefront_size: 64
  - .args:
      - .address_space:  global
        .offset:         0
        .size:           8
        .value_kind:     global_buffer
      - .address_space:  global
        .offset:         8
        .size:           8
        .value_kind:     global_buffer
      - .offset:         16
        .size:           1
        .value_kind:     by_value
      - .offset:         24
        .size:           4
        .value_kind:     hidden_block_count_x
      - .offset:         28
        .size:           4
        .value_kind:     hidden_block_count_y
      - .offset:         32
        .size:           4
        .value_kind:     hidden_block_count_z
      - .offset:         36
        .size:           2
        .value_kind:     hidden_group_size_x
      - .offset:         38
        .size:           2
        .value_kind:     hidden_group_size_y
      - .offset:         40
        .size:           2
        .value_kind:     hidden_group_size_z
      - .offset:         42
        .size:           2
        .value_kind:     hidden_remainder_x
      - .offset:         44
        .size:           2
        .value_kind:     hidden_remainder_y
      - .offset:         46
        .size:           2
        .value_kind:     hidden_remainder_z
      - .offset:         64
        .size:           8
        .value_kind:     hidden_global_offset_x
      - .offset:         72
        .size:           8
        .value_kind:     hidden_global_offset_y
      - .offset:         80
        .size:           8
        .value_kind:     hidden_global_offset_z
      - .offset:         88
        .size:           2
        .value_kind:     hidden_grid_dims
    .group_segment_fixed_size: 1
    .kernarg_segment_align: 8
    .kernarg_segment_size: 280
    .language:       OpenCL C
    .language_version:
      - 2
      - 0
    .max_flat_workgroup_size: 64
    .name:           _Z6kernelI14inclusive_scanILN6hipcub18BlockScanAlgorithmE0EEhLj64ELj3ELj100EEvPKT0_PS4_S4_
    .private_segment_fixed_size: 0
    .sgpr_count:     23
    .sgpr_spill_count: 0
    .symbol:         _Z6kernelI14inclusive_scanILN6hipcub18BlockScanAlgorithmE0EEhLj64ELj3ELj100EEvPKT0_PS4_S4_.kd
    .uniform_work_group_size: 1
    .uses_dynamic_stack: false
    .vgpr_count:     11
    .vgpr_spill_count: 0
    .wavefront_size: 64
  - .args:
      - .address_space:  global
        .offset:         0
        .size:           8
        .value_kind:     global_buffer
      - .address_space:  global
        .offset:         8
        .size:           8
        .value_kind:     global_buffer
      - .offset:         16
        .size:           1
        .value_kind:     by_value
      - .offset:         24
        .size:           4
        .value_kind:     hidden_block_count_x
      - .offset:         28
        .size:           4
        .value_kind:     hidden_block_count_y
      - .offset:         32
        .size:           4
        .value_kind:     hidden_block_count_z
      - .offset:         36
        .size:           2
        .value_kind:     hidden_group_size_x
      - .offset:         38
        .size:           2
        .value_kind:     hidden_group_size_y
      - .offset:         40
        .size:           2
        .value_kind:     hidden_group_size_z
      - .offset:         42
        .size:           2
        .value_kind:     hidden_remainder_x
      - .offset:         44
        .size:           2
        .value_kind:     hidden_remainder_y
      - .offset:         46
        .size:           2
        .value_kind:     hidden_remainder_z
      - .offset:         64
        .size:           8
        .value_kind:     hidden_global_offset_x
      - .offset:         72
        .size:           8
        .value_kind:     hidden_global_offset_y
      - .offset:         80
        .size:           8
        .value_kind:     hidden_global_offset_z
      - .offset:         88
        .size:           2
        .value_kind:     hidden_grid_dims
    .group_segment_fixed_size: 1
    .kernarg_segment_align: 8
    .kernarg_segment_size: 280
    .language:       OpenCL C
    .language_version:
      - 2
      - 0
    .max_flat_workgroup_size: 64
    .name:           _Z6kernelI14inclusive_scanILN6hipcub18BlockScanAlgorithmE0EEhLj64ELj4ELj100EEvPKT0_PS4_S4_
    .private_segment_fixed_size: 0
    .sgpr_count:     24
    .sgpr_spill_count: 0
    .symbol:         _Z6kernelI14inclusive_scanILN6hipcub18BlockScanAlgorithmE0EEhLj64ELj4ELj100EEvPKT0_PS4_S4_.kd
    .uniform_work_group_size: 1
    .uses_dynamic_stack: false
    .vgpr_count:     9
    .vgpr_spill_count: 0
    .wavefront_size: 64
  - .args:
      - .address_space:  global
        .offset:         0
        .size:           8
        .value_kind:     global_buffer
      - .address_space:  global
        .offset:         8
        .size:           8
        .value_kind:     global_buffer
      - .offset:         16
        .size:           1
        .value_kind:     by_value
      - .offset:         24
        .size:           4
        .value_kind:     hidden_block_count_x
      - .offset:         28
        .size:           4
        .value_kind:     hidden_block_count_y
      - .offset:         32
        .size:           4
        .value_kind:     hidden_block_count_z
      - .offset:         36
        .size:           2
        .value_kind:     hidden_group_size_x
      - .offset:         38
        .size:           2
        .value_kind:     hidden_group_size_y
      - .offset:         40
        .size:           2
        .value_kind:     hidden_group_size_z
      - .offset:         42
        .size:           2
        .value_kind:     hidden_remainder_x
      - .offset:         44
        .size:           2
        .value_kind:     hidden_remainder_y
      - .offset:         46
        .size:           2
        .value_kind:     hidden_remainder_z
      - .offset:         64
        .size:           8
        .value_kind:     hidden_global_offset_x
      - .offset:         72
        .size:           8
        .value_kind:     hidden_global_offset_y
      - .offset:         80
        .size:           8
        .value_kind:     hidden_global_offset_z
      - .offset:         88
        .size:           2
        .value_kind:     hidden_grid_dims
    .group_segment_fixed_size: 1
    .kernarg_segment_align: 8
    .kernarg_segment_size: 280
    .language:       OpenCL C
    .language_version:
      - 2
      - 0
    .max_flat_workgroup_size: 64
    .name:           _Z6kernelI14inclusive_scanILN6hipcub18BlockScanAlgorithmE0EEhLj64ELj8ELj100EEvPKT0_PS4_S4_
    .private_segment_fixed_size: 0
    .sgpr_count:     23
    .sgpr_spill_count: 0
    .symbol:         _Z6kernelI14inclusive_scanILN6hipcub18BlockScanAlgorithmE0EEhLj64ELj8ELj100EEvPKT0_PS4_S4_.kd
    .uniform_work_group_size: 1
    .uses_dynamic_stack: false
    .vgpr_count:     14
    .vgpr_spill_count: 0
    .wavefront_size: 64
  - .args:
      - .address_space:  global
        .offset:         0
        .size:           8
        .value_kind:     global_buffer
      - .address_space:  global
        .offset:         8
        .size:           8
        .value_kind:     global_buffer
      - .offset:         16
        .size:           1
        .value_kind:     by_value
      - .offset:         24
        .size:           4
        .value_kind:     hidden_block_count_x
      - .offset:         28
        .size:           4
        .value_kind:     hidden_block_count_y
      - .offset:         32
        .size:           4
        .value_kind:     hidden_block_count_z
      - .offset:         36
        .size:           2
        .value_kind:     hidden_group_size_x
      - .offset:         38
        .size:           2
        .value_kind:     hidden_group_size_y
      - .offset:         40
        .size:           2
        .value_kind:     hidden_group_size_z
      - .offset:         42
        .size:           2
        .value_kind:     hidden_remainder_x
      - .offset:         44
        .size:           2
        .value_kind:     hidden_remainder_y
      - .offset:         46
        .size:           2
        .value_kind:     hidden_remainder_z
      - .offset:         64
        .size:           8
        .value_kind:     hidden_global_offset_x
      - .offset:         72
        .size:           8
        .value_kind:     hidden_global_offset_y
      - .offset:         80
        .size:           8
        .value_kind:     hidden_global_offset_z
      - .offset:         88
        .size:           2
        .value_kind:     hidden_grid_dims
    .group_segment_fixed_size: 1
    .kernarg_segment_align: 8
    .kernarg_segment_size: 280
    .language:       OpenCL C
    .language_version:
      - 2
      - 0
    .max_flat_workgroup_size: 64
    .name:           _Z6kernelI14inclusive_scanILN6hipcub18BlockScanAlgorithmE0EEhLj64ELj11ELj100EEvPKT0_PS4_S4_
    .private_segment_fixed_size: 0
    .sgpr_count:     24
    .sgpr_spill_count: 0
    .symbol:         _Z6kernelI14inclusive_scanILN6hipcub18BlockScanAlgorithmE0EEhLj64ELj11ELj100EEvPKT0_PS4_S4_.kd
    .uniform_work_group_size: 1
    .uses_dynamic_stack: false
    .vgpr_count:     27
    .vgpr_spill_count: 0
    .wavefront_size: 64
  - .args:
      - .address_space:  global
        .offset:         0
        .size:           8
        .value_kind:     global_buffer
      - .address_space:  global
        .offset:         8
        .size:           8
        .value_kind:     global_buffer
      - .offset:         16
        .size:           1
        .value_kind:     by_value
      - .offset:         24
        .size:           4
        .value_kind:     hidden_block_count_x
      - .offset:         28
        .size:           4
        .value_kind:     hidden_block_count_y
      - .offset:         32
        .size:           4
        .value_kind:     hidden_block_count_z
      - .offset:         36
        .size:           2
        .value_kind:     hidden_group_size_x
      - .offset:         38
        .size:           2
        .value_kind:     hidden_group_size_y
      - .offset:         40
        .size:           2
        .value_kind:     hidden_group_size_z
      - .offset:         42
        .size:           2
        .value_kind:     hidden_remainder_x
      - .offset:         44
        .size:           2
        .value_kind:     hidden_remainder_y
      - .offset:         46
        .size:           2
        .value_kind:     hidden_remainder_z
      - .offset:         64
        .size:           8
        .value_kind:     hidden_global_offset_x
      - .offset:         72
        .size:           8
        .value_kind:     hidden_global_offset_y
      - .offset:         80
        .size:           8
        .value_kind:     hidden_global_offset_z
      - .offset:         88
        .size:           2
        .value_kind:     hidden_grid_dims
    .group_segment_fixed_size: 1
    .kernarg_segment_align: 8
    .kernarg_segment_size: 280
    .language:       OpenCL C
    .language_version:
      - 2
      - 0
    .max_flat_workgroup_size: 64
    .name:           _Z6kernelI14inclusive_scanILN6hipcub18BlockScanAlgorithmE0EEhLj64ELj16ELj100EEvPKT0_PS4_S4_
    .private_segment_fixed_size: 0
    .sgpr_count:     23
    .sgpr_spill_count: 0
    .symbol:         _Z6kernelI14inclusive_scanILN6hipcub18BlockScanAlgorithmE0EEhLj64ELj16ELj100EEvPKT0_PS4_S4_.kd
    .uniform_work_group_size: 1
    .uses_dynamic_stack: false
    .vgpr_count:     23
    .vgpr_spill_count: 0
    .wavefront_size: 64
  - .args:
      - .address_space:  global
        .offset:         0
        .size:           8
        .value_kind:     global_buffer
      - .address_space:  global
        .offset:         8
        .size:           8
        .value_kind:     global_buffer
      - .offset:         16
        .size:           4
        .value_kind:     by_value
      - .offset:         24
        .size:           4
        .value_kind:     hidden_block_count_x
      - .offset:         28
        .size:           4
        .value_kind:     hidden_block_count_y
      - .offset:         32
        .size:           4
        .value_kind:     hidden_block_count_z
      - .offset:         36
        .size:           2
        .value_kind:     hidden_group_size_x
      - .offset:         38
        .size:           2
        .value_kind:     hidden_group_size_y
      - .offset:         40
        .size:           2
        .value_kind:     hidden_group_size_z
      - .offset:         42
        .size:           2
        .value_kind:     hidden_remainder_x
      - .offset:         44
        .size:           2
        .value_kind:     hidden_remainder_y
      - .offset:         46
        .size:           2
        .value_kind:     hidden_remainder_z
      - .offset:         64
        .size:           8
        .value_kind:     hidden_global_offset_x
      - .offset:         72
        .size:           8
        .value_kind:     hidden_global_offset_y
      - .offset:         80
        .size:           8
        .value_kind:     hidden_global_offset_z
      - .offset:         88
        .size:           2
        .value_kind:     hidden_grid_dims
    .group_segment_fixed_size: 16
    .kernarg_segment_align: 8
    .kernarg_segment_size: 280
    .language:       OpenCL C
    .language_version:
      - 2
      - 0
    .max_flat_workgroup_size: 256
    .name:           _Z6kernelI14inclusive_scanILN6hipcub18BlockScanAlgorithmE0EEiLj256ELj1ELj100EEvPKT0_PS4_S4_
    .private_segment_fixed_size: 0
    .sgpr_count:     29
    .sgpr_spill_count: 0
    .symbol:         _Z6kernelI14inclusive_scanILN6hipcub18BlockScanAlgorithmE0EEiLj256ELj1ELj100EEvPKT0_PS4_S4_.kd
    .uniform_work_group_size: 1
    .uses_dynamic_stack: false
    .vgpr_count:     8
    .vgpr_spill_count: 0
    .wavefront_size: 64
  - .args:
      - .address_space:  global
        .offset:         0
        .size:           8
        .value_kind:     global_buffer
      - .address_space:  global
        .offset:         8
        .size:           8
        .value_kind:     global_buffer
      - .offset:         16
        .size:           4
        .value_kind:     by_value
      - .offset:         24
        .size:           4
        .value_kind:     hidden_block_count_x
      - .offset:         28
        .size:           4
        .value_kind:     hidden_block_count_y
      - .offset:         32
        .size:           4
        .value_kind:     hidden_block_count_z
      - .offset:         36
        .size:           2
        .value_kind:     hidden_group_size_x
      - .offset:         38
        .size:           2
        .value_kind:     hidden_group_size_y
      - .offset:         40
        .size:           2
        .value_kind:     hidden_group_size_z
      - .offset:         42
        .size:           2
        .value_kind:     hidden_remainder_x
      - .offset:         44
        .size:           2
        .value_kind:     hidden_remainder_y
      - .offset:         46
        .size:           2
        .value_kind:     hidden_remainder_z
      - .offset:         64
        .size:           8
        .value_kind:     hidden_global_offset_x
      - .offset:         72
        .size:           8
        .value_kind:     hidden_global_offset_y
      - .offset:         80
        .size:           8
        .value_kind:     hidden_global_offset_z
      - .offset:         88
        .size:           2
        .value_kind:     hidden_grid_dims
    .group_segment_fixed_size: 16
    .kernarg_segment_align: 8
    .kernarg_segment_size: 280
    .language:       OpenCL C
    .language_version:
      - 2
      - 0
    .max_flat_workgroup_size: 256
    .name:           _Z6kernelI14inclusive_scanILN6hipcub18BlockScanAlgorithmE0EEiLj256ELj3ELj100EEvPKT0_PS4_S4_
    .private_segment_fixed_size: 0
    .sgpr_count:     33
    .sgpr_spill_count: 0
    .symbol:         _Z6kernelI14inclusive_scanILN6hipcub18BlockScanAlgorithmE0EEiLj256ELj3ELj100EEvPKT0_PS4_S4_.kd
    .uniform_work_group_size: 1
    .uses_dynamic_stack: false
    .vgpr_count:     16
    .vgpr_spill_count: 0
    .wavefront_size: 64
  - .args:
      - .address_space:  global
        .offset:         0
        .size:           8
        .value_kind:     global_buffer
      - .address_space:  global
        .offset:         8
        .size:           8
        .value_kind:     global_buffer
      - .offset:         16
        .size:           4
        .value_kind:     by_value
      - .offset:         24
        .size:           4
        .value_kind:     hidden_block_count_x
      - .offset:         28
        .size:           4
        .value_kind:     hidden_block_count_y
      - .offset:         32
        .size:           4
        .value_kind:     hidden_block_count_z
      - .offset:         36
        .size:           2
        .value_kind:     hidden_group_size_x
      - .offset:         38
        .size:           2
        .value_kind:     hidden_group_size_y
      - .offset:         40
        .size:           2
        .value_kind:     hidden_group_size_z
      - .offset:         42
        .size:           2
        .value_kind:     hidden_remainder_x
      - .offset:         44
        .size:           2
        .value_kind:     hidden_remainder_y
      - .offset:         46
        .size:           2
        .value_kind:     hidden_remainder_z
      - .offset:         64
        .size:           8
        .value_kind:     hidden_global_offset_x
      - .offset:         72
        .size:           8
        .value_kind:     hidden_global_offset_y
      - .offset:         80
        .size:           8
        .value_kind:     hidden_global_offset_z
      - .offset:         88
        .size:           2
        .value_kind:     hidden_grid_dims
    .group_segment_fixed_size: 16
    .kernarg_segment_align: 8
    .kernarg_segment_size: 280
    .language:       OpenCL C
    .language_version:
      - 2
      - 0
    .max_flat_workgroup_size: 256
    .name:           _Z6kernelI14inclusive_scanILN6hipcub18BlockScanAlgorithmE0EEiLj256ELj4ELj100EEvPKT0_PS4_S4_
    .private_segment_fixed_size: 0
    .sgpr_count:     33
    .sgpr_spill_count: 0
    .symbol:         _Z6kernelI14inclusive_scanILN6hipcub18BlockScanAlgorithmE0EEiLj256ELj4ELj100EEvPKT0_PS4_S4_.kd
    .uniform_work_group_size: 1
    .uses_dynamic_stack: false
    .vgpr_count:     13
    .vgpr_spill_count: 0
    .wavefront_size: 64
  - .args:
      - .address_space:  global
        .offset:         0
        .size:           8
        .value_kind:     global_buffer
      - .address_space:  global
        .offset:         8
        .size:           8
        .value_kind:     global_buffer
      - .offset:         16
        .size:           4
        .value_kind:     by_value
      - .offset:         24
        .size:           4
        .value_kind:     hidden_block_count_x
      - .offset:         28
        .size:           4
        .value_kind:     hidden_block_count_y
      - .offset:         32
        .size:           4
        .value_kind:     hidden_block_count_z
      - .offset:         36
        .size:           2
        .value_kind:     hidden_group_size_x
      - .offset:         38
        .size:           2
        .value_kind:     hidden_group_size_y
      - .offset:         40
        .size:           2
        .value_kind:     hidden_group_size_z
      - .offset:         42
        .size:           2
        .value_kind:     hidden_remainder_x
      - .offset:         44
        .size:           2
        .value_kind:     hidden_remainder_y
      - .offset:         46
        .size:           2
        .value_kind:     hidden_remainder_z
      - .offset:         64
        .size:           8
        .value_kind:     hidden_global_offset_x
      - .offset:         72
        .size:           8
        .value_kind:     hidden_global_offset_y
      - .offset:         80
        .size:           8
        .value_kind:     hidden_global_offset_z
      - .offset:         88
        .size:           2
        .value_kind:     hidden_grid_dims
    .group_segment_fixed_size: 16
    .kernarg_segment_align: 8
    .kernarg_segment_size: 280
    .language:       OpenCL C
    .language_version:
      - 2
      - 0
    .max_flat_workgroup_size: 256
    .name:           _Z6kernelI14inclusive_scanILN6hipcub18BlockScanAlgorithmE0EEiLj256ELj8ELj100EEvPKT0_PS4_S4_
    .private_segment_fixed_size: 0
    .sgpr_count:     33
    .sgpr_spill_count: 0
    .symbol:         _Z6kernelI14inclusive_scanILN6hipcub18BlockScanAlgorithmE0EEiLj256ELj8ELj100EEvPKT0_PS4_S4_.kd
    .uniform_work_group_size: 1
    .uses_dynamic_stack: false
    .vgpr_count:     17
    .vgpr_spill_count: 0
    .wavefront_size: 64
  - .args:
      - .address_space:  global
        .offset:         0
        .size:           8
        .value_kind:     global_buffer
      - .address_space:  global
        .offset:         8
        .size:           8
        .value_kind:     global_buffer
      - .offset:         16
        .size:           4
        .value_kind:     by_value
      - .offset:         24
        .size:           4
        .value_kind:     hidden_block_count_x
      - .offset:         28
        .size:           4
        .value_kind:     hidden_block_count_y
      - .offset:         32
        .size:           4
        .value_kind:     hidden_block_count_z
      - .offset:         36
        .size:           2
        .value_kind:     hidden_group_size_x
      - .offset:         38
        .size:           2
        .value_kind:     hidden_group_size_y
      - .offset:         40
        .size:           2
        .value_kind:     hidden_group_size_z
      - .offset:         42
        .size:           2
        .value_kind:     hidden_remainder_x
      - .offset:         44
        .size:           2
        .value_kind:     hidden_remainder_y
      - .offset:         46
        .size:           2
        .value_kind:     hidden_remainder_z
      - .offset:         64
        .size:           8
        .value_kind:     hidden_global_offset_x
      - .offset:         72
        .size:           8
        .value_kind:     hidden_global_offset_y
      - .offset:         80
        .size:           8
        .value_kind:     hidden_global_offset_z
      - .offset:         88
        .size:           2
        .value_kind:     hidden_grid_dims
    .group_segment_fixed_size: 16
    .kernarg_segment_align: 8
    .kernarg_segment_size: 280
    .language:       OpenCL C
    .language_version:
      - 2
      - 0
    .max_flat_workgroup_size: 256
    .name:           _Z6kernelI14inclusive_scanILN6hipcub18BlockScanAlgorithmE0EEiLj256ELj11ELj100EEvPKT0_PS4_S4_
    .private_segment_fixed_size: 0
    .sgpr_count:     33
    .sgpr_spill_count: 0
    .symbol:         _Z6kernelI14inclusive_scanILN6hipcub18BlockScanAlgorithmE0EEiLj256ELj11ELj100EEvPKT0_PS4_S4_.kd
    .uniform_work_group_size: 1
    .uses_dynamic_stack: false
    .vgpr_count:     44
    .vgpr_spill_count: 0
    .wavefront_size: 64
  - .args:
      - .address_space:  global
        .offset:         0
        .size:           8
        .value_kind:     global_buffer
      - .address_space:  global
        .offset:         8
        .size:           8
        .value_kind:     global_buffer
      - .offset:         16
        .size:           4
        .value_kind:     by_value
      - .offset:         24
        .size:           4
        .value_kind:     hidden_block_count_x
      - .offset:         28
        .size:           4
        .value_kind:     hidden_block_count_y
      - .offset:         32
        .size:           4
        .value_kind:     hidden_block_count_z
      - .offset:         36
        .size:           2
        .value_kind:     hidden_group_size_x
      - .offset:         38
        .size:           2
        .value_kind:     hidden_group_size_y
      - .offset:         40
        .size:           2
        .value_kind:     hidden_group_size_z
      - .offset:         42
        .size:           2
        .value_kind:     hidden_remainder_x
      - .offset:         44
        .size:           2
        .value_kind:     hidden_remainder_y
      - .offset:         46
        .size:           2
        .value_kind:     hidden_remainder_z
      - .offset:         64
        .size:           8
        .value_kind:     hidden_global_offset_x
      - .offset:         72
        .size:           8
        .value_kind:     hidden_global_offset_y
      - .offset:         80
        .size:           8
        .value_kind:     hidden_global_offset_z
      - .offset:         88
        .size:           2
        .value_kind:     hidden_grid_dims
    .group_segment_fixed_size: 16
    .kernarg_segment_align: 8
    .kernarg_segment_size: 280
    .language:       OpenCL C
    .language_version:
      - 2
      - 0
    .max_flat_workgroup_size: 256
    .name:           _Z6kernelI14inclusive_scanILN6hipcub18BlockScanAlgorithmE0EEiLj256ELj16ELj100EEvPKT0_PS4_S4_
    .private_segment_fixed_size: 0
    .sgpr_count:     33
    .sgpr_spill_count: 0
    .symbol:         _Z6kernelI14inclusive_scanILN6hipcub18BlockScanAlgorithmE0EEiLj256ELj16ELj100EEvPKT0_PS4_S4_.kd
    .uniform_work_group_size: 1
    .uses_dynamic_stack: false
    .vgpr_count:     25
    .vgpr_spill_count: 0
    .wavefront_size: 64
  - .args:
      - .address_space:  global
        .offset:         0
        .size:           8
        .value_kind:     global_buffer
      - .address_space:  global
        .offset:         8
        .size:           8
        .value_kind:     global_buffer
      - .offset:         16
        .size:           4
        .value_kind:     by_value
      - .offset:         24
        .size:           4
        .value_kind:     hidden_block_count_x
      - .offset:         28
        .size:           4
        .value_kind:     hidden_block_count_y
      - .offset:         32
        .size:           4
        .value_kind:     hidden_block_count_z
      - .offset:         36
        .size:           2
        .value_kind:     hidden_group_size_x
      - .offset:         38
        .size:           2
        .value_kind:     hidden_group_size_y
      - .offset:         40
        .size:           2
        .value_kind:     hidden_group_size_z
      - .offset:         42
        .size:           2
        .value_kind:     hidden_remainder_x
      - .offset:         44
        .size:           2
        .value_kind:     hidden_remainder_y
      - .offset:         46
        .size:           2
        .value_kind:     hidden_remainder_z
      - .offset:         64
        .size:           8
        .value_kind:     hidden_global_offset_x
      - .offset:         72
        .size:           8
        .value_kind:     hidden_global_offset_y
      - .offset:         80
        .size:           8
        .value_kind:     hidden_global_offset_z
      - .offset:         88
        .size:           2
        .value_kind:     hidden_grid_dims
    .group_segment_fixed_size: 16
    .kernarg_segment_align: 8
    .kernarg_segment_size: 280
    .language:       OpenCL C
    .language_version:
      - 2
      - 0
    .max_flat_workgroup_size: 256
    .name:           _Z6kernelI14inclusive_scanILN6hipcub18BlockScanAlgorithmE0EEfLj256ELj1ELj100EEvPKT0_PS4_S4_
    .private_segment_fixed_size: 0
    .sgpr_count:     29
    .sgpr_spill_count: 0
    .symbol:         _Z6kernelI14inclusive_scanILN6hipcub18BlockScanAlgorithmE0EEfLj256ELj1ELj100EEvPKT0_PS4_S4_.kd
    .uniform_work_group_size: 1
    .uses_dynamic_stack: false
    .vgpr_count:     8
    .vgpr_spill_count: 0
    .wavefront_size: 64
  - .args:
      - .address_space:  global
        .offset:         0
        .size:           8
        .value_kind:     global_buffer
      - .address_space:  global
        .offset:         8
        .size:           8
        .value_kind:     global_buffer
      - .offset:         16
        .size:           4
        .value_kind:     by_value
      - .offset:         24
        .size:           4
        .value_kind:     hidden_block_count_x
      - .offset:         28
        .size:           4
        .value_kind:     hidden_block_count_y
      - .offset:         32
        .size:           4
        .value_kind:     hidden_block_count_z
      - .offset:         36
        .size:           2
        .value_kind:     hidden_group_size_x
      - .offset:         38
        .size:           2
        .value_kind:     hidden_group_size_y
      - .offset:         40
        .size:           2
        .value_kind:     hidden_group_size_z
      - .offset:         42
        .size:           2
        .value_kind:     hidden_remainder_x
      - .offset:         44
        .size:           2
        .value_kind:     hidden_remainder_y
      - .offset:         46
        .size:           2
        .value_kind:     hidden_remainder_z
      - .offset:         64
        .size:           8
        .value_kind:     hidden_global_offset_x
      - .offset:         72
        .size:           8
        .value_kind:     hidden_global_offset_y
      - .offset:         80
        .size:           8
        .value_kind:     hidden_global_offset_z
      - .offset:         88
        .size:           2
        .value_kind:     hidden_grid_dims
    .group_segment_fixed_size: 16
    .kernarg_segment_align: 8
    .kernarg_segment_size: 280
    .language:       OpenCL C
    .language_version:
      - 2
      - 0
    .max_flat_workgroup_size: 256
    .name:           _Z6kernelI14inclusive_scanILN6hipcub18BlockScanAlgorithmE0EEfLj256ELj3ELj100EEvPKT0_PS4_S4_
    .private_segment_fixed_size: 0
    .sgpr_count:     33
    .sgpr_spill_count: 0
    .symbol:         _Z6kernelI14inclusive_scanILN6hipcub18BlockScanAlgorithmE0EEfLj256ELj3ELj100EEvPKT0_PS4_S4_.kd
    .uniform_work_group_size: 1
    .uses_dynamic_stack: false
    .vgpr_count:     16
    .vgpr_spill_count: 0
    .wavefront_size: 64
  - .args:
      - .address_space:  global
        .offset:         0
        .size:           8
        .value_kind:     global_buffer
      - .address_space:  global
        .offset:         8
        .size:           8
        .value_kind:     global_buffer
      - .offset:         16
        .size:           4
        .value_kind:     by_value
      - .offset:         24
        .size:           4
        .value_kind:     hidden_block_count_x
      - .offset:         28
        .size:           4
        .value_kind:     hidden_block_count_y
      - .offset:         32
        .size:           4
        .value_kind:     hidden_block_count_z
      - .offset:         36
        .size:           2
        .value_kind:     hidden_group_size_x
      - .offset:         38
        .size:           2
        .value_kind:     hidden_group_size_y
      - .offset:         40
        .size:           2
        .value_kind:     hidden_group_size_z
      - .offset:         42
        .size:           2
        .value_kind:     hidden_remainder_x
      - .offset:         44
        .size:           2
        .value_kind:     hidden_remainder_y
      - .offset:         46
        .size:           2
        .value_kind:     hidden_remainder_z
      - .offset:         64
        .size:           8
        .value_kind:     hidden_global_offset_x
      - .offset:         72
        .size:           8
        .value_kind:     hidden_global_offset_y
      - .offset:         80
        .size:           8
        .value_kind:     hidden_global_offset_z
      - .offset:         88
        .size:           2
        .value_kind:     hidden_grid_dims
    .group_segment_fixed_size: 16
    .kernarg_segment_align: 8
    .kernarg_segment_size: 280
    .language:       OpenCL C
    .language_version:
      - 2
      - 0
    .max_flat_workgroup_size: 256
    .name:           _Z6kernelI14inclusive_scanILN6hipcub18BlockScanAlgorithmE0EEfLj256ELj4ELj100EEvPKT0_PS4_S4_
    .private_segment_fixed_size: 0
    .sgpr_count:     33
    .sgpr_spill_count: 0
    .symbol:         _Z6kernelI14inclusive_scanILN6hipcub18BlockScanAlgorithmE0EEfLj256ELj4ELj100EEvPKT0_PS4_S4_.kd
    .uniform_work_group_size: 1
    .uses_dynamic_stack: false
    .vgpr_count:     13
    .vgpr_spill_count: 0
    .wavefront_size: 64
  - .args:
      - .address_space:  global
        .offset:         0
        .size:           8
        .value_kind:     global_buffer
      - .address_space:  global
        .offset:         8
        .size:           8
        .value_kind:     global_buffer
      - .offset:         16
        .size:           4
        .value_kind:     by_value
      - .offset:         24
        .size:           4
        .value_kind:     hidden_block_count_x
      - .offset:         28
        .size:           4
        .value_kind:     hidden_block_count_y
      - .offset:         32
        .size:           4
        .value_kind:     hidden_block_count_z
      - .offset:         36
        .size:           2
        .value_kind:     hidden_group_size_x
      - .offset:         38
        .size:           2
        .value_kind:     hidden_group_size_y
      - .offset:         40
        .size:           2
        .value_kind:     hidden_group_size_z
      - .offset:         42
        .size:           2
        .value_kind:     hidden_remainder_x
      - .offset:         44
        .size:           2
        .value_kind:     hidden_remainder_y
      - .offset:         46
        .size:           2
        .value_kind:     hidden_remainder_z
      - .offset:         64
        .size:           8
        .value_kind:     hidden_global_offset_x
      - .offset:         72
        .size:           8
        .value_kind:     hidden_global_offset_y
      - .offset:         80
        .size:           8
        .value_kind:     hidden_global_offset_z
      - .offset:         88
        .size:           2
        .value_kind:     hidden_grid_dims
    .group_segment_fixed_size: 16
    .kernarg_segment_align: 8
    .kernarg_segment_size: 280
    .language:       OpenCL C
    .language_version:
      - 2
      - 0
    .max_flat_workgroup_size: 256
    .name:           _Z6kernelI14inclusive_scanILN6hipcub18BlockScanAlgorithmE0EEfLj256ELj8ELj100EEvPKT0_PS4_S4_
    .private_segment_fixed_size: 0
    .sgpr_count:     33
    .sgpr_spill_count: 0
    .symbol:         _Z6kernelI14inclusive_scanILN6hipcub18BlockScanAlgorithmE0EEfLj256ELj8ELj100EEvPKT0_PS4_S4_.kd
    .uniform_work_group_size: 1
    .uses_dynamic_stack: false
    .vgpr_count:     17
    .vgpr_spill_count: 0
    .wavefront_size: 64
  - .args:
      - .address_space:  global
        .offset:         0
        .size:           8
        .value_kind:     global_buffer
      - .address_space:  global
        .offset:         8
        .size:           8
        .value_kind:     global_buffer
      - .offset:         16
        .size:           4
        .value_kind:     by_value
      - .offset:         24
        .size:           4
        .value_kind:     hidden_block_count_x
      - .offset:         28
        .size:           4
        .value_kind:     hidden_block_count_y
      - .offset:         32
        .size:           4
        .value_kind:     hidden_block_count_z
      - .offset:         36
        .size:           2
        .value_kind:     hidden_group_size_x
      - .offset:         38
        .size:           2
        .value_kind:     hidden_group_size_y
      - .offset:         40
        .size:           2
        .value_kind:     hidden_group_size_z
      - .offset:         42
        .size:           2
        .value_kind:     hidden_remainder_x
      - .offset:         44
        .size:           2
        .value_kind:     hidden_remainder_y
      - .offset:         46
        .size:           2
        .value_kind:     hidden_remainder_z
      - .offset:         64
        .size:           8
        .value_kind:     hidden_global_offset_x
      - .offset:         72
        .size:           8
        .value_kind:     hidden_global_offset_y
      - .offset:         80
        .size:           8
        .value_kind:     hidden_global_offset_z
      - .offset:         88
        .size:           2
        .value_kind:     hidden_grid_dims
    .group_segment_fixed_size: 16
    .kernarg_segment_align: 8
    .kernarg_segment_size: 280
    .language:       OpenCL C
    .language_version:
      - 2
      - 0
    .max_flat_workgroup_size: 256
    .name:           _Z6kernelI14inclusive_scanILN6hipcub18BlockScanAlgorithmE0EEfLj256ELj11ELj100EEvPKT0_PS4_S4_
    .private_segment_fixed_size: 0
    .sgpr_count:     33
    .sgpr_spill_count: 0
    .symbol:         _Z6kernelI14inclusive_scanILN6hipcub18BlockScanAlgorithmE0EEfLj256ELj11ELj100EEvPKT0_PS4_S4_.kd
    .uniform_work_group_size: 1
    .uses_dynamic_stack: false
    .vgpr_count:     44
    .vgpr_spill_count: 0
    .wavefront_size: 64
  - .args:
      - .address_space:  global
        .offset:         0
        .size:           8
        .value_kind:     global_buffer
      - .address_space:  global
        .offset:         8
        .size:           8
        .value_kind:     global_buffer
      - .offset:         16
        .size:           4
        .value_kind:     by_value
      - .offset:         24
        .size:           4
        .value_kind:     hidden_block_count_x
      - .offset:         28
        .size:           4
        .value_kind:     hidden_block_count_y
      - .offset:         32
        .size:           4
        .value_kind:     hidden_block_count_z
      - .offset:         36
        .size:           2
        .value_kind:     hidden_group_size_x
      - .offset:         38
        .size:           2
        .value_kind:     hidden_group_size_y
      - .offset:         40
        .size:           2
        .value_kind:     hidden_group_size_z
      - .offset:         42
        .size:           2
        .value_kind:     hidden_remainder_x
      - .offset:         44
        .size:           2
        .value_kind:     hidden_remainder_y
      - .offset:         46
        .size:           2
        .value_kind:     hidden_remainder_z
      - .offset:         64
        .size:           8
        .value_kind:     hidden_global_offset_x
      - .offset:         72
        .size:           8
        .value_kind:     hidden_global_offset_y
      - .offset:         80
        .size:           8
        .value_kind:     hidden_global_offset_z
      - .offset:         88
        .size:           2
        .value_kind:     hidden_grid_dims
    .group_segment_fixed_size: 16
    .kernarg_segment_align: 8
    .kernarg_segment_size: 280
    .language:       OpenCL C
    .language_version:
      - 2
      - 0
    .max_flat_workgroup_size: 256
    .name:           _Z6kernelI14inclusive_scanILN6hipcub18BlockScanAlgorithmE0EEfLj256ELj16ELj100EEvPKT0_PS4_S4_
    .private_segment_fixed_size: 0
    .sgpr_count:     33
    .sgpr_spill_count: 0
    .symbol:         _Z6kernelI14inclusive_scanILN6hipcub18BlockScanAlgorithmE0EEfLj256ELj16ELj100EEvPKT0_PS4_S4_.kd
    .uniform_work_group_size: 1
    .uses_dynamic_stack: false
    .vgpr_count:     25
    .vgpr_spill_count: 0
    .wavefront_size: 64
  - .args:
      - .address_space:  global
        .offset:         0
        .size:           8
        .value_kind:     global_buffer
      - .address_space:  global
        .offset:         8
        .size:           8
        .value_kind:     global_buffer
      - .offset:         16
        .size:           8
        .value_kind:     by_value
      - .offset:         24
        .size:           4
        .value_kind:     hidden_block_count_x
      - .offset:         28
        .size:           4
        .value_kind:     hidden_block_count_y
      - .offset:         32
        .size:           4
        .value_kind:     hidden_block_count_z
      - .offset:         36
        .size:           2
        .value_kind:     hidden_group_size_x
      - .offset:         38
        .size:           2
        .value_kind:     hidden_group_size_y
      - .offset:         40
        .size:           2
        .value_kind:     hidden_group_size_z
      - .offset:         42
        .size:           2
        .value_kind:     hidden_remainder_x
      - .offset:         44
        .size:           2
        .value_kind:     hidden_remainder_y
      - .offset:         46
        .size:           2
        .value_kind:     hidden_remainder_z
      - .offset:         64
        .size:           8
        .value_kind:     hidden_global_offset_x
      - .offset:         72
        .size:           8
        .value_kind:     hidden_global_offset_y
      - .offset:         80
        .size:           8
        .value_kind:     hidden_global_offset_z
      - .offset:         88
        .size:           2
        .value_kind:     hidden_grid_dims
    .group_segment_fixed_size: 32
    .kernarg_segment_align: 8
    .kernarg_segment_size: 280
    .language:       OpenCL C
    .language_version:
      - 2
      - 0
    .max_flat_workgroup_size: 256
    .name:           _Z6kernelI14inclusive_scanILN6hipcub18BlockScanAlgorithmE0EEdLj256ELj1ELj100EEvPKT0_PS4_S4_
    .private_segment_fixed_size: 0
    .sgpr_count:     31
    .sgpr_spill_count: 0
    .symbol:         _Z6kernelI14inclusive_scanILN6hipcub18BlockScanAlgorithmE0EEdLj256ELj1ELj100EEvPKT0_PS4_S4_.kd
    .uniform_work_group_size: 1
    .uses_dynamic_stack: false
    .vgpr_count:     11
    .vgpr_spill_count: 0
    .wavefront_size: 64
  - .args:
      - .address_space:  global
        .offset:         0
        .size:           8
        .value_kind:     global_buffer
      - .address_space:  global
        .offset:         8
        .size:           8
        .value_kind:     global_buffer
      - .offset:         16
        .size:           8
        .value_kind:     by_value
      - .offset:         24
        .size:           4
        .value_kind:     hidden_block_count_x
      - .offset:         28
        .size:           4
        .value_kind:     hidden_block_count_y
      - .offset:         32
        .size:           4
        .value_kind:     hidden_block_count_z
      - .offset:         36
        .size:           2
        .value_kind:     hidden_group_size_x
      - .offset:         38
        .size:           2
        .value_kind:     hidden_group_size_y
      - .offset:         40
        .size:           2
        .value_kind:     hidden_group_size_z
      - .offset:         42
        .size:           2
        .value_kind:     hidden_remainder_x
      - .offset:         44
        .size:           2
        .value_kind:     hidden_remainder_y
      - .offset:         46
        .size:           2
        .value_kind:     hidden_remainder_z
      - .offset:         64
        .size:           8
        .value_kind:     hidden_global_offset_x
      - .offset:         72
        .size:           8
        .value_kind:     hidden_global_offset_y
      - .offset:         80
        .size:           8
        .value_kind:     hidden_global_offset_z
      - .offset:         88
        .size:           2
        .value_kind:     hidden_grid_dims
    .group_segment_fixed_size: 32
    .kernarg_segment_align: 8
    .kernarg_segment_size: 280
    .language:       OpenCL C
    .language_version:
      - 2
      - 0
    .max_flat_workgroup_size: 256
    .name:           _Z6kernelI14inclusive_scanILN6hipcub18BlockScanAlgorithmE0EEdLj256ELj3ELj100EEvPKT0_PS4_S4_
    .private_segment_fixed_size: 0
    .sgpr_count:     35
    .sgpr_spill_count: 0
    .symbol:         _Z6kernelI14inclusive_scanILN6hipcub18BlockScanAlgorithmE0EEdLj256ELj3ELj100EEvPKT0_PS4_S4_.kd
    .uniform_work_group_size: 1
    .uses_dynamic_stack: false
    .vgpr_count:     26
    .vgpr_spill_count: 0
    .wavefront_size: 64
  - .args:
      - .address_space:  global
        .offset:         0
        .size:           8
        .value_kind:     global_buffer
      - .address_space:  global
        .offset:         8
        .size:           8
        .value_kind:     global_buffer
      - .offset:         16
        .size:           8
        .value_kind:     by_value
      - .offset:         24
        .size:           4
        .value_kind:     hidden_block_count_x
      - .offset:         28
        .size:           4
        .value_kind:     hidden_block_count_y
      - .offset:         32
        .size:           4
        .value_kind:     hidden_block_count_z
      - .offset:         36
        .size:           2
        .value_kind:     hidden_group_size_x
      - .offset:         38
        .size:           2
        .value_kind:     hidden_group_size_y
      - .offset:         40
        .size:           2
        .value_kind:     hidden_group_size_z
      - .offset:         42
        .size:           2
        .value_kind:     hidden_remainder_x
      - .offset:         44
        .size:           2
        .value_kind:     hidden_remainder_y
      - .offset:         46
        .size:           2
        .value_kind:     hidden_remainder_z
      - .offset:         64
        .size:           8
        .value_kind:     hidden_global_offset_x
      - .offset:         72
        .size:           8
        .value_kind:     hidden_global_offset_y
      - .offset:         80
        .size:           8
        .value_kind:     hidden_global_offset_z
      - .offset:         88
        .size:           2
        .value_kind:     hidden_grid_dims
    .group_segment_fixed_size: 32
    .kernarg_segment_align: 8
    .kernarg_segment_size: 280
    .language:       OpenCL C
    .language_version:
      - 2
      - 0
    .max_flat_workgroup_size: 256
    .name:           _Z6kernelI14inclusive_scanILN6hipcub18BlockScanAlgorithmE0EEdLj256ELj4ELj100EEvPKT0_PS4_S4_
    .private_segment_fixed_size: 0
    .sgpr_count:     35
    .sgpr_spill_count: 0
    .symbol:         _Z6kernelI14inclusive_scanILN6hipcub18BlockScanAlgorithmE0EEdLj256ELj4ELj100EEvPKT0_PS4_S4_.kd
    .uniform_work_group_size: 1
    .uses_dynamic_stack: false
    .vgpr_count:     26
    .vgpr_spill_count: 0
    .wavefront_size: 64
  - .args:
      - .address_space:  global
        .offset:         0
        .size:           8
        .value_kind:     global_buffer
      - .address_space:  global
        .offset:         8
        .size:           8
        .value_kind:     global_buffer
      - .offset:         16
        .size:           8
        .value_kind:     by_value
      - .offset:         24
        .size:           4
        .value_kind:     hidden_block_count_x
      - .offset:         28
        .size:           4
        .value_kind:     hidden_block_count_y
      - .offset:         32
        .size:           4
        .value_kind:     hidden_block_count_z
      - .offset:         36
        .size:           2
        .value_kind:     hidden_group_size_x
      - .offset:         38
        .size:           2
        .value_kind:     hidden_group_size_y
      - .offset:         40
        .size:           2
        .value_kind:     hidden_group_size_z
      - .offset:         42
        .size:           2
        .value_kind:     hidden_remainder_x
      - .offset:         44
        .size:           2
        .value_kind:     hidden_remainder_y
      - .offset:         46
        .size:           2
        .value_kind:     hidden_remainder_z
      - .offset:         64
        .size:           8
        .value_kind:     hidden_global_offset_x
      - .offset:         72
        .size:           8
        .value_kind:     hidden_global_offset_y
      - .offset:         80
        .size:           8
        .value_kind:     hidden_global_offset_z
      - .offset:         88
        .size:           2
        .value_kind:     hidden_grid_dims
    .group_segment_fixed_size: 32
    .kernarg_segment_align: 8
    .kernarg_segment_size: 280
    .language:       OpenCL C
    .language_version:
      - 2
      - 0
    .max_flat_workgroup_size: 256
    .name:           _Z6kernelI14inclusive_scanILN6hipcub18BlockScanAlgorithmE0EEdLj256ELj8ELj100EEvPKT0_PS4_S4_
    .private_segment_fixed_size: 0
    .sgpr_count:     35
    .sgpr_spill_count: 0
    .symbol:         _Z6kernelI14inclusive_scanILN6hipcub18BlockScanAlgorithmE0EEdLj256ELj8ELj100EEvPKT0_PS4_S4_.kd
    .uniform_work_group_size: 1
    .uses_dynamic_stack: false
    .vgpr_count:     42
    .vgpr_spill_count: 0
    .wavefront_size: 64
  - .args:
      - .address_space:  global
        .offset:         0
        .size:           8
        .value_kind:     global_buffer
      - .address_space:  global
        .offset:         8
        .size:           8
        .value_kind:     global_buffer
      - .offset:         16
        .size:           8
        .value_kind:     by_value
      - .offset:         24
        .size:           4
        .value_kind:     hidden_block_count_x
      - .offset:         28
        .size:           4
        .value_kind:     hidden_block_count_y
      - .offset:         32
        .size:           4
        .value_kind:     hidden_block_count_z
      - .offset:         36
        .size:           2
        .value_kind:     hidden_group_size_x
      - .offset:         38
        .size:           2
        .value_kind:     hidden_group_size_y
      - .offset:         40
        .size:           2
        .value_kind:     hidden_group_size_z
      - .offset:         42
        .size:           2
        .value_kind:     hidden_remainder_x
      - .offset:         44
        .size:           2
        .value_kind:     hidden_remainder_y
      - .offset:         46
        .size:           2
        .value_kind:     hidden_remainder_z
      - .offset:         64
        .size:           8
        .value_kind:     hidden_global_offset_x
      - .offset:         72
        .size:           8
        .value_kind:     hidden_global_offset_y
      - .offset:         80
        .size:           8
        .value_kind:     hidden_global_offset_z
      - .offset:         88
        .size:           2
        .value_kind:     hidden_grid_dims
    .group_segment_fixed_size: 32
    .kernarg_segment_align: 8
    .kernarg_segment_size: 280
    .language:       OpenCL C
    .language_version:
      - 2
      - 0
    .max_flat_workgroup_size: 256
    .name:           _Z6kernelI14inclusive_scanILN6hipcub18BlockScanAlgorithmE0EEdLj256ELj11ELj100EEvPKT0_PS4_S4_
    .private_segment_fixed_size: 0
    .sgpr_count:     35
    .sgpr_spill_count: 0
    .symbol:         _Z6kernelI14inclusive_scanILN6hipcub18BlockScanAlgorithmE0EEdLj256ELj11ELj100EEvPKT0_PS4_S4_.kd
    .uniform_work_group_size: 1
    .uses_dynamic_stack: false
    .vgpr_count:     74
    .vgpr_spill_count: 0
    .wavefront_size: 64
  - .args:
      - .address_space:  global
        .offset:         0
        .size:           8
        .value_kind:     global_buffer
      - .address_space:  global
        .offset:         8
        .size:           8
        .value_kind:     global_buffer
      - .offset:         16
        .size:           8
        .value_kind:     by_value
      - .offset:         24
        .size:           4
        .value_kind:     hidden_block_count_x
      - .offset:         28
        .size:           4
        .value_kind:     hidden_block_count_y
      - .offset:         32
        .size:           4
        .value_kind:     hidden_block_count_z
      - .offset:         36
        .size:           2
        .value_kind:     hidden_group_size_x
      - .offset:         38
        .size:           2
        .value_kind:     hidden_group_size_y
      - .offset:         40
        .size:           2
        .value_kind:     hidden_group_size_z
      - .offset:         42
        .size:           2
        .value_kind:     hidden_remainder_x
      - .offset:         44
        .size:           2
        .value_kind:     hidden_remainder_y
      - .offset:         46
        .size:           2
        .value_kind:     hidden_remainder_z
      - .offset:         64
        .size:           8
        .value_kind:     hidden_global_offset_x
      - .offset:         72
        .size:           8
        .value_kind:     hidden_global_offset_y
      - .offset:         80
        .size:           8
        .value_kind:     hidden_global_offset_z
      - .offset:         88
        .size:           2
        .value_kind:     hidden_grid_dims
    .group_segment_fixed_size: 32
    .kernarg_segment_align: 8
    .kernarg_segment_size: 280
    .language:       OpenCL C
    .language_version:
      - 2
      - 0
    .max_flat_workgroup_size: 256
    .name:           _Z6kernelI14inclusive_scanILN6hipcub18BlockScanAlgorithmE0EEdLj256ELj16ELj100EEvPKT0_PS4_S4_
    .private_segment_fixed_size: 0
    .sgpr_count:     35
    .sgpr_spill_count: 0
    .symbol:         _Z6kernelI14inclusive_scanILN6hipcub18BlockScanAlgorithmE0EEdLj256ELj16ELj100EEvPKT0_PS4_S4_.kd
    .uniform_work_group_size: 1
    .uses_dynamic_stack: false
    .vgpr_count:     74
    .vgpr_spill_count: 0
    .wavefront_size: 64
  - .args:
      - .address_space:  global
        .offset:         0
        .size:           8
        .value_kind:     global_buffer
      - .address_space:  global
        .offset:         8
        .size:           8
        .value_kind:     global_buffer
      - .offset:         16
        .size:           1
        .value_kind:     by_value
      - .offset:         24
        .size:           4
        .value_kind:     hidden_block_count_x
      - .offset:         28
        .size:           4
        .value_kind:     hidden_block_count_y
      - .offset:         32
        .size:           4
        .value_kind:     hidden_block_count_z
      - .offset:         36
        .size:           2
        .value_kind:     hidden_group_size_x
      - .offset:         38
        .size:           2
        .value_kind:     hidden_group_size_y
      - .offset:         40
        .size:           2
        .value_kind:     hidden_group_size_z
      - .offset:         42
        .size:           2
        .value_kind:     hidden_remainder_x
      - .offset:         44
        .size:           2
        .value_kind:     hidden_remainder_y
      - .offset:         46
        .size:           2
        .value_kind:     hidden_remainder_z
      - .offset:         64
        .size:           8
        .value_kind:     hidden_global_offset_x
      - .offset:         72
        .size:           8
        .value_kind:     hidden_global_offset_y
      - .offset:         80
        .size:           8
        .value_kind:     hidden_global_offset_z
      - .offset:         88
        .size:           2
        .value_kind:     hidden_grid_dims
    .group_segment_fixed_size: 4
    .kernarg_segment_align: 8
    .kernarg_segment_size: 280
    .language:       OpenCL C
    .language_version:
      - 2
      - 0
    .max_flat_workgroup_size: 256
    .name:           _Z6kernelI14inclusive_scanILN6hipcub18BlockScanAlgorithmE0EEhLj256ELj1ELj100EEvPKT0_PS4_S4_
    .private_segment_fixed_size: 0
    .sgpr_count:     29
    .sgpr_spill_count: 0
    .symbol:         _Z6kernelI14inclusive_scanILN6hipcub18BlockScanAlgorithmE0EEhLj256ELj1ELj100EEvPKT0_PS4_S4_.kd
    .uniform_work_group_size: 1
    .uses_dynamic_stack: false
    .vgpr_count:     7
    .vgpr_spill_count: 0
    .wavefront_size: 64
  - .args:
      - .address_space:  global
        .offset:         0
        .size:           8
        .value_kind:     global_buffer
      - .address_space:  global
        .offset:         8
        .size:           8
        .value_kind:     global_buffer
      - .offset:         16
        .size:           1
        .value_kind:     by_value
      - .offset:         24
        .size:           4
        .value_kind:     hidden_block_count_x
      - .offset:         28
        .size:           4
        .value_kind:     hidden_block_count_y
      - .offset:         32
        .size:           4
        .value_kind:     hidden_block_count_z
      - .offset:         36
        .size:           2
        .value_kind:     hidden_group_size_x
      - .offset:         38
        .size:           2
        .value_kind:     hidden_group_size_y
      - .offset:         40
        .size:           2
        .value_kind:     hidden_group_size_z
      - .offset:         42
        .size:           2
        .value_kind:     hidden_remainder_x
      - .offset:         44
        .size:           2
        .value_kind:     hidden_remainder_y
      - .offset:         46
        .size:           2
        .value_kind:     hidden_remainder_z
      - .offset:         64
        .size:           8
        .value_kind:     hidden_global_offset_x
      - .offset:         72
        .size:           8
        .value_kind:     hidden_global_offset_y
      - .offset:         80
        .size:           8
        .value_kind:     hidden_global_offset_z
      - .offset:         88
        .size:           2
        .value_kind:     hidden_grid_dims
    .group_segment_fixed_size: 4
    .kernarg_segment_align: 8
    .kernarg_segment_size: 280
    .language:       OpenCL C
    .language_version:
      - 2
      - 0
    .max_flat_workgroup_size: 256
    .name:           _Z6kernelI14inclusive_scanILN6hipcub18BlockScanAlgorithmE0EEhLj256ELj3ELj100EEvPKT0_PS4_S4_
    .private_segment_fixed_size: 0
    .sgpr_count:     33
    .sgpr_spill_count: 0
    .symbol:         _Z6kernelI14inclusive_scanILN6hipcub18BlockScanAlgorithmE0EEhLj256ELj3ELj100EEvPKT0_PS4_S4_.kd
    .uniform_work_group_size: 1
    .uses_dynamic_stack: false
    .vgpr_count:     13
    .vgpr_spill_count: 0
    .wavefront_size: 64
  - .args:
      - .address_space:  global
        .offset:         0
        .size:           8
        .value_kind:     global_buffer
      - .address_space:  global
        .offset:         8
        .size:           8
        .value_kind:     global_buffer
      - .offset:         16
        .size:           1
        .value_kind:     by_value
      - .offset:         24
        .size:           4
        .value_kind:     hidden_block_count_x
      - .offset:         28
        .size:           4
        .value_kind:     hidden_block_count_y
      - .offset:         32
        .size:           4
        .value_kind:     hidden_block_count_z
      - .offset:         36
        .size:           2
        .value_kind:     hidden_group_size_x
      - .offset:         38
        .size:           2
        .value_kind:     hidden_group_size_y
      - .offset:         40
        .size:           2
        .value_kind:     hidden_group_size_z
      - .offset:         42
        .size:           2
        .value_kind:     hidden_remainder_x
      - .offset:         44
        .size:           2
        .value_kind:     hidden_remainder_y
      - .offset:         46
        .size:           2
        .value_kind:     hidden_remainder_z
      - .offset:         64
        .size:           8
        .value_kind:     hidden_global_offset_x
      - .offset:         72
        .size:           8
        .value_kind:     hidden_global_offset_y
      - .offset:         80
        .size:           8
        .value_kind:     hidden_global_offset_z
      - .offset:         88
        .size:           2
        .value_kind:     hidden_grid_dims
    .group_segment_fixed_size: 4
    .kernarg_segment_align: 8
    .kernarg_segment_size: 280
    .language:       OpenCL C
    .language_version:
      - 2
      - 0
    .max_flat_workgroup_size: 256
    .name:           _Z6kernelI14inclusive_scanILN6hipcub18BlockScanAlgorithmE0EEhLj256ELj4ELj100EEvPKT0_PS4_S4_
    .private_segment_fixed_size: 0
    .sgpr_count:     33
    .sgpr_spill_count: 0
    .symbol:         _Z6kernelI14inclusive_scanILN6hipcub18BlockScanAlgorithmE0EEhLj256ELj4ELj100EEvPKT0_PS4_S4_.kd
    .uniform_work_group_size: 1
    .uses_dynamic_stack: false
    .vgpr_count:     12
    .vgpr_spill_count: 0
    .wavefront_size: 64
  - .args:
      - .address_space:  global
        .offset:         0
        .size:           8
        .value_kind:     global_buffer
      - .address_space:  global
        .offset:         8
        .size:           8
        .value_kind:     global_buffer
      - .offset:         16
        .size:           1
        .value_kind:     by_value
      - .offset:         24
        .size:           4
        .value_kind:     hidden_block_count_x
      - .offset:         28
        .size:           4
        .value_kind:     hidden_block_count_y
      - .offset:         32
        .size:           4
        .value_kind:     hidden_block_count_z
      - .offset:         36
        .size:           2
        .value_kind:     hidden_group_size_x
      - .offset:         38
        .size:           2
        .value_kind:     hidden_group_size_y
      - .offset:         40
        .size:           2
        .value_kind:     hidden_group_size_z
      - .offset:         42
        .size:           2
        .value_kind:     hidden_remainder_x
      - .offset:         44
        .size:           2
        .value_kind:     hidden_remainder_y
      - .offset:         46
        .size:           2
        .value_kind:     hidden_remainder_z
      - .offset:         64
        .size:           8
        .value_kind:     hidden_global_offset_x
      - .offset:         72
        .size:           8
        .value_kind:     hidden_global_offset_y
      - .offset:         80
        .size:           8
        .value_kind:     hidden_global_offset_z
      - .offset:         88
        .size:           2
        .value_kind:     hidden_grid_dims
    .group_segment_fixed_size: 4
    .kernarg_segment_align: 8
    .kernarg_segment_size: 280
    .language:       OpenCL C
    .language_version:
      - 2
      - 0
    .max_flat_workgroup_size: 256
    .name:           _Z6kernelI14inclusive_scanILN6hipcub18BlockScanAlgorithmE0EEhLj256ELj8ELj100EEvPKT0_PS4_S4_
    .private_segment_fixed_size: 0
    .sgpr_count:     33
    .sgpr_spill_count: 0
    .symbol:         _Z6kernelI14inclusive_scanILN6hipcub18BlockScanAlgorithmE0EEhLj256ELj8ELj100EEvPKT0_PS4_S4_.kd
    .uniform_work_group_size: 1
    .uses_dynamic_stack: false
    .vgpr_count:     16
    .vgpr_spill_count: 0
    .wavefront_size: 64
  - .args:
      - .address_space:  global
        .offset:         0
        .size:           8
        .value_kind:     global_buffer
      - .address_space:  global
        .offset:         8
        .size:           8
        .value_kind:     global_buffer
      - .offset:         16
        .size:           1
        .value_kind:     by_value
      - .offset:         24
        .size:           4
        .value_kind:     hidden_block_count_x
      - .offset:         28
        .size:           4
        .value_kind:     hidden_block_count_y
      - .offset:         32
        .size:           4
        .value_kind:     hidden_block_count_z
      - .offset:         36
        .size:           2
        .value_kind:     hidden_group_size_x
      - .offset:         38
        .size:           2
        .value_kind:     hidden_group_size_y
      - .offset:         40
        .size:           2
        .value_kind:     hidden_group_size_z
      - .offset:         42
        .size:           2
        .value_kind:     hidden_remainder_x
      - .offset:         44
        .size:           2
        .value_kind:     hidden_remainder_y
      - .offset:         46
        .size:           2
        .value_kind:     hidden_remainder_z
      - .offset:         64
        .size:           8
        .value_kind:     hidden_global_offset_x
      - .offset:         72
        .size:           8
        .value_kind:     hidden_global_offset_y
      - .offset:         80
        .size:           8
        .value_kind:     hidden_global_offset_z
      - .offset:         88
        .size:           2
        .value_kind:     hidden_grid_dims
    .group_segment_fixed_size: 4
    .kernarg_segment_align: 8
    .kernarg_segment_size: 280
    .language:       OpenCL C
    .language_version:
      - 2
      - 0
    .max_flat_workgroup_size: 256
    .name:           _Z6kernelI14inclusive_scanILN6hipcub18BlockScanAlgorithmE0EEhLj256ELj11ELj100EEvPKT0_PS4_S4_
    .private_segment_fixed_size: 0
    .sgpr_count:     33
    .sgpr_spill_count: 0
    .symbol:         _Z6kernelI14inclusive_scanILN6hipcub18BlockScanAlgorithmE0EEhLj256ELj11ELj100EEvPKT0_PS4_S4_.kd
    .uniform_work_group_size: 1
    .uses_dynamic_stack: false
    .vgpr_count:     29
    .vgpr_spill_count: 0
    .wavefront_size: 64
  - .args:
      - .address_space:  global
        .offset:         0
        .size:           8
        .value_kind:     global_buffer
      - .address_space:  global
        .offset:         8
        .size:           8
        .value_kind:     global_buffer
      - .offset:         16
        .size:           1
        .value_kind:     by_value
      - .offset:         24
        .size:           4
        .value_kind:     hidden_block_count_x
      - .offset:         28
        .size:           4
        .value_kind:     hidden_block_count_y
      - .offset:         32
        .size:           4
        .value_kind:     hidden_block_count_z
      - .offset:         36
        .size:           2
        .value_kind:     hidden_group_size_x
      - .offset:         38
        .size:           2
        .value_kind:     hidden_group_size_y
      - .offset:         40
        .size:           2
        .value_kind:     hidden_group_size_z
      - .offset:         42
        .size:           2
        .value_kind:     hidden_remainder_x
      - .offset:         44
        .size:           2
        .value_kind:     hidden_remainder_y
      - .offset:         46
        .size:           2
        .value_kind:     hidden_remainder_z
      - .offset:         64
        .size:           8
        .value_kind:     hidden_global_offset_x
      - .offset:         72
        .size:           8
        .value_kind:     hidden_global_offset_y
      - .offset:         80
        .size:           8
        .value_kind:     hidden_global_offset_z
      - .offset:         88
        .size:           2
        .value_kind:     hidden_grid_dims
    .group_segment_fixed_size: 4
    .kernarg_segment_align: 8
    .kernarg_segment_size: 280
    .language:       OpenCL C
    .language_version:
      - 2
      - 0
    .max_flat_workgroup_size: 256
    .name:           _Z6kernelI14inclusive_scanILN6hipcub18BlockScanAlgorithmE0EEhLj256ELj16ELj100EEvPKT0_PS4_S4_
    .private_segment_fixed_size: 0
    .sgpr_count:     33
    .sgpr_spill_count: 0
    .symbol:         _Z6kernelI14inclusive_scanILN6hipcub18BlockScanAlgorithmE0EEhLj256ELj16ELj100EEvPKT0_PS4_S4_.kd
    .uniform_work_group_size: 1
    .uses_dynamic_stack: false
    .vgpr_count:     26
    .vgpr_spill_count: 0
    .wavefront_size: 64
  - .args:
      - .address_space:  global
        .offset:         0
        .size:           8
        .value_kind:     global_buffer
      - .address_space:  global
        .offset:         8
        .size:           8
        .value_kind:     global_buffer
      - .offset:         16
        .size:           8
        .value_kind:     by_value
      - .offset:         24
        .size:           4
        .value_kind:     hidden_block_count_x
      - .offset:         28
        .size:           4
        .value_kind:     hidden_block_count_y
      - .offset:         32
        .size:           4
        .value_kind:     hidden_block_count_z
      - .offset:         36
        .size:           2
        .value_kind:     hidden_group_size_x
      - .offset:         38
        .size:           2
        .value_kind:     hidden_group_size_y
      - .offset:         40
        .size:           2
        .value_kind:     hidden_group_size_z
      - .offset:         42
        .size:           2
        .value_kind:     hidden_remainder_x
      - .offset:         44
        .size:           2
        .value_kind:     hidden_remainder_y
      - .offset:         46
        .size:           2
        .value_kind:     hidden_remainder_z
      - .offset:         64
        .size:           8
        .value_kind:     hidden_global_offset_x
      - .offset:         72
        .size:           8
        .value_kind:     hidden_global_offset_y
      - .offset:         80
        .size:           8
        .value_kind:     hidden_global_offset_z
      - .offset:         88
        .size:           2
        .value_kind:     hidden_grid_dims
    .group_segment_fixed_size: 32
    .kernarg_segment_align: 8
    .kernarg_segment_size: 280
    .language:       OpenCL C
    .language_version:
      - 2
      - 0
    .max_flat_workgroup_size: 256
    .name:           _Z6kernelI14inclusive_scanILN6hipcub18BlockScanAlgorithmE0EEN15benchmark_utils11custom_typeIffEELj256ELj1ELj100EEvPKT0_PS7_S7_
    .private_segment_fixed_size: 0
    .sgpr_count:     31
    .sgpr_spill_count: 0
    .symbol:         _Z6kernelI14inclusive_scanILN6hipcub18BlockScanAlgorithmE0EEN15benchmark_utils11custom_typeIffEELj256ELj1ELj100EEvPKT0_PS7_S7_.kd
    .uniform_work_group_size: 1
    .uses_dynamic_stack: false
    .vgpr_count:     11
    .vgpr_spill_count: 0
    .wavefront_size: 64
  - .args:
      - .address_space:  global
        .offset:         0
        .size:           8
        .value_kind:     global_buffer
      - .address_space:  global
        .offset:         8
        .size:           8
        .value_kind:     global_buffer
      - .offset:         16
        .size:           8
        .value_kind:     by_value
      - .offset:         24
        .size:           4
        .value_kind:     hidden_block_count_x
      - .offset:         28
        .size:           4
        .value_kind:     hidden_block_count_y
      - .offset:         32
        .size:           4
        .value_kind:     hidden_block_count_z
      - .offset:         36
        .size:           2
        .value_kind:     hidden_group_size_x
      - .offset:         38
        .size:           2
        .value_kind:     hidden_group_size_y
      - .offset:         40
        .size:           2
        .value_kind:     hidden_group_size_z
      - .offset:         42
        .size:           2
        .value_kind:     hidden_remainder_x
      - .offset:         44
        .size:           2
        .value_kind:     hidden_remainder_y
      - .offset:         46
        .size:           2
        .value_kind:     hidden_remainder_z
      - .offset:         64
        .size:           8
        .value_kind:     hidden_global_offset_x
      - .offset:         72
        .size:           8
        .value_kind:     hidden_global_offset_y
      - .offset:         80
        .size:           8
        .value_kind:     hidden_global_offset_z
      - .offset:         88
        .size:           2
        .value_kind:     hidden_grid_dims
    .group_segment_fixed_size: 32
    .kernarg_segment_align: 8
    .kernarg_segment_size: 280
    .language:       OpenCL C
    .language_version:
      - 2
      - 0
    .max_flat_workgroup_size: 256
    .name:           _Z6kernelI14inclusive_scanILN6hipcub18BlockScanAlgorithmE0EEN15benchmark_utils11custom_typeIffEELj256ELj4ELj100EEvPKT0_PS7_S7_
    .private_segment_fixed_size: 0
    .sgpr_count:     35
    .sgpr_spill_count: 0
    .symbol:         _Z6kernelI14inclusive_scanILN6hipcub18BlockScanAlgorithmE0EEN15benchmark_utils11custom_typeIffEELj256ELj4ELj100EEvPKT0_PS7_S7_.kd
    .uniform_work_group_size: 1
    .uses_dynamic_stack: false
    .vgpr_count:     26
    .vgpr_spill_count: 0
    .wavefront_size: 64
  - .args:
      - .address_space:  global
        .offset:         0
        .size:           8
        .value_kind:     global_buffer
      - .address_space:  global
        .offset:         8
        .size:           8
        .value_kind:     global_buffer
      - .offset:         16
        .size:           8
        .value_kind:     by_value
      - .offset:         24
        .size:           4
        .value_kind:     hidden_block_count_x
      - .offset:         28
        .size:           4
        .value_kind:     hidden_block_count_y
      - .offset:         32
        .size:           4
        .value_kind:     hidden_block_count_z
      - .offset:         36
        .size:           2
        .value_kind:     hidden_group_size_x
      - .offset:         38
        .size:           2
        .value_kind:     hidden_group_size_y
      - .offset:         40
        .size:           2
        .value_kind:     hidden_group_size_z
      - .offset:         42
        .size:           2
        .value_kind:     hidden_remainder_x
      - .offset:         44
        .size:           2
        .value_kind:     hidden_remainder_y
      - .offset:         46
        .size:           2
        .value_kind:     hidden_remainder_z
      - .offset:         64
        .size:           8
        .value_kind:     hidden_global_offset_x
      - .offset:         72
        .size:           8
        .value_kind:     hidden_global_offset_y
      - .offset:         80
        .size:           8
        .value_kind:     hidden_global_offset_z
      - .offset:         88
        .size:           2
        .value_kind:     hidden_grid_dims
    .group_segment_fixed_size: 32
    .kernarg_segment_align: 8
    .kernarg_segment_size: 280
    .language:       OpenCL C
    .language_version:
      - 2
      - 0
    .max_flat_workgroup_size: 256
    .name:           _Z6kernelI14inclusive_scanILN6hipcub18BlockScanAlgorithmE0EEN15benchmark_utils11custom_typeIffEELj256ELj8ELj100EEvPKT0_PS7_S7_
    .private_segment_fixed_size: 0
    .sgpr_count:     35
    .sgpr_spill_count: 0
    .symbol:         _Z6kernelI14inclusive_scanILN6hipcub18BlockScanAlgorithmE0EEN15benchmark_utils11custom_typeIffEELj256ELj8ELj100EEvPKT0_PS7_S7_.kd
    .uniform_work_group_size: 1
    .uses_dynamic_stack: false
    .vgpr_count:     42
    .vgpr_spill_count: 0
    .wavefront_size: 64
  - .args:
      - .address_space:  global
        .offset:         0
        .size:           8
        .value_kind:     global_buffer
      - .address_space:  global
        .offset:         8
        .size:           8
        .value_kind:     global_buffer
      - .offset:         16
        .size:           16
        .value_kind:     by_value
      - .offset:         32
        .size:           4
        .value_kind:     hidden_block_count_x
      - .offset:         36
        .size:           4
        .value_kind:     hidden_block_count_y
      - .offset:         40
        .size:           4
        .value_kind:     hidden_block_count_z
      - .offset:         44
        .size:           2
        .value_kind:     hidden_group_size_x
      - .offset:         46
        .size:           2
        .value_kind:     hidden_group_size_y
      - .offset:         48
        .size:           2
        .value_kind:     hidden_group_size_z
      - .offset:         50
        .size:           2
        .value_kind:     hidden_remainder_x
      - .offset:         52
        .size:           2
        .value_kind:     hidden_remainder_y
      - .offset:         54
        .size:           2
        .value_kind:     hidden_remainder_z
      - .offset:         72
        .size:           8
        .value_kind:     hidden_global_offset_x
      - .offset:         80
        .size:           8
        .value_kind:     hidden_global_offset_y
      - .offset:         88
        .size:           8
        .value_kind:     hidden_global_offset_z
      - .offset:         96
        .size:           2
        .value_kind:     hidden_grid_dims
    .group_segment_fixed_size: 64
    .kernarg_segment_align: 8
    .kernarg_segment_size: 288
    .language:       OpenCL C
    .language_version:
      - 2
      - 0
    .max_flat_workgroup_size: 256
    .name:           _Z6kernelI14inclusive_scanILN6hipcub18BlockScanAlgorithmE0EEN15benchmark_utils11custom_typeIddEELj256ELj1ELj100EEvPKT0_PS7_S7_
    .private_segment_fixed_size: 0
    .sgpr_count:     31
    .sgpr_spill_count: 0
    .symbol:         _Z6kernelI14inclusive_scanILN6hipcub18BlockScanAlgorithmE0EEN15benchmark_utils11custom_typeIddEELj256ELj1ELj100EEvPKT0_PS7_S7_.kd
    .uniform_work_group_size: 1
    .uses_dynamic_stack: false
    .vgpr_count:     17
    .vgpr_spill_count: 0
    .wavefront_size: 64
  - .args:
      - .address_space:  global
        .offset:         0
        .size:           8
        .value_kind:     global_buffer
      - .address_space:  global
        .offset:         8
        .size:           8
        .value_kind:     global_buffer
      - .offset:         16
        .size:           16
        .value_kind:     by_value
      - .offset:         32
        .size:           4
        .value_kind:     hidden_block_count_x
      - .offset:         36
        .size:           4
        .value_kind:     hidden_block_count_y
      - .offset:         40
        .size:           4
        .value_kind:     hidden_block_count_z
      - .offset:         44
        .size:           2
        .value_kind:     hidden_group_size_x
      - .offset:         46
        .size:           2
        .value_kind:     hidden_group_size_y
      - .offset:         48
        .size:           2
        .value_kind:     hidden_group_size_z
      - .offset:         50
        .size:           2
        .value_kind:     hidden_remainder_x
      - .offset:         52
        .size:           2
        .value_kind:     hidden_remainder_y
      - .offset:         54
        .size:           2
        .value_kind:     hidden_remainder_z
      - .offset:         72
        .size:           8
        .value_kind:     hidden_global_offset_x
      - .offset:         80
        .size:           8
        .value_kind:     hidden_global_offset_y
      - .offset:         88
        .size:           8
        .value_kind:     hidden_global_offset_z
      - .offset:         96
        .size:           2
        .value_kind:     hidden_grid_dims
    .group_segment_fixed_size: 64
    .kernarg_segment_align: 8
    .kernarg_segment_size: 288
    .language:       OpenCL C
    .language_version:
      - 2
      - 0
    .max_flat_workgroup_size: 256
    .name:           _Z6kernelI14inclusive_scanILN6hipcub18BlockScanAlgorithmE0EEN15benchmark_utils11custom_typeIddEELj256ELj4ELj100EEvPKT0_PS7_S7_
    .private_segment_fixed_size: 0
    .sgpr_count:     35
    .sgpr_spill_count: 0
    .symbol:         _Z6kernelI14inclusive_scanILN6hipcub18BlockScanAlgorithmE0EEN15benchmark_utils11custom_typeIddEELj256ELj4ELj100EEvPKT0_PS7_S7_.kd
    .uniform_work_group_size: 1
    .uses_dynamic_stack: false
    .vgpr_count:     46
    .vgpr_spill_count: 0
    .wavefront_size: 64
  - .args:
      - .address_space:  global
        .offset:         0
        .size:           8
        .value_kind:     global_buffer
      - .address_space:  global
        .offset:         8
        .size:           8
        .value_kind:     global_buffer
      - .offset:         16
        .size:           16
        .value_kind:     by_value
      - .offset:         32
        .size:           4
        .value_kind:     hidden_block_count_x
      - .offset:         36
        .size:           4
        .value_kind:     hidden_block_count_y
      - .offset:         40
        .size:           4
        .value_kind:     hidden_block_count_z
      - .offset:         44
        .size:           2
        .value_kind:     hidden_group_size_x
      - .offset:         46
        .size:           2
        .value_kind:     hidden_group_size_y
      - .offset:         48
        .size:           2
        .value_kind:     hidden_group_size_z
      - .offset:         50
        .size:           2
        .value_kind:     hidden_remainder_x
      - .offset:         52
        .size:           2
        .value_kind:     hidden_remainder_y
      - .offset:         54
        .size:           2
        .value_kind:     hidden_remainder_z
      - .offset:         72
        .size:           8
        .value_kind:     hidden_global_offset_x
      - .offset:         80
        .size:           8
        .value_kind:     hidden_global_offset_y
      - .offset:         88
        .size:           8
        .value_kind:     hidden_global_offset_z
      - .offset:         96
        .size:           2
        .value_kind:     hidden_grid_dims
    .group_segment_fixed_size: 64
    .kernarg_segment_align: 8
    .kernarg_segment_size: 288
    .language:       OpenCL C
    .language_version:
      - 2
      - 0
    .max_flat_workgroup_size: 256
    .name:           _Z6kernelI14inclusive_scanILN6hipcub18BlockScanAlgorithmE0EEN15benchmark_utils11custom_typeIddEELj256ELj8ELj100EEvPKT0_PS7_S7_
    .private_segment_fixed_size: 0
    .sgpr_count:     35
    .sgpr_spill_count: 0
    .symbol:         _Z6kernelI14inclusive_scanILN6hipcub18BlockScanAlgorithmE0EEN15benchmark_utils11custom_typeIddEELj256ELj8ELj100EEvPKT0_PS7_S7_.kd
    .uniform_work_group_size: 1
    .uses_dynamic_stack: false
    .vgpr_count:     78
    .vgpr_spill_count: 0
    .wavefront_size: 64
  - .args:
      - .address_space:  global
        .offset:         0
        .size:           8
        .value_kind:     global_buffer
      - .address_space:  global
        .offset:         8
        .size:           8
        .value_kind:     global_buffer
      - .offset:         16
        .size:           4
        .value_kind:     by_value
      - .offset:         24
        .size:           4
        .value_kind:     hidden_block_count_x
      - .offset:         28
        .size:           4
        .value_kind:     hidden_block_count_y
      - .offset:         32
        .size:           4
        .value_kind:     hidden_block_count_z
      - .offset:         36
        .size:           2
        .value_kind:     hidden_group_size_x
      - .offset:         38
        .size:           2
        .value_kind:     hidden_group_size_y
      - .offset:         40
        .size:           2
        .value_kind:     hidden_group_size_z
      - .offset:         42
        .size:           2
        .value_kind:     hidden_remainder_x
      - .offset:         44
        .size:           2
        .value_kind:     hidden_remainder_y
      - .offset:         46
        .size:           2
        .value_kind:     hidden_remainder_z
      - .offset:         64
        .size:           8
        .value_kind:     hidden_global_offset_x
      - .offset:         72
        .size:           8
        .value_kind:     hidden_global_offset_y
      - .offset:         80
        .size:           8
        .value_kind:     hidden_global_offset_z
      - .offset:         88
        .size:           2
        .value_kind:     hidden_grid_dims
    .group_segment_fixed_size: 4
    .kernarg_segment_align: 8
    .kernarg_segment_size: 280
    .language:       OpenCL C
    .language_version:
      - 2
      - 0
    .max_flat_workgroup_size: 64
    .name:           _Z6kernelI14exclusive_scanILN6hipcub18BlockScanAlgorithmE1EEiLj64ELj1ELj100EEvPKT0_PS4_S4_
    .private_segment_fixed_size: 0
    .sgpr_count:     25
    .sgpr_spill_count: 0
    .symbol:         _Z6kernelI14exclusive_scanILN6hipcub18BlockScanAlgorithmE1EEiLj64ELj1ELj100EEvPKT0_PS4_S4_.kd
    .uniform_work_group_size: 1
    .uses_dynamic_stack: false
    .vgpr_count:     7
    .vgpr_spill_count: 0
    .wavefront_size: 64
  - .args:
      - .address_space:  global
        .offset:         0
        .size:           8
        .value_kind:     global_buffer
      - .address_space:  global
        .offset:         8
        .size:           8
        .value_kind:     global_buffer
      - .offset:         16
        .size:           4
        .value_kind:     by_value
      - .offset:         24
        .size:           4
        .value_kind:     hidden_block_count_x
      - .offset:         28
        .size:           4
        .value_kind:     hidden_block_count_y
      - .offset:         32
        .size:           4
        .value_kind:     hidden_block_count_z
      - .offset:         36
        .size:           2
        .value_kind:     hidden_group_size_x
      - .offset:         38
        .size:           2
        .value_kind:     hidden_group_size_y
      - .offset:         40
        .size:           2
        .value_kind:     hidden_group_size_z
      - .offset:         42
        .size:           2
        .value_kind:     hidden_remainder_x
      - .offset:         44
        .size:           2
        .value_kind:     hidden_remainder_y
      - .offset:         46
        .size:           2
        .value_kind:     hidden_remainder_z
      - .offset:         64
        .size:           8
        .value_kind:     hidden_global_offset_x
      - .offset:         72
        .size:           8
        .value_kind:     hidden_global_offset_y
      - .offset:         80
        .size:           8
        .value_kind:     hidden_global_offset_z
      - .offset:         88
        .size:           2
        .value_kind:     hidden_grid_dims
    .group_segment_fixed_size: 4
    .kernarg_segment_align: 8
    .kernarg_segment_size: 280
    .language:       OpenCL C
    .language_version:
      - 2
      - 0
    .max_flat_workgroup_size: 64
    .name:           _Z6kernelI14exclusive_scanILN6hipcub18BlockScanAlgorithmE1EEiLj64ELj3ELj100EEvPKT0_PS4_S4_
    .private_segment_fixed_size: 0
    .sgpr_count:     25
    .sgpr_spill_count: 0
    .symbol:         _Z6kernelI14exclusive_scanILN6hipcub18BlockScanAlgorithmE1EEiLj64ELj3ELj100EEvPKT0_PS4_S4_.kd
    .uniform_work_group_size: 1
    .uses_dynamic_stack: false
    .vgpr_count:     18
    .vgpr_spill_count: 0
    .wavefront_size: 64
  - .args:
      - .address_space:  global
        .offset:         0
        .size:           8
        .value_kind:     global_buffer
      - .address_space:  global
        .offset:         8
        .size:           8
        .value_kind:     global_buffer
      - .offset:         16
        .size:           4
        .value_kind:     by_value
      - .offset:         24
        .size:           4
        .value_kind:     hidden_block_count_x
      - .offset:         28
        .size:           4
        .value_kind:     hidden_block_count_y
      - .offset:         32
        .size:           4
        .value_kind:     hidden_block_count_z
      - .offset:         36
        .size:           2
        .value_kind:     hidden_group_size_x
      - .offset:         38
        .size:           2
        .value_kind:     hidden_group_size_y
      - .offset:         40
        .size:           2
        .value_kind:     hidden_group_size_z
      - .offset:         42
        .size:           2
        .value_kind:     hidden_remainder_x
      - .offset:         44
        .size:           2
        .value_kind:     hidden_remainder_y
      - .offset:         46
        .size:           2
        .value_kind:     hidden_remainder_z
      - .offset:         64
        .size:           8
        .value_kind:     hidden_global_offset_x
      - .offset:         72
        .size:           8
        .value_kind:     hidden_global_offset_y
      - .offset:         80
        .size:           8
        .value_kind:     hidden_global_offset_z
      - .offset:         88
        .size:           2
        .value_kind:     hidden_grid_dims
    .group_segment_fixed_size: 4
    .kernarg_segment_align: 8
    .kernarg_segment_size: 280
    .language:       OpenCL C
    .language_version:
      - 2
      - 0
    .max_flat_workgroup_size: 64
    .name:           _Z6kernelI14exclusive_scanILN6hipcub18BlockScanAlgorithmE1EEiLj64ELj4ELj100EEvPKT0_PS4_S4_
    .private_segment_fixed_size: 0
    .sgpr_count:     25
    .sgpr_spill_count: 0
    .symbol:         _Z6kernelI14exclusive_scanILN6hipcub18BlockScanAlgorithmE1EEiLj64ELj4ELj100EEvPKT0_PS4_S4_.kd
    .uniform_work_group_size: 1
    .uses_dynamic_stack: false
    .vgpr_count:     12
    .vgpr_spill_count: 0
    .wavefront_size: 64
  - .args:
      - .address_space:  global
        .offset:         0
        .size:           8
        .value_kind:     global_buffer
      - .address_space:  global
        .offset:         8
        .size:           8
        .value_kind:     global_buffer
      - .offset:         16
        .size:           4
        .value_kind:     by_value
      - .offset:         24
        .size:           4
        .value_kind:     hidden_block_count_x
      - .offset:         28
        .size:           4
        .value_kind:     hidden_block_count_y
      - .offset:         32
        .size:           4
        .value_kind:     hidden_block_count_z
      - .offset:         36
        .size:           2
        .value_kind:     hidden_group_size_x
      - .offset:         38
        .size:           2
        .value_kind:     hidden_group_size_y
      - .offset:         40
        .size:           2
        .value_kind:     hidden_group_size_z
      - .offset:         42
        .size:           2
        .value_kind:     hidden_remainder_x
      - .offset:         44
        .size:           2
        .value_kind:     hidden_remainder_y
      - .offset:         46
        .size:           2
        .value_kind:     hidden_remainder_z
      - .offset:         64
        .size:           8
        .value_kind:     hidden_global_offset_x
      - .offset:         72
        .size:           8
        .value_kind:     hidden_global_offset_y
      - .offset:         80
        .size:           8
        .value_kind:     hidden_global_offset_z
      - .offset:         88
        .size:           2
        .value_kind:     hidden_grid_dims
    .group_segment_fixed_size: 4
    .kernarg_segment_align: 8
    .kernarg_segment_size: 280
    .language:       OpenCL C
    .language_version:
      - 2
      - 0
    .max_flat_workgroup_size: 64
    .name:           _Z6kernelI14exclusive_scanILN6hipcub18BlockScanAlgorithmE1EEiLj64ELj8ELj100EEvPKT0_PS4_S4_
    .private_segment_fixed_size: 0
    .sgpr_count:     25
    .sgpr_spill_count: 0
    .symbol:         _Z6kernelI14exclusive_scanILN6hipcub18BlockScanAlgorithmE1EEiLj64ELj8ELj100EEvPKT0_PS4_S4_.kd
    .uniform_work_group_size: 1
    .uses_dynamic_stack: false
    .vgpr_count:     20
    .vgpr_spill_count: 0
    .wavefront_size: 64
  - .args:
      - .address_space:  global
        .offset:         0
        .size:           8
        .value_kind:     global_buffer
      - .address_space:  global
        .offset:         8
        .size:           8
        .value_kind:     global_buffer
      - .offset:         16
        .size:           4
        .value_kind:     by_value
      - .offset:         24
        .size:           4
        .value_kind:     hidden_block_count_x
      - .offset:         28
        .size:           4
        .value_kind:     hidden_block_count_y
      - .offset:         32
        .size:           4
        .value_kind:     hidden_block_count_z
      - .offset:         36
        .size:           2
        .value_kind:     hidden_group_size_x
      - .offset:         38
        .size:           2
        .value_kind:     hidden_group_size_y
      - .offset:         40
        .size:           2
        .value_kind:     hidden_group_size_z
      - .offset:         42
        .size:           2
        .value_kind:     hidden_remainder_x
      - .offset:         44
        .size:           2
        .value_kind:     hidden_remainder_y
      - .offset:         46
        .size:           2
        .value_kind:     hidden_remainder_z
      - .offset:         64
        .size:           8
        .value_kind:     hidden_global_offset_x
      - .offset:         72
        .size:           8
        .value_kind:     hidden_global_offset_y
      - .offset:         80
        .size:           8
        .value_kind:     hidden_global_offset_z
      - .offset:         88
        .size:           2
        .value_kind:     hidden_grid_dims
    .group_segment_fixed_size: 4
    .kernarg_segment_align: 8
    .kernarg_segment_size: 280
    .language:       OpenCL C
    .language_version:
      - 2
      - 0
    .max_flat_workgroup_size: 64
    .name:           _Z6kernelI14exclusive_scanILN6hipcub18BlockScanAlgorithmE1EEiLj64ELj11ELj100EEvPKT0_PS4_S4_
    .private_segment_fixed_size: 0
    .sgpr_count:     25
    .sgpr_spill_count: 0
    .symbol:         _Z6kernelI14exclusive_scanILN6hipcub18BlockScanAlgorithmE1EEiLj64ELj11ELj100EEvPKT0_PS4_S4_.kd
    .uniform_work_group_size: 1
    .uses_dynamic_stack: false
    .vgpr_count:     43
    .vgpr_spill_count: 0
    .wavefront_size: 64
  - .args:
      - .address_space:  global
        .offset:         0
        .size:           8
        .value_kind:     global_buffer
      - .address_space:  global
        .offset:         8
        .size:           8
        .value_kind:     global_buffer
      - .offset:         16
        .size:           4
        .value_kind:     by_value
      - .offset:         24
        .size:           4
        .value_kind:     hidden_block_count_x
      - .offset:         28
        .size:           4
        .value_kind:     hidden_block_count_y
      - .offset:         32
        .size:           4
        .value_kind:     hidden_block_count_z
      - .offset:         36
        .size:           2
        .value_kind:     hidden_group_size_x
      - .offset:         38
        .size:           2
        .value_kind:     hidden_group_size_y
      - .offset:         40
        .size:           2
        .value_kind:     hidden_group_size_z
      - .offset:         42
        .size:           2
        .value_kind:     hidden_remainder_x
      - .offset:         44
        .size:           2
        .value_kind:     hidden_remainder_y
      - .offset:         46
        .size:           2
        .value_kind:     hidden_remainder_z
      - .offset:         64
        .size:           8
        .value_kind:     hidden_global_offset_x
      - .offset:         72
        .size:           8
        .value_kind:     hidden_global_offset_y
      - .offset:         80
        .size:           8
        .value_kind:     hidden_global_offset_z
      - .offset:         88
        .size:           2
        .value_kind:     hidden_grid_dims
    .group_segment_fixed_size: 4
    .kernarg_segment_align: 8
    .kernarg_segment_size: 280
    .language:       OpenCL C
    .language_version:
      - 2
      - 0
    .max_flat_workgroup_size: 64
    .name:           _Z6kernelI14exclusive_scanILN6hipcub18BlockScanAlgorithmE1EEiLj64ELj16ELj100EEvPKT0_PS4_S4_
    .private_segment_fixed_size: 0
    .sgpr_count:     25
    .sgpr_spill_count: 0
    .symbol:         _Z6kernelI14exclusive_scanILN6hipcub18BlockScanAlgorithmE1EEiLj64ELj16ELj100EEvPKT0_PS4_S4_.kd
    .uniform_work_group_size: 1
    .uses_dynamic_stack: false
    .vgpr_count:     24
    .vgpr_spill_count: 0
    .wavefront_size: 64
  - .args:
      - .address_space:  global
        .offset:         0
        .size:           8
        .value_kind:     global_buffer
      - .address_space:  global
        .offset:         8
        .size:           8
        .value_kind:     global_buffer
      - .offset:         16
        .size:           4
        .value_kind:     by_value
      - .offset:         24
        .size:           4
        .value_kind:     hidden_block_count_x
      - .offset:         28
        .size:           4
        .value_kind:     hidden_block_count_y
      - .offset:         32
        .size:           4
        .value_kind:     hidden_block_count_z
      - .offset:         36
        .size:           2
        .value_kind:     hidden_group_size_x
      - .offset:         38
        .size:           2
        .value_kind:     hidden_group_size_y
      - .offset:         40
        .size:           2
        .value_kind:     hidden_group_size_z
      - .offset:         42
        .size:           2
        .value_kind:     hidden_remainder_x
      - .offset:         44
        .size:           2
        .value_kind:     hidden_remainder_y
      - .offset:         46
        .size:           2
        .value_kind:     hidden_remainder_z
      - .offset:         64
        .size:           8
        .value_kind:     hidden_global_offset_x
      - .offset:         72
        .size:           8
        .value_kind:     hidden_global_offset_y
      - .offset:         80
        .size:           8
        .value_kind:     hidden_global_offset_z
      - .offset:         88
        .size:           2
        .value_kind:     hidden_grid_dims
    .group_segment_fixed_size: 4
    .kernarg_segment_align: 8
    .kernarg_segment_size: 280
    .language:       OpenCL C
    .language_version:
      - 2
      - 0
    .max_flat_workgroup_size: 64
    .name:           _Z6kernelI14exclusive_scanILN6hipcub18BlockScanAlgorithmE1EEfLj64ELj1ELj100EEvPKT0_PS4_S4_
    .private_segment_fixed_size: 0
    .sgpr_count:     25
    .sgpr_spill_count: 0
    .symbol:         _Z6kernelI14exclusive_scanILN6hipcub18BlockScanAlgorithmE1EEfLj64ELj1ELj100EEvPKT0_PS4_S4_.kd
    .uniform_work_group_size: 1
    .uses_dynamic_stack: false
    .vgpr_count:     7
    .vgpr_spill_count: 0
    .wavefront_size: 64
  - .args:
      - .address_space:  global
        .offset:         0
        .size:           8
        .value_kind:     global_buffer
      - .address_space:  global
        .offset:         8
        .size:           8
        .value_kind:     global_buffer
      - .offset:         16
        .size:           4
        .value_kind:     by_value
      - .offset:         24
        .size:           4
        .value_kind:     hidden_block_count_x
      - .offset:         28
        .size:           4
        .value_kind:     hidden_block_count_y
      - .offset:         32
        .size:           4
        .value_kind:     hidden_block_count_z
      - .offset:         36
        .size:           2
        .value_kind:     hidden_group_size_x
      - .offset:         38
        .size:           2
        .value_kind:     hidden_group_size_y
      - .offset:         40
        .size:           2
        .value_kind:     hidden_group_size_z
      - .offset:         42
        .size:           2
        .value_kind:     hidden_remainder_x
      - .offset:         44
        .size:           2
        .value_kind:     hidden_remainder_y
      - .offset:         46
        .size:           2
        .value_kind:     hidden_remainder_z
      - .offset:         64
        .size:           8
        .value_kind:     hidden_global_offset_x
      - .offset:         72
        .size:           8
        .value_kind:     hidden_global_offset_y
      - .offset:         80
        .size:           8
        .value_kind:     hidden_global_offset_z
      - .offset:         88
        .size:           2
        .value_kind:     hidden_grid_dims
    .group_segment_fixed_size: 4
    .kernarg_segment_align: 8
    .kernarg_segment_size: 280
    .language:       OpenCL C
    .language_version:
      - 2
      - 0
    .max_flat_workgroup_size: 64
    .name:           _Z6kernelI14exclusive_scanILN6hipcub18BlockScanAlgorithmE1EEfLj64ELj3ELj100EEvPKT0_PS4_S4_
    .private_segment_fixed_size: 0
    .sgpr_count:     25
    .sgpr_spill_count: 0
    .symbol:         _Z6kernelI14exclusive_scanILN6hipcub18BlockScanAlgorithmE1EEfLj64ELj3ELj100EEvPKT0_PS4_S4_.kd
    .uniform_work_group_size: 1
    .uses_dynamic_stack: false
    .vgpr_count:     18
    .vgpr_spill_count: 0
    .wavefront_size: 64
  - .args:
      - .address_space:  global
        .offset:         0
        .size:           8
        .value_kind:     global_buffer
      - .address_space:  global
        .offset:         8
        .size:           8
        .value_kind:     global_buffer
      - .offset:         16
        .size:           4
        .value_kind:     by_value
      - .offset:         24
        .size:           4
        .value_kind:     hidden_block_count_x
      - .offset:         28
        .size:           4
        .value_kind:     hidden_block_count_y
      - .offset:         32
        .size:           4
        .value_kind:     hidden_block_count_z
      - .offset:         36
        .size:           2
        .value_kind:     hidden_group_size_x
      - .offset:         38
        .size:           2
        .value_kind:     hidden_group_size_y
      - .offset:         40
        .size:           2
        .value_kind:     hidden_group_size_z
      - .offset:         42
        .size:           2
        .value_kind:     hidden_remainder_x
      - .offset:         44
        .size:           2
        .value_kind:     hidden_remainder_y
      - .offset:         46
        .size:           2
        .value_kind:     hidden_remainder_z
      - .offset:         64
        .size:           8
        .value_kind:     hidden_global_offset_x
      - .offset:         72
        .size:           8
        .value_kind:     hidden_global_offset_y
      - .offset:         80
        .size:           8
        .value_kind:     hidden_global_offset_z
      - .offset:         88
        .size:           2
        .value_kind:     hidden_grid_dims
    .group_segment_fixed_size: 4
    .kernarg_segment_align: 8
    .kernarg_segment_size: 280
    .language:       OpenCL C
    .language_version:
      - 2
      - 0
    .max_flat_workgroup_size: 64
    .name:           _Z6kernelI14exclusive_scanILN6hipcub18BlockScanAlgorithmE1EEfLj64ELj4ELj100EEvPKT0_PS4_S4_
    .private_segment_fixed_size: 0
    .sgpr_count:     25
    .sgpr_spill_count: 0
    .symbol:         _Z6kernelI14exclusive_scanILN6hipcub18BlockScanAlgorithmE1EEfLj64ELj4ELj100EEvPKT0_PS4_S4_.kd
    .uniform_work_group_size: 1
    .uses_dynamic_stack: false
    .vgpr_count:     12
    .vgpr_spill_count: 0
    .wavefront_size: 64
  - .args:
      - .address_space:  global
        .offset:         0
        .size:           8
        .value_kind:     global_buffer
      - .address_space:  global
        .offset:         8
        .size:           8
        .value_kind:     global_buffer
      - .offset:         16
        .size:           4
        .value_kind:     by_value
      - .offset:         24
        .size:           4
        .value_kind:     hidden_block_count_x
      - .offset:         28
        .size:           4
        .value_kind:     hidden_block_count_y
      - .offset:         32
        .size:           4
        .value_kind:     hidden_block_count_z
      - .offset:         36
        .size:           2
        .value_kind:     hidden_group_size_x
      - .offset:         38
        .size:           2
        .value_kind:     hidden_group_size_y
      - .offset:         40
        .size:           2
        .value_kind:     hidden_group_size_z
      - .offset:         42
        .size:           2
        .value_kind:     hidden_remainder_x
      - .offset:         44
        .size:           2
        .value_kind:     hidden_remainder_y
      - .offset:         46
        .size:           2
        .value_kind:     hidden_remainder_z
      - .offset:         64
        .size:           8
        .value_kind:     hidden_global_offset_x
      - .offset:         72
        .size:           8
        .value_kind:     hidden_global_offset_y
      - .offset:         80
        .size:           8
        .value_kind:     hidden_global_offset_z
      - .offset:         88
        .size:           2
        .value_kind:     hidden_grid_dims
    .group_segment_fixed_size: 4
    .kernarg_segment_align: 8
    .kernarg_segment_size: 280
    .language:       OpenCL C
    .language_version:
      - 2
      - 0
    .max_flat_workgroup_size: 64
    .name:           _Z6kernelI14exclusive_scanILN6hipcub18BlockScanAlgorithmE1EEfLj64ELj8ELj100EEvPKT0_PS4_S4_
    .private_segment_fixed_size: 0
    .sgpr_count:     25
    .sgpr_spill_count: 0
    .symbol:         _Z6kernelI14exclusive_scanILN6hipcub18BlockScanAlgorithmE1EEfLj64ELj8ELj100EEvPKT0_PS4_S4_.kd
    .uniform_work_group_size: 1
    .uses_dynamic_stack: false
    .vgpr_count:     20
    .vgpr_spill_count: 0
    .wavefront_size: 64
  - .args:
      - .address_space:  global
        .offset:         0
        .size:           8
        .value_kind:     global_buffer
      - .address_space:  global
        .offset:         8
        .size:           8
        .value_kind:     global_buffer
      - .offset:         16
        .size:           4
        .value_kind:     by_value
      - .offset:         24
        .size:           4
        .value_kind:     hidden_block_count_x
      - .offset:         28
        .size:           4
        .value_kind:     hidden_block_count_y
      - .offset:         32
        .size:           4
        .value_kind:     hidden_block_count_z
      - .offset:         36
        .size:           2
        .value_kind:     hidden_group_size_x
      - .offset:         38
        .size:           2
        .value_kind:     hidden_group_size_y
      - .offset:         40
        .size:           2
        .value_kind:     hidden_group_size_z
      - .offset:         42
        .size:           2
        .value_kind:     hidden_remainder_x
      - .offset:         44
        .size:           2
        .value_kind:     hidden_remainder_y
      - .offset:         46
        .size:           2
        .value_kind:     hidden_remainder_z
      - .offset:         64
        .size:           8
        .value_kind:     hidden_global_offset_x
      - .offset:         72
        .size:           8
        .value_kind:     hidden_global_offset_y
      - .offset:         80
        .size:           8
        .value_kind:     hidden_global_offset_z
      - .offset:         88
        .size:           2
        .value_kind:     hidden_grid_dims
    .group_segment_fixed_size: 4
    .kernarg_segment_align: 8
    .kernarg_segment_size: 280
    .language:       OpenCL C
    .language_version:
      - 2
      - 0
    .max_flat_workgroup_size: 64
    .name:           _Z6kernelI14exclusive_scanILN6hipcub18BlockScanAlgorithmE1EEfLj64ELj11ELj100EEvPKT0_PS4_S4_
    .private_segment_fixed_size: 0
    .sgpr_count:     25
    .sgpr_spill_count: 0
    .symbol:         _Z6kernelI14exclusive_scanILN6hipcub18BlockScanAlgorithmE1EEfLj64ELj11ELj100EEvPKT0_PS4_S4_.kd
    .uniform_work_group_size: 1
    .uses_dynamic_stack: false
    .vgpr_count:     43
    .vgpr_spill_count: 0
    .wavefront_size: 64
  - .args:
      - .address_space:  global
        .offset:         0
        .size:           8
        .value_kind:     global_buffer
      - .address_space:  global
        .offset:         8
        .size:           8
        .value_kind:     global_buffer
      - .offset:         16
        .size:           4
        .value_kind:     by_value
      - .offset:         24
        .size:           4
        .value_kind:     hidden_block_count_x
      - .offset:         28
        .size:           4
        .value_kind:     hidden_block_count_y
      - .offset:         32
        .size:           4
        .value_kind:     hidden_block_count_z
      - .offset:         36
        .size:           2
        .value_kind:     hidden_group_size_x
      - .offset:         38
        .size:           2
        .value_kind:     hidden_group_size_y
      - .offset:         40
        .size:           2
        .value_kind:     hidden_group_size_z
      - .offset:         42
        .size:           2
        .value_kind:     hidden_remainder_x
      - .offset:         44
        .size:           2
        .value_kind:     hidden_remainder_y
      - .offset:         46
        .size:           2
        .value_kind:     hidden_remainder_z
      - .offset:         64
        .size:           8
        .value_kind:     hidden_global_offset_x
      - .offset:         72
        .size:           8
        .value_kind:     hidden_global_offset_y
      - .offset:         80
        .size:           8
        .value_kind:     hidden_global_offset_z
      - .offset:         88
        .size:           2
        .value_kind:     hidden_grid_dims
    .group_segment_fixed_size: 4
    .kernarg_segment_align: 8
    .kernarg_segment_size: 280
    .language:       OpenCL C
    .language_version:
      - 2
      - 0
    .max_flat_workgroup_size: 64
    .name:           _Z6kernelI14exclusive_scanILN6hipcub18BlockScanAlgorithmE1EEfLj64ELj16ELj100EEvPKT0_PS4_S4_
    .private_segment_fixed_size: 0
    .sgpr_count:     25
    .sgpr_spill_count: 0
    .symbol:         _Z6kernelI14exclusive_scanILN6hipcub18BlockScanAlgorithmE1EEfLj64ELj16ELj100EEvPKT0_PS4_S4_.kd
    .uniform_work_group_size: 1
    .uses_dynamic_stack: false
    .vgpr_count:     24
    .vgpr_spill_count: 0
    .wavefront_size: 64
  - .args:
      - .address_space:  global
        .offset:         0
        .size:           8
        .value_kind:     global_buffer
      - .address_space:  global
        .offset:         8
        .size:           8
        .value_kind:     global_buffer
      - .offset:         16
        .size:           8
        .value_kind:     by_value
      - .offset:         24
        .size:           4
        .value_kind:     hidden_block_count_x
      - .offset:         28
        .size:           4
        .value_kind:     hidden_block_count_y
      - .offset:         32
        .size:           4
        .value_kind:     hidden_block_count_z
      - .offset:         36
        .size:           2
        .value_kind:     hidden_group_size_x
      - .offset:         38
        .size:           2
        .value_kind:     hidden_group_size_y
      - .offset:         40
        .size:           2
        .value_kind:     hidden_group_size_z
      - .offset:         42
        .size:           2
        .value_kind:     hidden_remainder_x
      - .offset:         44
        .size:           2
        .value_kind:     hidden_remainder_y
      - .offset:         46
        .size:           2
        .value_kind:     hidden_remainder_z
      - .offset:         64
        .size:           8
        .value_kind:     hidden_global_offset_x
      - .offset:         72
        .size:           8
        .value_kind:     hidden_global_offset_y
      - .offset:         80
        .size:           8
        .value_kind:     hidden_global_offset_z
      - .offset:         88
        .size:           2
        .value_kind:     hidden_grid_dims
    .group_segment_fixed_size: 8
    .kernarg_segment_align: 8
    .kernarg_segment_size: 280
    .language:       OpenCL C
    .language_version:
      - 2
      - 0
    .max_flat_workgroup_size: 64
    .name:           _Z6kernelI14exclusive_scanILN6hipcub18BlockScanAlgorithmE1EEdLj64ELj1ELj100EEvPKT0_PS4_S4_
    .private_segment_fixed_size: 0
    .sgpr_count:     26
    .sgpr_spill_count: 0
    .symbol:         _Z6kernelI14exclusive_scanILN6hipcub18BlockScanAlgorithmE1EEdLj64ELj1ELj100EEvPKT0_PS4_S4_.kd
    .uniform_work_group_size: 1
    .uses_dynamic_stack: false
    .vgpr_count:     8
    .vgpr_spill_count: 0
    .wavefront_size: 64
  - .args:
      - .address_space:  global
        .offset:         0
        .size:           8
        .value_kind:     global_buffer
      - .address_space:  global
        .offset:         8
        .size:           8
        .value_kind:     global_buffer
      - .offset:         16
        .size:           8
        .value_kind:     by_value
      - .offset:         24
        .size:           4
        .value_kind:     hidden_block_count_x
      - .offset:         28
        .size:           4
        .value_kind:     hidden_block_count_y
      - .offset:         32
        .size:           4
        .value_kind:     hidden_block_count_z
      - .offset:         36
        .size:           2
        .value_kind:     hidden_group_size_x
      - .offset:         38
        .size:           2
        .value_kind:     hidden_group_size_y
      - .offset:         40
        .size:           2
        .value_kind:     hidden_group_size_z
      - .offset:         42
        .size:           2
        .value_kind:     hidden_remainder_x
      - .offset:         44
        .size:           2
        .value_kind:     hidden_remainder_y
      - .offset:         46
        .size:           2
        .value_kind:     hidden_remainder_z
      - .offset:         64
        .size:           8
        .value_kind:     hidden_global_offset_x
      - .offset:         72
        .size:           8
        .value_kind:     hidden_global_offset_y
      - .offset:         80
        .size:           8
        .value_kind:     hidden_global_offset_z
      - .offset:         88
        .size:           2
        .value_kind:     hidden_grid_dims
    .group_segment_fixed_size: 8
    .kernarg_segment_align: 8
    .kernarg_segment_size: 280
    .language:       OpenCL C
    .language_version:
      - 2
      - 0
    .max_flat_workgroup_size: 64
    .name:           _Z6kernelI14exclusive_scanILN6hipcub18BlockScanAlgorithmE1EEdLj64ELj3ELj100EEvPKT0_PS4_S4_
    .private_segment_fixed_size: 0
    .sgpr_count:     26
    .sgpr_spill_count: 0
    .symbol:         _Z6kernelI14exclusive_scanILN6hipcub18BlockScanAlgorithmE1EEdLj64ELj3ELj100EEvPKT0_PS4_S4_.kd
    .uniform_work_group_size: 1
    .uses_dynamic_stack: false
    .vgpr_count:     21
    .vgpr_spill_count: 0
    .wavefront_size: 64
  - .args:
      - .address_space:  global
        .offset:         0
        .size:           8
        .value_kind:     global_buffer
      - .address_space:  global
        .offset:         8
        .size:           8
        .value_kind:     global_buffer
      - .offset:         16
        .size:           8
        .value_kind:     by_value
      - .offset:         24
        .size:           4
        .value_kind:     hidden_block_count_x
      - .offset:         28
        .size:           4
        .value_kind:     hidden_block_count_y
      - .offset:         32
        .size:           4
        .value_kind:     hidden_block_count_z
      - .offset:         36
        .size:           2
        .value_kind:     hidden_group_size_x
      - .offset:         38
        .size:           2
        .value_kind:     hidden_group_size_y
      - .offset:         40
        .size:           2
        .value_kind:     hidden_group_size_z
      - .offset:         42
        .size:           2
        .value_kind:     hidden_remainder_x
      - .offset:         44
        .size:           2
        .value_kind:     hidden_remainder_y
      - .offset:         46
        .size:           2
        .value_kind:     hidden_remainder_z
      - .offset:         64
        .size:           8
        .value_kind:     hidden_global_offset_x
      - .offset:         72
        .size:           8
        .value_kind:     hidden_global_offset_y
      - .offset:         80
        .size:           8
        .value_kind:     hidden_global_offset_z
      - .offset:         88
        .size:           2
        .value_kind:     hidden_grid_dims
    .group_segment_fixed_size: 8
    .kernarg_segment_align: 8
    .kernarg_segment_size: 280
    .language:       OpenCL C
    .language_version:
      - 2
      - 0
    .max_flat_workgroup_size: 64
    .name:           _Z6kernelI14exclusive_scanILN6hipcub18BlockScanAlgorithmE1EEdLj64ELj4ELj100EEvPKT0_PS4_S4_
    .private_segment_fixed_size: 0
    .sgpr_count:     26
    .sgpr_spill_count: 0
    .symbol:         _Z6kernelI14exclusive_scanILN6hipcub18BlockScanAlgorithmE1EEdLj64ELj4ELj100EEvPKT0_PS4_S4_.kd
    .uniform_work_group_size: 1
    .uses_dynamic_stack: false
    .vgpr_count:     19
    .vgpr_spill_count: 0
    .wavefront_size: 64
  - .args:
      - .address_space:  global
        .offset:         0
        .size:           8
        .value_kind:     global_buffer
      - .address_space:  global
        .offset:         8
        .size:           8
        .value_kind:     global_buffer
      - .offset:         16
        .size:           8
        .value_kind:     by_value
      - .offset:         24
        .size:           4
        .value_kind:     hidden_block_count_x
      - .offset:         28
        .size:           4
        .value_kind:     hidden_block_count_y
      - .offset:         32
        .size:           4
        .value_kind:     hidden_block_count_z
      - .offset:         36
        .size:           2
        .value_kind:     hidden_group_size_x
      - .offset:         38
        .size:           2
        .value_kind:     hidden_group_size_y
      - .offset:         40
        .size:           2
        .value_kind:     hidden_group_size_z
      - .offset:         42
        .size:           2
        .value_kind:     hidden_remainder_x
      - .offset:         44
        .size:           2
        .value_kind:     hidden_remainder_y
      - .offset:         46
        .size:           2
        .value_kind:     hidden_remainder_z
      - .offset:         64
        .size:           8
        .value_kind:     hidden_global_offset_x
      - .offset:         72
        .size:           8
        .value_kind:     hidden_global_offset_y
      - .offset:         80
        .size:           8
        .value_kind:     hidden_global_offset_z
      - .offset:         88
        .size:           2
        .value_kind:     hidden_grid_dims
    .group_segment_fixed_size: 8
    .kernarg_segment_align: 8
    .kernarg_segment_size: 280
    .language:       OpenCL C
    .language_version:
      - 2
      - 0
    .max_flat_workgroup_size: 64
    .name:           _Z6kernelI14exclusive_scanILN6hipcub18BlockScanAlgorithmE1EEdLj64ELj8ELj100EEvPKT0_PS4_S4_
    .private_segment_fixed_size: 0
    .sgpr_count:     26
    .sgpr_spill_count: 0
    .symbol:         _Z6kernelI14exclusive_scanILN6hipcub18BlockScanAlgorithmE1EEdLj64ELj8ELj100EEvPKT0_PS4_S4_.kd
    .uniform_work_group_size: 1
    .uses_dynamic_stack: false
    .vgpr_count:     25
    .vgpr_spill_count: 0
    .wavefront_size: 64
  - .args:
      - .address_space:  global
        .offset:         0
        .size:           8
        .value_kind:     global_buffer
      - .address_space:  global
        .offset:         8
        .size:           8
        .value_kind:     global_buffer
      - .offset:         16
        .size:           8
        .value_kind:     by_value
      - .offset:         24
        .size:           4
        .value_kind:     hidden_block_count_x
      - .offset:         28
        .size:           4
        .value_kind:     hidden_block_count_y
      - .offset:         32
        .size:           4
        .value_kind:     hidden_block_count_z
      - .offset:         36
        .size:           2
        .value_kind:     hidden_group_size_x
      - .offset:         38
        .size:           2
        .value_kind:     hidden_group_size_y
      - .offset:         40
        .size:           2
        .value_kind:     hidden_group_size_z
      - .offset:         42
        .size:           2
        .value_kind:     hidden_remainder_x
      - .offset:         44
        .size:           2
        .value_kind:     hidden_remainder_y
      - .offset:         46
        .size:           2
        .value_kind:     hidden_remainder_z
      - .offset:         64
        .size:           8
        .value_kind:     hidden_global_offset_x
      - .offset:         72
        .size:           8
        .value_kind:     hidden_global_offset_y
      - .offset:         80
        .size:           8
        .value_kind:     hidden_global_offset_z
      - .offset:         88
        .size:           2
        .value_kind:     hidden_grid_dims
    .group_segment_fixed_size: 8
    .kernarg_segment_align: 8
    .kernarg_segment_size: 280
    .language:       OpenCL C
    .language_version:
      - 2
      - 0
    .max_flat_workgroup_size: 64
    .name:           _Z6kernelI14exclusive_scanILN6hipcub18BlockScanAlgorithmE1EEdLj64ELj11ELj100EEvPKT0_PS4_S4_
    .private_segment_fixed_size: 0
    .sgpr_count:     26
    .sgpr_spill_count: 0
    .symbol:         _Z6kernelI14exclusive_scanILN6hipcub18BlockScanAlgorithmE1EEdLj64ELj11ELj100EEvPKT0_PS4_S4_.kd
    .uniform_work_group_size: 1
    .uses_dynamic_stack: false
    .vgpr_count:     65
    .vgpr_spill_count: 0
    .wavefront_size: 64
  - .args:
      - .address_space:  global
        .offset:         0
        .size:           8
        .value_kind:     global_buffer
      - .address_space:  global
        .offset:         8
        .size:           8
        .value_kind:     global_buffer
      - .offset:         16
        .size:           8
        .value_kind:     by_value
      - .offset:         24
        .size:           4
        .value_kind:     hidden_block_count_x
      - .offset:         28
        .size:           4
        .value_kind:     hidden_block_count_y
      - .offset:         32
        .size:           4
        .value_kind:     hidden_block_count_z
      - .offset:         36
        .size:           2
        .value_kind:     hidden_group_size_x
      - .offset:         38
        .size:           2
        .value_kind:     hidden_group_size_y
      - .offset:         40
        .size:           2
        .value_kind:     hidden_group_size_z
      - .offset:         42
        .size:           2
        .value_kind:     hidden_remainder_x
      - .offset:         44
        .size:           2
        .value_kind:     hidden_remainder_y
      - .offset:         46
        .size:           2
        .value_kind:     hidden_remainder_z
      - .offset:         64
        .size:           8
        .value_kind:     hidden_global_offset_x
      - .offset:         72
        .size:           8
        .value_kind:     hidden_global_offset_y
      - .offset:         80
        .size:           8
        .value_kind:     hidden_global_offset_z
      - .offset:         88
        .size:           2
        .value_kind:     hidden_grid_dims
    .group_segment_fixed_size: 8
    .kernarg_segment_align: 8
    .kernarg_segment_size: 280
    .language:       OpenCL C
    .language_version:
      - 2
      - 0
    .max_flat_workgroup_size: 64
    .name:           _Z6kernelI14exclusive_scanILN6hipcub18BlockScanAlgorithmE1EEdLj64ELj16ELj100EEvPKT0_PS4_S4_
    .private_segment_fixed_size: 0
    .sgpr_count:     26
    .sgpr_spill_count: 0
    .symbol:         _Z6kernelI14exclusive_scanILN6hipcub18BlockScanAlgorithmE1EEdLj64ELj16ELj100EEvPKT0_PS4_S4_.kd
    .uniform_work_group_size: 1
    .uses_dynamic_stack: false
    .vgpr_count:     49
    .vgpr_spill_count: 0
    .wavefront_size: 64
  - .args:
      - .address_space:  global
        .offset:         0
        .size:           8
        .value_kind:     global_buffer
      - .address_space:  global
        .offset:         8
        .size:           8
        .value_kind:     global_buffer
      - .offset:         16
        .size:           1
        .value_kind:     by_value
      - .offset:         24
        .size:           4
        .value_kind:     hidden_block_count_x
      - .offset:         28
        .size:           4
        .value_kind:     hidden_block_count_y
      - .offset:         32
        .size:           4
        .value_kind:     hidden_block_count_z
      - .offset:         36
        .size:           2
        .value_kind:     hidden_group_size_x
      - .offset:         38
        .size:           2
        .value_kind:     hidden_group_size_y
      - .offset:         40
        .size:           2
        .value_kind:     hidden_group_size_z
      - .offset:         42
        .size:           2
        .value_kind:     hidden_remainder_x
      - .offset:         44
        .size:           2
        .value_kind:     hidden_remainder_y
      - .offset:         46
        .size:           2
        .value_kind:     hidden_remainder_z
      - .offset:         64
        .size:           8
        .value_kind:     hidden_global_offset_x
      - .offset:         72
        .size:           8
        .value_kind:     hidden_global_offset_y
      - .offset:         80
        .size:           8
        .value_kind:     hidden_global_offset_z
      - .offset:         88
        .size:           2
        .value_kind:     hidden_grid_dims
    .group_segment_fixed_size: 1
    .kernarg_segment_align: 8
    .kernarg_segment_size: 280
    .language:       OpenCL C
    .language_version:
      - 2
      - 0
    .max_flat_workgroup_size: 64
    .name:           _Z6kernelI14exclusive_scanILN6hipcub18BlockScanAlgorithmE1EEhLj64ELj1ELj100EEvPKT0_PS4_S4_
    .private_segment_fixed_size: 0
    .sgpr_count:     25
    .sgpr_spill_count: 0
    .symbol:         _Z6kernelI14exclusive_scanILN6hipcub18BlockScanAlgorithmE1EEhLj64ELj1ELj100EEvPKT0_PS4_S4_.kd
    .uniform_work_group_size: 1
    .uses_dynamic_stack: false
    .vgpr_count:     6
    .vgpr_spill_count: 0
    .wavefront_size: 64
  - .args:
      - .address_space:  global
        .offset:         0
        .size:           8
        .value_kind:     global_buffer
      - .address_space:  global
        .offset:         8
        .size:           8
        .value_kind:     global_buffer
      - .offset:         16
        .size:           1
        .value_kind:     by_value
      - .offset:         24
        .size:           4
        .value_kind:     hidden_block_count_x
      - .offset:         28
        .size:           4
        .value_kind:     hidden_block_count_y
      - .offset:         32
        .size:           4
        .value_kind:     hidden_block_count_z
      - .offset:         36
        .size:           2
        .value_kind:     hidden_group_size_x
      - .offset:         38
        .size:           2
        .value_kind:     hidden_group_size_y
      - .offset:         40
        .size:           2
        .value_kind:     hidden_group_size_z
      - .offset:         42
        .size:           2
        .value_kind:     hidden_remainder_x
      - .offset:         44
        .size:           2
        .value_kind:     hidden_remainder_y
      - .offset:         46
        .size:           2
        .value_kind:     hidden_remainder_z
      - .offset:         64
        .size:           8
        .value_kind:     hidden_global_offset_x
      - .offset:         72
        .size:           8
        .value_kind:     hidden_global_offset_y
      - .offset:         80
        .size:           8
        .value_kind:     hidden_global_offset_z
      - .offset:         88
        .size:           2
        .value_kind:     hidden_grid_dims
    .group_segment_fixed_size: 1
    .kernarg_segment_align: 8
    .kernarg_segment_size: 280
    .language:       OpenCL C
    .language_version:
      - 2
      - 0
    .max_flat_workgroup_size: 64
    .name:           _Z6kernelI14exclusive_scanILN6hipcub18BlockScanAlgorithmE1EEhLj64ELj3ELj100EEvPKT0_PS4_S4_
    .private_segment_fixed_size: 0
    .sgpr_count:     25
    .sgpr_spill_count: 0
    .symbol:         _Z6kernelI14exclusive_scanILN6hipcub18BlockScanAlgorithmE1EEhLj64ELj3ELj100EEvPKT0_PS4_S4_.kd
    .uniform_work_group_size: 1
    .uses_dynamic_stack: false
    .vgpr_count:     11
    .vgpr_spill_count: 0
    .wavefront_size: 64
  - .args:
      - .address_space:  global
        .offset:         0
        .size:           8
        .value_kind:     global_buffer
      - .address_space:  global
        .offset:         8
        .size:           8
        .value_kind:     global_buffer
      - .offset:         16
        .size:           1
        .value_kind:     by_value
      - .offset:         24
        .size:           4
        .value_kind:     hidden_block_count_x
      - .offset:         28
        .size:           4
        .value_kind:     hidden_block_count_y
      - .offset:         32
        .size:           4
        .value_kind:     hidden_block_count_z
      - .offset:         36
        .size:           2
        .value_kind:     hidden_group_size_x
      - .offset:         38
        .size:           2
        .value_kind:     hidden_group_size_y
      - .offset:         40
        .size:           2
        .value_kind:     hidden_group_size_z
      - .offset:         42
        .size:           2
        .value_kind:     hidden_remainder_x
      - .offset:         44
        .size:           2
        .value_kind:     hidden_remainder_y
      - .offset:         46
        .size:           2
        .value_kind:     hidden_remainder_z
      - .offset:         64
        .size:           8
        .value_kind:     hidden_global_offset_x
      - .offset:         72
        .size:           8
        .value_kind:     hidden_global_offset_y
      - .offset:         80
        .size:           8
        .value_kind:     hidden_global_offset_z
      - .offset:         88
        .size:           2
        .value_kind:     hidden_grid_dims
    .group_segment_fixed_size: 1
    .kernarg_segment_align: 8
    .kernarg_segment_size: 280
    .language:       OpenCL C
    .language_version:
      - 2
      - 0
    .max_flat_workgroup_size: 64
    .name:           _Z6kernelI14exclusive_scanILN6hipcub18BlockScanAlgorithmE1EEhLj64ELj4ELj100EEvPKT0_PS4_S4_
    .private_segment_fixed_size: 0
    .sgpr_count:     25
    .sgpr_spill_count: 0
    .symbol:         _Z6kernelI14exclusive_scanILN6hipcub18BlockScanAlgorithmE1EEhLj64ELj4ELj100EEvPKT0_PS4_S4_.kd
    .uniform_work_group_size: 1
    .uses_dynamic_stack: false
    .vgpr_count:     10
    .vgpr_spill_count: 0
    .wavefront_size: 64
  - .args:
      - .address_space:  global
        .offset:         0
        .size:           8
        .value_kind:     global_buffer
      - .address_space:  global
        .offset:         8
        .size:           8
        .value_kind:     global_buffer
      - .offset:         16
        .size:           1
        .value_kind:     by_value
      - .offset:         24
        .size:           4
        .value_kind:     hidden_block_count_x
      - .offset:         28
        .size:           4
        .value_kind:     hidden_block_count_y
      - .offset:         32
        .size:           4
        .value_kind:     hidden_block_count_z
      - .offset:         36
        .size:           2
        .value_kind:     hidden_group_size_x
      - .offset:         38
        .size:           2
        .value_kind:     hidden_group_size_y
      - .offset:         40
        .size:           2
        .value_kind:     hidden_group_size_z
      - .offset:         42
        .size:           2
        .value_kind:     hidden_remainder_x
      - .offset:         44
        .size:           2
        .value_kind:     hidden_remainder_y
      - .offset:         46
        .size:           2
        .value_kind:     hidden_remainder_z
      - .offset:         64
        .size:           8
        .value_kind:     hidden_global_offset_x
      - .offset:         72
        .size:           8
        .value_kind:     hidden_global_offset_y
      - .offset:         80
        .size:           8
        .value_kind:     hidden_global_offset_z
      - .offset:         88
        .size:           2
        .value_kind:     hidden_grid_dims
    .group_segment_fixed_size: 1
    .kernarg_segment_align: 8
    .kernarg_segment_size: 280
    .language:       OpenCL C
    .language_version:
      - 2
      - 0
    .max_flat_workgroup_size: 64
    .name:           _Z6kernelI14exclusive_scanILN6hipcub18BlockScanAlgorithmE1EEhLj64ELj8ELj100EEvPKT0_PS4_S4_
    .private_segment_fixed_size: 0
    .sgpr_count:     25
    .sgpr_spill_count: 0
    .symbol:         _Z6kernelI14exclusive_scanILN6hipcub18BlockScanAlgorithmE1EEhLj64ELj8ELj100EEvPKT0_PS4_S4_.kd
    .uniform_work_group_size: 1
    .uses_dynamic_stack: false
    .vgpr_count:     14
    .vgpr_spill_count: 0
    .wavefront_size: 64
  - .args:
      - .address_space:  global
        .offset:         0
        .size:           8
        .value_kind:     global_buffer
      - .address_space:  global
        .offset:         8
        .size:           8
        .value_kind:     global_buffer
      - .offset:         16
        .size:           1
        .value_kind:     by_value
      - .offset:         24
        .size:           4
        .value_kind:     hidden_block_count_x
      - .offset:         28
        .size:           4
        .value_kind:     hidden_block_count_y
      - .offset:         32
        .size:           4
        .value_kind:     hidden_block_count_z
      - .offset:         36
        .size:           2
        .value_kind:     hidden_group_size_x
      - .offset:         38
        .size:           2
        .value_kind:     hidden_group_size_y
      - .offset:         40
        .size:           2
        .value_kind:     hidden_group_size_z
      - .offset:         42
        .size:           2
        .value_kind:     hidden_remainder_x
      - .offset:         44
        .size:           2
        .value_kind:     hidden_remainder_y
      - .offset:         46
        .size:           2
        .value_kind:     hidden_remainder_z
      - .offset:         64
        .size:           8
        .value_kind:     hidden_global_offset_x
      - .offset:         72
        .size:           8
        .value_kind:     hidden_global_offset_y
      - .offset:         80
        .size:           8
        .value_kind:     hidden_global_offset_z
      - .offset:         88
        .size:           2
        .value_kind:     hidden_grid_dims
    .group_segment_fixed_size: 1
    .kernarg_segment_align: 8
    .kernarg_segment_size: 280
    .language:       OpenCL C
    .language_version:
      - 2
      - 0
    .max_flat_workgroup_size: 64
    .name:           _Z6kernelI14exclusive_scanILN6hipcub18BlockScanAlgorithmE1EEhLj64ELj11ELj100EEvPKT0_PS4_S4_
    .private_segment_fixed_size: 0
    .sgpr_count:     28
    .sgpr_spill_count: 0
    .symbol:         _Z6kernelI14exclusive_scanILN6hipcub18BlockScanAlgorithmE1EEhLj64ELj11ELj100EEvPKT0_PS4_S4_.kd
    .uniform_work_group_size: 1
    .uses_dynamic_stack: false
    .vgpr_count:     28
    .vgpr_spill_count: 0
    .wavefront_size: 64
  - .args:
      - .address_space:  global
        .offset:         0
        .size:           8
        .value_kind:     global_buffer
      - .address_space:  global
        .offset:         8
        .size:           8
        .value_kind:     global_buffer
      - .offset:         16
        .size:           1
        .value_kind:     by_value
      - .offset:         24
        .size:           4
        .value_kind:     hidden_block_count_x
      - .offset:         28
        .size:           4
        .value_kind:     hidden_block_count_y
      - .offset:         32
        .size:           4
        .value_kind:     hidden_block_count_z
      - .offset:         36
        .size:           2
        .value_kind:     hidden_group_size_x
      - .offset:         38
        .size:           2
        .value_kind:     hidden_group_size_y
      - .offset:         40
        .size:           2
        .value_kind:     hidden_group_size_z
      - .offset:         42
        .size:           2
        .value_kind:     hidden_remainder_x
      - .offset:         44
        .size:           2
        .value_kind:     hidden_remainder_y
      - .offset:         46
        .size:           2
        .value_kind:     hidden_remainder_z
      - .offset:         64
        .size:           8
        .value_kind:     hidden_global_offset_x
      - .offset:         72
        .size:           8
        .value_kind:     hidden_global_offset_y
      - .offset:         80
        .size:           8
        .value_kind:     hidden_global_offset_z
      - .offset:         88
        .size:           2
        .value_kind:     hidden_grid_dims
    .group_segment_fixed_size: 1
    .kernarg_segment_align: 8
    .kernarg_segment_size: 280
    .language:       OpenCL C
    .language_version:
      - 2
      - 0
    .max_flat_workgroup_size: 64
    .name:           _Z6kernelI14exclusive_scanILN6hipcub18BlockScanAlgorithmE1EEhLj64ELj16ELj100EEvPKT0_PS4_S4_
    .private_segment_fixed_size: 0
    .sgpr_count:     25
    .sgpr_spill_count: 0
    .symbol:         _Z6kernelI14exclusive_scanILN6hipcub18BlockScanAlgorithmE1EEhLj64ELj16ELj100EEvPKT0_PS4_S4_.kd
    .uniform_work_group_size: 1
    .uses_dynamic_stack: false
    .vgpr_count:     23
    .vgpr_spill_count: 0
    .wavefront_size: 64
  - .args:
      - .address_space:  global
        .offset:         0
        .size:           8
        .value_kind:     global_buffer
      - .address_space:  global
        .offset:         8
        .size:           8
        .value_kind:     global_buffer
      - .offset:         16
        .size:           4
        .value_kind:     by_value
      - .offset:         24
        .size:           4
        .value_kind:     hidden_block_count_x
      - .offset:         28
        .size:           4
        .value_kind:     hidden_block_count_y
      - .offset:         32
        .size:           4
        .value_kind:     hidden_block_count_z
      - .offset:         36
        .size:           2
        .value_kind:     hidden_group_size_x
      - .offset:         38
        .size:           2
        .value_kind:     hidden_group_size_y
      - .offset:         40
        .size:           2
        .value_kind:     hidden_group_size_z
      - .offset:         42
        .size:           2
        .value_kind:     hidden_remainder_x
      - .offset:         44
        .size:           2
        .value_kind:     hidden_remainder_y
      - .offset:         46
        .size:           2
        .value_kind:     hidden_remainder_z
      - .offset:         64
        .size:           8
        .value_kind:     hidden_global_offset_x
      - .offset:         72
        .size:           8
        .value_kind:     hidden_global_offset_y
      - .offset:         80
        .size:           8
        .value_kind:     hidden_global_offset_z
      - .offset:         88
        .size:           2
        .value_kind:     hidden_grid_dims
    .group_segment_fixed_size: 1056
    .kernarg_segment_align: 8
    .kernarg_segment_size: 280
    .language:       OpenCL C
    .language_version:
      - 2
      - 0
    .max_flat_workgroup_size: 256
    .name:           _Z6kernelI14exclusive_scanILN6hipcub18BlockScanAlgorithmE1EEiLj256ELj1ELj100EEvPKT0_PS4_S4_
    .private_segment_fixed_size: 0
    .sgpr_count:     17
    .sgpr_spill_count: 0
    .symbol:         _Z6kernelI14exclusive_scanILN6hipcub18BlockScanAlgorithmE1EEiLj256ELj1ELj100EEvPKT0_PS4_S4_.kd
    .uniform_work_group_size: 1
    .uses_dynamic_stack: false
    .vgpr_count:     17
    .vgpr_spill_count: 0
    .wavefront_size: 64
  - .args:
      - .address_space:  global
        .offset:         0
        .size:           8
        .value_kind:     global_buffer
      - .address_space:  global
        .offset:         8
        .size:           8
        .value_kind:     global_buffer
      - .offset:         16
        .size:           4
        .value_kind:     by_value
      - .offset:         24
        .size:           4
        .value_kind:     hidden_block_count_x
      - .offset:         28
        .size:           4
        .value_kind:     hidden_block_count_y
      - .offset:         32
        .size:           4
        .value_kind:     hidden_block_count_z
      - .offset:         36
        .size:           2
        .value_kind:     hidden_group_size_x
      - .offset:         38
        .size:           2
        .value_kind:     hidden_group_size_y
      - .offset:         40
        .size:           2
        .value_kind:     hidden_group_size_z
      - .offset:         42
        .size:           2
        .value_kind:     hidden_remainder_x
      - .offset:         44
        .size:           2
        .value_kind:     hidden_remainder_y
      - .offset:         46
        .size:           2
        .value_kind:     hidden_remainder_z
      - .offset:         64
        .size:           8
        .value_kind:     hidden_global_offset_x
      - .offset:         72
        .size:           8
        .value_kind:     hidden_global_offset_y
      - .offset:         80
        .size:           8
        .value_kind:     hidden_global_offset_z
      - .offset:         88
        .size:           2
        .value_kind:     hidden_grid_dims
    .group_segment_fixed_size: 1056
    .kernarg_segment_align: 8
    .kernarg_segment_size: 280
    .language:       OpenCL C
    .language_version:
      - 2
      - 0
    .max_flat_workgroup_size: 256
    .name:           _Z6kernelI14exclusive_scanILN6hipcub18BlockScanAlgorithmE1EEiLj256ELj3ELj100EEvPKT0_PS4_S4_
    .private_segment_fixed_size: 0
    .sgpr_count:     17
    .sgpr_spill_count: 0
    .symbol:         _Z6kernelI14exclusive_scanILN6hipcub18BlockScanAlgorithmE1EEiLj256ELj3ELj100EEvPKT0_PS4_S4_.kd
    .uniform_work_group_size: 1
    .uses_dynamic_stack: false
    .vgpr_count:     20
    .vgpr_spill_count: 0
    .wavefront_size: 64
  - .args:
      - .address_space:  global
        .offset:         0
        .size:           8
        .value_kind:     global_buffer
      - .address_space:  global
        .offset:         8
        .size:           8
        .value_kind:     global_buffer
      - .offset:         16
        .size:           4
        .value_kind:     by_value
      - .offset:         24
        .size:           4
        .value_kind:     hidden_block_count_x
      - .offset:         28
        .size:           4
        .value_kind:     hidden_block_count_y
      - .offset:         32
        .size:           4
        .value_kind:     hidden_block_count_z
      - .offset:         36
        .size:           2
        .value_kind:     hidden_group_size_x
      - .offset:         38
        .size:           2
        .value_kind:     hidden_group_size_y
      - .offset:         40
        .size:           2
        .value_kind:     hidden_group_size_z
      - .offset:         42
        .size:           2
        .value_kind:     hidden_remainder_x
      - .offset:         44
        .size:           2
        .value_kind:     hidden_remainder_y
      - .offset:         46
        .size:           2
        .value_kind:     hidden_remainder_z
      - .offset:         64
        .size:           8
        .value_kind:     hidden_global_offset_x
      - .offset:         72
        .size:           8
        .value_kind:     hidden_global_offset_y
      - .offset:         80
        .size:           8
        .value_kind:     hidden_global_offset_z
      - .offset:         88
        .size:           2
        .value_kind:     hidden_grid_dims
    .group_segment_fixed_size: 1056
    .kernarg_segment_align: 8
    .kernarg_segment_size: 280
    .language:       OpenCL C
    .language_version:
      - 2
      - 0
    .max_flat_workgroup_size: 256
    .name:           _Z6kernelI14exclusive_scanILN6hipcub18BlockScanAlgorithmE1EEiLj256ELj4ELj100EEvPKT0_PS4_S4_
    .private_segment_fixed_size: 0
    .sgpr_count:     17
    .sgpr_spill_count: 0
    .symbol:         _Z6kernelI14exclusive_scanILN6hipcub18BlockScanAlgorithmE1EEiLj256ELj4ELj100EEvPKT0_PS4_S4_.kd
    .uniform_work_group_size: 1
    .uses_dynamic_stack: false
    .vgpr_count:     17
    .vgpr_spill_count: 0
    .wavefront_size: 64
  - .args:
      - .address_space:  global
        .offset:         0
        .size:           8
        .value_kind:     global_buffer
      - .address_space:  global
        .offset:         8
        .size:           8
        .value_kind:     global_buffer
      - .offset:         16
        .size:           4
        .value_kind:     by_value
      - .offset:         24
        .size:           4
        .value_kind:     hidden_block_count_x
      - .offset:         28
        .size:           4
        .value_kind:     hidden_block_count_y
      - .offset:         32
        .size:           4
        .value_kind:     hidden_block_count_z
      - .offset:         36
        .size:           2
        .value_kind:     hidden_group_size_x
      - .offset:         38
        .size:           2
        .value_kind:     hidden_group_size_y
      - .offset:         40
        .size:           2
        .value_kind:     hidden_group_size_z
      - .offset:         42
        .size:           2
        .value_kind:     hidden_remainder_x
      - .offset:         44
        .size:           2
        .value_kind:     hidden_remainder_y
      - .offset:         46
        .size:           2
        .value_kind:     hidden_remainder_z
      - .offset:         64
        .size:           8
        .value_kind:     hidden_global_offset_x
      - .offset:         72
        .size:           8
        .value_kind:     hidden_global_offset_y
      - .offset:         80
        .size:           8
        .value_kind:     hidden_global_offset_z
      - .offset:         88
        .size:           2
        .value_kind:     hidden_grid_dims
    .group_segment_fixed_size: 1056
    .kernarg_segment_align: 8
    .kernarg_segment_size: 280
    .language:       OpenCL C
    .language_version:
      - 2
      - 0
    .max_flat_workgroup_size: 256
    .name:           _Z6kernelI14exclusive_scanILN6hipcub18BlockScanAlgorithmE1EEiLj256ELj8ELj100EEvPKT0_PS4_S4_
    .private_segment_fixed_size: 0
    .sgpr_count:     17
    .sgpr_spill_count: 0
    .symbol:         _Z6kernelI14exclusive_scanILN6hipcub18BlockScanAlgorithmE1EEiLj256ELj8ELj100EEvPKT0_PS4_S4_.kd
    .uniform_work_group_size: 1
    .uses_dynamic_stack: false
    .vgpr_count:     21
    .vgpr_spill_count: 0
    .wavefront_size: 64
  - .args:
      - .address_space:  global
        .offset:         0
        .size:           8
        .value_kind:     global_buffer
      - .address_space:  global
        .offset:         8
        .size:           8
        .value_kind:     global_buffer
      - .offset:         16
        .size:           4
        .value_kind:     by_value
      - .offset:         24
        .size:           4
        .value_kind:     hidden_block_count_x
      - .offset:         28
        .size:           4
        .value_kind:     hidden_block_count_y
      - .offset:         32
        .size:           4
        .value_kind:     hidden_block_count_z
      - .offset:         36
        .size:           2
        .value_kind:     hidden_group_size_x
      - .offset:         38
        .size:           2
        .value_kind:     hidden_group_size_y
      - .offset:         40
        .size:           2
        .value_kind:     hidden_group_size_z
      - .offset:         42
        .size:           2
        .value_kind:     hidden_remainder_x
      - .offset:         44
        .size:           2
        .value_kind:     hidden_remainder_y
      - .offset:         46
        .size:           2
        .value_kind:     hidden_remainder_z
      - .offset:         64
        .size:           8
        .value_kind:     hidden_global_offset_x
      - .offset:         72
        .size:           8
        .value_kind:     hidden_global_offset_y
      - .offset:         80
        .size:           8
        .value_kind:     hidden_global_offset_z
      - .offset:         88
        .size:           2
        .value_kind:     hidden_grid_dims
    .group_segment_fixed_size: 1056
    .kernarg_segment_align: 8
    .kernarg_segment_size: 280
    .language:       OpenCL C
    .language_version:
      - 2
      - 0
    .max_flat_workgroup_size: 256
    .name:           _Z6kernelI14exclusive_scanILN6hipcub18BlockScanAlgorithmE1EEiLj256ELj11ELj100EEvPKT0_PS4_S4_
    .private_segment_fixed_size: 0
    .sgpr_count:     18
    .sgpr_spill_count: 0
    .symbol:         _Z6kernelI14exclusive_scanILN6hipcub18BlockScanAlgorithmE1EEiLj256ELj11ELj100EEvPKT0_PS4_S4_.kd
    .uniform_work_group_size: 1
    .uses_dynamic_stack: false
    .vgpr_count:     44
    .vgpr_spill_count: 0
    .wavefront_size: 64
  - .args:
      - .address_space:  global
        .offset:         0
        .size:           8
        .value_kind:     global_buffer
      - .address_space:  global
        .offset:         8
        .size:           8
        .value_kind:     global_buffer
      - .offset:         16
        .size:           4
        .value_kind:     by_value
      - .offset:         24
        .size:           4
        .value_kind:     hidden_block_count_x
      - .offset:         28
        .size:           4
        .value_kind:     hidden_block_count_y
      - .offset:         32
        .size:           4
        .value_kind:     hidden_block_count_z
      - .offset:         36
        .size:           2
        .value_kind:     hidden_group_size_x
      - .offset:         38
        .size:           2
        .value_kind:     hidden_group_size_y
      - .offset:         40
        .size:           2
        .value_kind:     hidden_group_size_z
      - .offset:         42
        .size:           2
        .value_kind:     hidden_remainder_x
      - .offset:         44
        .size:           2
        .value_kind:     hidden_remainder_y
      - .offset:         46
        .size:           2
        .value_kind:     hidden_remainder_z
      - .offset:         64
        .size:           8
        .value_kind:     hidden_global_offset_x
      - .offset:         72
        .size:           8
        .value_kind:     hidden_global_offset_y
      - .offset:         80
        .size:           8
        .value_kind:     hidden_global_offset_z
      - .offset:         88
        .size:           2
        .value_kind:     hidden_grid_dims
    .group_segment_fixed_size: 1056
    .kernarg_segment_align: 8
    .kernarg_segment_size: 280
    .language:       OpenCL C
    .language_version:
      - 2
      - 0
    .max_flat_workgroup_size: 256
    .name:           _Z6kernelI14exclusive_scanILN6hipcub18BlockScanAlgorithmE1EEiLj256ELj16ELj100EEvPKT0_PS4_S4_
    .private_segment_fixed_size: 0
    .sgpr_count:     18
    .sgpr_spill_count: 0
    .symbol:         _Z6kernelI14exclusive_scanILN6hipcub18BlockScanAlgorithmE1EEiLj256ELj16ELj100EEvPKT0_PS4_S4_.kd
    .uniform_work_group_size: 1
    .uses_dynamic_stack: false
    .vgpr_count:     29
    .vgpr_spill_count: 0
    .wavefront_size: 64
  - .args:
      - .address_space:  global
        .offset:         0
        .size:           8
        .value_kind:     global_buffer
      - .address_space:  global
        .offset:         8
        .size:           8
        .value_kind:     global_buffer
      - .offset:         16
        .size:           4
        .value_kind:     by_value
      - .offset:         24
        .size:           4
        .value_kind:     hidden_block_count_x
      - .offset:         28
        .size:           4
        .value_kind:     hidden_block_count_y
      - .offset:         32
        .size:           4
        .value_kind:     hidden_block_count_z
      - .offset:         36
        .size:           2
        .value_kind:     hidden_group_size_x
      - .offset:         38
        .size:           2
        .value_kind:     hidden_group_size_y
      - .offset:         40
        .size:           2
        .value_kind:     hidden_group_size_z
      - .offset:         42
        .size:           2
        .value_kind:     hidden_remainder_x
      - .offset:         44
        .size:           2
        .value_kind:     hidden_remainder_y
      - .offset:         46
        .size:           2
        .value_kind:     hidden_remainder_z
      - .offset:         64
        .size:           8
        .value_kind:     hidden_global_offset_x
      - .offset:         72
        .size:           8
        .value_kind:     hidden_global_offset_y
      - .offset:         80
        .size:           8
        .value_kind:     hidden_global_offset_z
      - .offset:         88
        .size:           2
        .value_kind:     hidden_grid_dims
    .group_segment_fixed_size: 1056
    .kernarg_segment_align: 8
    .kernarg_segment_size: 280
    .language:       OpenCL C
    .language_version:
      - 2
      - 0
    .max_flat_workgroup_size: 256
    .name:           _Z6kernelI14exclusive_scanILN6hipcub18BlockScanAlgorithmE1EEfLj256ELj1ELj100EEvPKT0_PS4_S4_
    .private_segment_fixed_size: 0
    .sgpr_count:     17
    .sgpr_spill_count: 0
    .symbol:         _Z6kernelI14exclusive_scanILN6hipcub18BlockScanAlgorithmE1EEfLj256ELj1ELj100EEvPKT0_PS4_S4_.kd
    .uniform_work_group_size: 1
    .uses_dynamic_stack: false
    .vgpr_count:     17
    .vgpr_spill_count: 0
    .wavefront_size: 64
  - .args:
      - .address_space:  global
        .offset:         0
        .size:           8
        .value_kind:     global_buffer
      - .address_space:  global
        .offset:         8
        .size:           8
        .value_kind:     global_buffer
      - .offset:         16
        .size:           4
        .value_kind:     by_value
      - .offset:         24
        .size:           4
        .value_kind:     hidden_block_count_x
      - .offset:         28
        .size:           4
        .value_kind:     hidden_block_count_y
      - .offset:         32
        .size:           4
        .value_kind:     hidden_block_count_z
      - .offset:         36
        .size:           2
        .value_kind:     hidden_group_size_x
      - .offset:         38
        .size:           2
        .value_kind:     hidden_group_size_y
      - .offset:         40
        .size:           2
        .value_kind:     hidden_group_size_z
      - .offset:         42
        .size:           2
        .value_kind:     hidden_remainder_x
      - .offset:         44
        .size:           2
        .value_kind:     hidden_remainder_y
      - .offset:         46
        .size:           2
        .value_kind:     hidden_remainder_z
      - .offset:         64
        .size:           8
        .value_kind:     hidden_global_offset_x
      - .offset:         72
        .size:           8
        .value_kind:     hidden_global_offset_y
      - .offset:         80
        .size:           8
        .value_kind:     hidden_global_offset_z
      - .offset:         88
        .size:           2
        .value_kind:     hidden_grid_dims
    .group_segment_fixed_size: 1056
    .kernarg_segment_align: 8
    .kernarg_segment_size: 280
    .language:       OpenCL C
    .language_version:
      - 2
      - 0
    .max_flat_workgroup_size: 256
    .name:           _Z6kernelI14exclusive_scanILN6hipcub18BlockScanAlgorithmE1EEfLj256ELj3ELj100EEvPKT0_PS4_S4_
    .private_segment_fixed_size: 0
    .sgpr_count:     17
    .sgpr_spill_count: 0
    .symbol:         _Z6kernelI14exclusive_scanILN6hipcub18BlockScanAlgorithmE1EEfLj256ELj3ELj100EEvPKT0_PS4_S4_.kd
    .uniform_work_group_size: 1
    .uses_dynamic_stack: false
    .vgpr_count:     20
    .vgpr_spill_count: 0
    .wavefront_size: 64
  - .args:
      - .address_space:  global
        .offset:         0
        .size:           8
        .value_kind:     global_buffer
      - .address_space:  global
        .offset:         8
        .size:           8
        .value_kind:     global_buffer
      - .offset:         16
        .size:           4
        .value_kind:     by_value
      - .offset:         24
        .size:           4
        .value_kind:     hidden_block_count_x
      - .offset:         28
        .size:           4
        .value_kind:     hidden_block_count_y
      - .offset:         32
        .size:           4
        .value_kind:     hidden_block_count_z
      - .offset:         36
        .size:           2
        .value_kind:     hidden_group_size_x
      - .offset:         38
        .size:           2
        .value_kind:     hidden_group_size_y
      - .offset:         40
        .size:           2
        .value_kind:     hidden_group_size_z
      - .offset:         42
        .size:           2
        .value_kind:     hidden_remainder_x
      - .offset:         44
        .size:           2
        .value_kind:     hidden_remainder_y
      - .offset:         46
        .size:           2
        .value_kind:     hidden_remainder_z
      - .offset:         64
        .size:           8
        .value_kind:     hidden_global_offset_x
      - .offset:         72
        .size:           8
        .value_kind:     hidden_global_offset_y
      - .offset:         80
        .size:           8
        .value_kind:     hidden_global_offset_z
      - .offset:         88
        .size:           2
        .value_kind:     hidden_grid_dims
    .group_segment_fixed_size: 1056
    .kernarg_segment_align: 8
    .kernarg_segment_size: 280
    .language:       OpenCL C
    .language_version:
      - 2
      - 0
    .max_flat_workgroup_size: 256
    .name:           _Z6kernelI14exclusive_scanILN6hipcub18BlockScanAlgorithmE1EEfLj256ELj4ELj100EEvPKT0_PS4_S4_
    .private_segment_fixed_size: 0
    .sgpr_count:     17
    .sgpr_spill_count: 0
    .symbol:         _Z6kernelI14exclusive_scanILN6hipcub18BlockScanAlgorithmE1EEfLj256ELj4ELj100EEvPKT0_PS4_S4_.kd
    .uniform_work_group_size: 1
    .uses_dynamic_stack: false
    .vgpr_count:     17
    .vgpr_spill_count: 0
    .wavefront_size: 64
  - .args:
      - .address_space:  global
        .offset:         0
        .size:           8
        .value_kind:     global_buffer
      - .address_space:  global
        .offset:         8
        .size:           8
        .value_kind:     global_buffer
      - .offset:         16
        .size:           4
        .value_kind:     by_value
      - .offset:         24
        .size:           4
        .value_kind:     hidden_block_count_x
      - .offset:         28
        .size:           4
        .value_kind:     hidden_block_count_y
      - .offset:         32
        .size:           4
        .value_kind:     hidden_block_count_z
      - .offset:         36
        .size:           2
        .value_kind:     hidden_group_size_x
      - .offset:         38
        .size:           2
        .value_kind:     hidden_group_size_y
      - .offset:         40
        .size:           2
        .value_kind:     hidden_group_size_z
      - .offset:         42
        .size:           2
        .value_kind:     hidden_remainder_x
      - .offset:         44
        .size:           2
        .value_kind:     hidden_remainder_y
      - .offset:         46
        .size:           2
        .value_kind:     hidden_remainder_z
      - .offset:         64
        .size:           8
        .value_kind:     hidden_global_offset_x
      - .offset:         72
        .size:           8
        .value_kind:     hidden_global_offset_y
      - .offset:         80
        .size:           8
        .value_kind:     hidden_global_offset_z
      - .offset:         88
        .size:           2
        .value_kind:     hidden_grid_dims
    .group_segment_fixed_size: 1056
    .kernarg_segment_align: 8
    .kernarg_segment_size: 280
    .language:       OpenCL C
    .language_version:
      - 2
      - 0
    .max_flat_workgroup_size: 256
    .name:           _Z6kernelI14exclusive_scanILN6hipcub18BlockScanAlgorithmE1EEfLj256ELj8ELj100EEvPKT0_PS4_S4_
    .private_segment_fixed_size: 0
    .sgpr_count:     17
    .sgpr_spill_count: 0
    .symbol:         _Z6kernelI14exclusive_scanILN6hipcub18BlockScanAlgorithmE1EEfLj256ELj8ELj100EEvPKT0_PS4_S4_.kd
    .uniform_work_group_size: 1
    .uses_dynamic_stack: false
    .vgpr_count:     21
    .vgpr_spill_count: 0
    .wavefront_size: 64
  - .args:
      - .address_space:  global
        .offset:         0
        .size:           8
        .value_kind:     global_buffer
      - .address_space:  global
        .offset:         8
        .size:           8
        .value_kind:     global_buffer
      - .offset:         16
        .size:           4
        .value_kind:     by_value
      - .offset:         24
        .size:           4
        .value_kind:     hidden_block_count_x
      - .offset:         28
        .size:           4
        .value_kind:     hidden_block_count_y
      - .offset:         32
        .size:           4
        .value_kind:     hidden_block_count_z
      - .offset:         36
        .size:           2
        .value_kind:     hidden_group_size_x
      - .offset:         38
        .size:           2
        .value_kind:     hidden_group_size_y
      - .offset:         40
        .size:           2
        .value_kind:     hidden_group_size_z
      - .offset:         42
        .size:           2
        .value_kind:     hidden_remainder_x
      - .offset:         44
        .size:           2
        .value_kind:     hidden_remainder_y
      - .offset:         46
        .size:           2
        .value_kind:     hidden_remainder_z
      - .offset:         64
        .size:           8
        .value_kind:     hidden_global_offset_x
      - .offset:         72
        .size:           8
        .value_kind:     hidden_global_offset_y
      - .offset:         80
        .size:           8
        .value_kind:     hidden_global_offset_z
      - .offset:         88
        .size:           2
        .value_kind:     hidden_grid_dims
    .group_segment_fixed_size: 1056
    .kernarg_segment_align: 8
    .kernarg_segment_size: 280
    .language:       OpenCL C
    .language_version:
      - 2
      - 0
    .max_flat_workgroup_size: 256
    .name:           _Z6kernelI14exclusive_scanILN6hipcub18BlockScanAlgorithmE1EEfLj256ELj11ELj100EEvPKT0_PS4_S4_
    .private_segment_fixed_size: 0
    .sgpr_count:     18
    .sgpr_spill_count: 0
    .symbol:         _Z6kernelI14exclusive_scanILN6hipcub18BlockScanAlgorithmE1EEfLj256ELj11ELj100EEvPKT0_PS4_S4_.kd
    .uniform_work_group_size: 1
    .uses_dynamic_stack: false
    .vgpr_count:     44
    .vgpr_spill_count: 0
    .wavefront_size: 64
  - .args:
      - .address_space:  global
        .offset:         0
        .size:           8
        .value_kind:     global_buffer
      - .address_space:  global
        .offset:         8
        .size:           8
        .value_kind:     global_buffer
      - .offset:         16
        .size:           4
        .value_kind:     by_value
      - .offset:         24
        .size:           4
        .value_kind:     hidden_block_count_x
      - .offset:         28
        .size:           4
        .value_kind:     hidden_block_count_y
      - .offset:         32
        .size:           4
        .value_kind:     hidden_block_count_z
      - .offset:         36
        .size:           2
        .value_kind:     hidden_group_size_x
      - .offset:         38
        .size:           2
        .value_kind:     hidden_group_size_y
      - .offset:         40
        .size:           2
        .value_kind:     hidden_group_size_z
      - .offset:         42
        .size:           2
        .value_kind:     hidden_remainder_x
      - .offset:         44
        .size:           2
        .value_kind:     hidden_remainder_y
      - .offset:         46
        .size:           2
        .value_kind:     hidden_remainder_z
      - .offset:         64
        .size:           8
        .value_kind:     hidden_global_offset_x
      - .offset:         72
        .size:           8
        .value_kind:     hidden_global_offset_y
      - .offset:         80
        .size:           8
        .value_kind:     hidden_global_offset_z
      - .offset:         88
        .size:           2
        .value_kind:     hidden_grid_dims
    .group_segment_fixed_size: 1056
    .kernarg_segment_align: 8
    .kernarg_segment_size: 280
    .language:       OpenCL C
    .language_version:
      - 2
      - 0
    .max_flat_workgroup_size: 256
    .name:           _Z6kernelI14exclusive_scanILN6hipcub18BlockScanAlgorithmE1EEfLj256ELj16ELj100EEvPKT0_PS4_S4_
    .private_segment_fixed_size: 0
    .sgpr_count:     18
    .sgpr_spill_count: 0
    .symbol:         _Z6kernelI14exclusive_scanILN6hipcub18BlockScanAlgorithmE1EEfLj256ELj16ELj100EEvPKT0_PS4_S4_.kd
    .uniform_work_group_size: 1
    .uses_dynamic_stack: false
    .vgpr_count:     29
    .vgpr_spill_count: 0
    .wavefront_size: 64
  - .args:
      - .address_space:  global
        .offset:         0
        .size:           8
        .value_kind:     global_buffer
      - .address_space:  global
        .offset:         8
        .size:           8
        .value_kind:     global_buffer
      - .offset:         16
        .size:           8
        .value_kind:     by_value
      - .offset:         24
        .size:           4
        .value_kind:     hidden_block_count_x
      - .offset:         28
        .size:           4
        .value_kind:     hidden_block_count_y
      - .offset:         32
        .size:           4
        .value_kind:     hidden_block_count_z
      - .offset:         36
        .size:           2
        .value_kind:     hidden_group_size_x
      - .offset:         38
        .size:           2
        .value_kind:     hidden_group_size_y
      - .offset:         40
        .size:           2
        .value_kind:     hidden_group_size_z
      - .offset:         42
        .size:           2
        .value_kind:     hidden_remainder_x
      - .offset:         44
        .size:           2
        .value_kind:     hidden_remainder_y
      - .offset:         46
        .size:           2
        .value_kind:     hidden_remainder_z
      - .offset:         64
        .size:           8
        .value_kind:     hidden_global_offset_x
      - .offset:         72
        .size:           8
        .value_kind:     hidden_global_offset_y
      - .offset:         80
        .size:           8
        .value_kind:     hidden_global_offset_z
      - .offset:         88
        .size:           2
        .value_kind:     hidden_grid_dims
    .group_segment_fixed_size: 2112
    .kernarg_segment_align: 8
    .kernarg_segment_size: 280
    .language:       OpenCL C
    .language_version:
      - 2
      - 0
    .max_flat_workgroup_size: 256
    .name:           _Z6kernelI14exclusive_scanILN6hipcub18BlockScanAlgorithmE1EEdLj256ELj1ELj100EEvPKT0_PS4_S4_
    .private_segment_fixed_size: 0
    .sgpr_count:     19
    .sgpr_spill_count: 0
    .symbol:         _Z6kernelI14exclusive_scanILN6hipcub18BlockScanAlgorithmE1EEdLj256ELj1ELj100EEvPKT0_PS4_S4_.kd
    .uniform_work_group_size: 1
    .uses_dynamic_stack: false
    .vgpr_count:     23
    .vgpr_spill_count: 0
    .wavefront_size: 64
  - .args:
      - .address_space:  global
        .offset:         0
        .size:           8
        .value_kind:     global_buffer
      - .address_space:  global
        .offset:         8
        .size:           8
        .value_kind:     global_buffer
      - .offset:         16
        .size:           8
        .value_kind:     by_value
      - .offset:         24
        .size:           4
        .value_kind:     hidden_block_count_x
      - .offset:         28
        .size:           4
        .value_kind:     hidden_block_count_y
      - .offset:         32
        .size:           4
        .value_kind:     hidden_block_count_z
      - .offset:         36
        .size:           2
        .value_kind:     hidden_group_size_x
      - .offset:         38
        .size:           2
        .value_kind:     hidden_group_size_y
      - .offset:         40
        .size:           2
        .value_kind:     hidden_group_size_z
      - .offset:         42
        .size:           2
        .value_kind:     hidden_remainder_x
      - .offset:         44
        .size:           2
        .value_kind:     hidden_remainder_y
      - .offset:         46
        .size:           2
        .value_kind:     hidden_remainder_z
      - .offset:         64
        .size:           8
        .value_kind:     hidden_global_offset_x
      - .offset:         72
        .size:           8
        .value_kind:     hidden_global_offset_y
      - .offset:         80
        .size:           8
        .value_kind:     hidden_global_offset_z
      - .offset:         88
        .size:           2
        .value_kind:     hidden_grid_dims
    .group_segment_fixed_size: 2112
    .kernarg_segment_align: 8
    .kernarg_segment_size: 280
    .language:       OpenCL C
    .language_version:
      - 2
      - 0
    .max_flat_workgroup_size: 256
    .name:           _Z6kernelI14exclusive_scanILN6hipcub18BlockScanAlgorithmE1EEdLj256ELj3ELj100EEvPKT0_PS4_S4_
    .private_segment_fixed_size: 0
    .sgpr_count:     19
    .sgpr_spill_count: 0
    .symbol:         _Z6kernelI14exclusive_scanILN6hipcub18BlockScanAlgorithmE1EEdLj256ELj3ELj100EEvPKT0_PS4_S4_.kd
    .uniform_work_group_size: 1
    .uses_dynamic_stack: false
    .vgpr_count:     30
    .vgpr_spill_count: 0
    .wavefront_size: 64
  - .args:
      - .address_space:  global
        .offset:         0
        .size:           8
        .value_kind:     global_buffer
      - .address_space:  global
        .offset:         8
        .size:           8
        .value_kind:     global_buffer
      - .offset:         16
        .size:           8
        .value_kind:     by_value
      - .offset:         24
        .size:           4
        .value_kind:     hidden_block_count_x
      - .offset:         28
        .size:           4
        .value_kind:     hidden_block_count_y
      - .offset:         32
        .size:           4
        .value_kind:     hidden_block_count_z
      - .offset:         36
        .size:           2
        .value_kind:     hidden_group_size_x
      - .offset:         38
        .size:           2
        .value_kind:     hidden_group_size_y
      - .offset:         40
        .size:           2
        .value_kind:     hidden_group_size_z
      - .offset:         42
        .size:           2
        .value_kind:     hidden_remainder_x
      - .offset:         44
        .size:           2
        .value_kind:     hidden_remainder_y
      - .offset:         46
        .size:           2
        .value_kind:     hidden_remainder_z
      - .offset:         64
        .size:           8
        .value_kind:     hidden_global_offset_x
      - .offset:         72
        .size:           8
        .value_kind:     hidden_global_offset_y
      - .offset:         80
        .size:           8
        .value_kind:     hidden_global_offset_z
      - .offset:         88
        .size:           2
        .value_kind:     hidden_grid_dims
    .group_segment_fixed_size: 2112
    .kernarg_segment_align: 8
    .kernarg_segment_size: 280
    .language:       OpenCL C
    .language_version:
      - 2
      - 0
    .max_flat_workgroup_size: 256
    .name:           _Z6kernelI14exclusive_scanILN6hipcub18BlockScanAlgorithmE1EEdLj256ELj4ELj100EEvPKT0_PS4_S4_
    .private_segment_fixed_size: 0
    .sgpr_count:     19
    .sgpr_spill_count: 0
    .symbol:         _Z6kernelI14exclusive_scanILN6hipcub18BlockScanAlgorithmE1EEdLj256ELj4ELj100EEvPKT0_PS4_S4_.kd
    .uniform_work_group_size: 1
    .uses_dynamic_stack: false
    .vgpr_count:     28
    .vgpr_spill_count: 0
    .wavefront_size: 64
  - .args:
      - .address_space:  global
        .offset:         0
        .size:           8
        .value_kind:     global_buffer
      - .address_space:  global
        .offset:         8
        .size:           8
        .value_kind:     global_buffer
      - .offset:         16
        .size:           8
        .value_kind:     by_value
      - .offset:         24
        .size:           4
        .value_kind:     hidden_block_count_x
      - .offset:         28
        .size:           4
        .value_kind:     hidden_block_count_y
      - .offset:         32
        .size:           4
        .value_kind:     hidden_block_count_z
      - .offset:         36
        .size:           2
        .value_kind:     hidden_group_size_x
      - .offset:         38
        .size:           2
        .value_kind:     hidden_group_size_y
      - .offset:         40
        .size:           2
        .value_kind:     hidden_group_size_z
      - .offset:         42
        .size:           2
        .value_kind:     hidden_remainder_x
      - .offset:         44
        .size:           2
        .value_kind:     hidden_remainder_y
      - .offset:         46
        .size:           2
        .value_kind:     hidden_remainder_z
      - .offset:         64
        .size:           8
        .value_kind:     hidden_global_offset_x
      - .offset:         72
        .size:           8
        .value_kind:     hidden_global_offset_y
      - .offset:         80
        .size:           8
        .value_kind:     hidden_global_offset_z
      - .offset:         88
        .size:           2
        .value_kind:     hidden_grid_dims
    .group_segment_fixed_size: 2112
    .kernarg_segment_align: 8
    .kernarg_segment_size: 280
    .language:       OpenCL C
    .language_version:
      - 2
      - 0
    .max_flat_workgroup_size: 256
    .name:           _Z6kernelI14exclusive_scanILN6hipcub18BlockScanAlgorithmE1EEdLj256ELj8ELj100EEvPKT0_PS4_S4_
    .private_segment_fixed_size: 0
    .sgpr_count:     19
    .sgpr_spill_count: 0
    .symbol:         _Z6kernelI14exclusive_scanILN6hipcub18BlockScanAlgorithmE1EEdLj256ELj8ELj100EEvPKT0_PS4_S4_.kd
    .uniform_work_group_size: 1
    .uses_dynamic_stack: false
    .vgpr_count:     36
    .vgpr_spill_count: 0
    .wavefront_size: 64
  - .args:
      - .address_space:  global
        .offset:         0
        .size:           8
        .value_kind:     global_buffer
      - .address_space:  global
        .offset:         8
        .size:           8
        .value_kind:     global_buffer
      - .offset:         16
        .size:           8
        .value_kind:     by_value
      - .offset:         24
        .size:           4
        .value_kind:     hidden_block_count_x
      - .offset:         28
        .size:           4
        .value_kind:     hidden_block_count_y
      - .offset:         32
        .size:           4
        .value_kind:     hidden_block_count_z
      - .offset:         36
        .size:           2
        .value_kind:     hidden_group_size_x
      - .offset:         38
        .size:           2
        .value_kind:     hidden_group_size_y
      - .offset:         40
        .size:           2
        .value_kind:     hidden_group_size_z
      - .offset:         42
        .size:           2
        .value_kind:     hidden_remainder_x
      - .offset:         44
        .size:           2
        .value_kind:     hidden_remainder_y
      - .offset:         46
        .size:           2
        .value_kind:     hidden_remainder_z
      - .offset:         64
        .size:           8
        .value_kind:     hidden_global_offset_x
      - .offset:         72
        .size:           8
        .value_kind:     hidden_global_offset_y
      - .offset:         80
        .size:           8
        .value_kind:     hidden_global_offset_z
      - .offset:         88
        .size:           2
        .value_kind:     hidden_grid_dims
    .group_segment_fixed_size: 2112
    .kernarg_segment_align: 8
    .kernarg_segment_size: 280
    .language:       OpenCL C
    .language_version:
      - 2
      - 0
    .max_flat_workgroup_size: 256
    .name:           _Z6kernelI14exclusive_scanILN6hipcub18BlockScanAlgorithmE1EEdLj256ELj11ELj100EEvPKT0_PS4_S4_
    .private_segment_fixed_size: 0
    .sgpr_count:     19
    .sgpr_spill_count: 0
    .symbol:         _Z6kernelI14exclusive_scanILN6hipcub18BlockScanAlgorithmE1EEdLj256ELj11ELj100EEvPKT0_PS4_S4_.kd
    .uniform_work_group_size: 1
    .uses_dynamic_stack: false
    .vgpr_count:     66
    .vgpr_spill_count: 0
    .wavefront_size: 64
  - .args:
      - .address_space:  global
        .offset:         0
        .size:           8
        .value_kind:     global_buffer
      - .address_space:  global
        .offset:         8
        .size:           8
        .value_kind:     global_buffer
      - .offset:         16
        .size:           8
        .value_kind:     by_value
      - .offset:         24
        .size:           4
        .value_kind:     hidden_block_count_x
      - .offset:         28
        .size:           4
        .value_kind:     hidden_block_count_y
      - .offset:         32
        .size:           4
        .value_kind:     hidden_block_count_z
      - .offset:         36
        .size:           2
        .value_kind:     hidden_group_size_x
      - .offset:         38
        .size:           2
        .value_kind:     hidden_group_size_y
      - .offset:         40
        .size:           2
        .value_kind:     hidden_group_size_z
      - .offset:         42
        .size:           2
        .value_kind:     hidden_remainder_x
      - .offset:         44
        .size:           2
        .value_kind:     hidden_remainder_y
      - .offset:         46
        .size:           2
        .value_kind:     hidden_remainder_z
      - .offset:         64
        .size:           8
        .value_kind:     hidden_global_offset_x
      - .offset:         72
        .size:           8
        .value_kind:     hidden_global_offset_y
      - .offset:         80
        .size:           8
        .value_kind:     hidden_global_offset_z
      - .offset:         88
        .size:           2
        .value_kind:     hidden_grid_dims
    .group_segment_fixed_size: 2112
    .kernarg_segment_align: 8
    .kernarg_segment_size: 280
    .language:       OpenCL C
    .language_version:
      - 2
      - 0
    .max_flat_workgroup_size: 256
    .name:           _Z6kernelI14exclusive_scanILN6hipcub18BlockScanAlgorithmE1EEdLj256ELj16ELj100EEvPKT0_PS4_S4_
    .private_segment_fixed_size: 0
    .sgpr_count:     19
    .sgpr_spill_count: 0
    .symbol:         _Z6kernelI14exclusive_scanILN6hipcub18BlockScanAlgorithmE1EEdLj256ELj16ELj100EEvPKT0_PS4_S4_.kd
    .uniform_work_group_size: 1
    .uses_dynamic_stack: false
    .vgpr_count:     52
    .vgpr_spill_count: 0
    .wavefront_size: 64
  - .args:
      - .address_space:  global
        .offset:         0
        .size:           8
        .value_kind:     global_buffer
      - .address_space:  global
        .offset:         8
        .size:           8
        .value_kind:     global_buffer
      - .offset:         16
        .size:           1
        .value_kind:     by_value
      - .offset:         24
        .size:           4
        .value_kind:     hidden_block_count_x
      - .offset:         28
        .size:           4
        .value_kind:     hidden_block_count_y
      - .offset:         32
        .size:           4
        .value_kind:     hidden_block_count_z
      - .offset:         36
        .size:           2
        .value_kind:     hidden_group_size_x
      - .offset:         38
        .size:           2
        .value_kind:     hidden_group_size_y
      - .offset:         40
        .size:           2
        .value_kind:     hidden_group_size_z
      - .offset:         42
        .size:           2
        .value_kind:     hidden_remainder_x
      - .offset:         44
        .size:           2
        .value_kind:     hidden_remainder_y
      - .offset:         46
        .size:           2
        .value_kind:     hidden_remainder_z
      - .offset:         64
        .size:           8
        .value_kind:     hidden_global_offset_x
      - .offset:         72
        .size:           8
        .value_kind:     hidden_global_offset_y
      - .offset:         80
        .size:           8
        .value_kind:     hidden_global_offset_z
      - .offset:         88
        .size:           2
        .value_kind:     hidden_grid_dims
    .group_segment_fixed_size: 264
    .kernarg_segment_align: 8
    .kernarg_segment_size: 280
    .language:       OpenCL C
    .language_version:
      - 2
      - 0
    .max_flat_workgroup_size: 256
    .name:           _Z6kernelI14exclusive_scanILN6hipcub18BlockScanAlgorithmE1EEhLj256ELj1ELj100EEvPKT0_PS4_S4_
    .private_segment_fixed_size: 0
    .sgpr_count:     17
    .sgpr_spill_count: 0
    .symbol:         _Z6kernelI14exclusive_scanILN6hipcub18BlockScanAlgorithmE1EEhLj256ELj1ELj100EEvPKT0_PS4_S4_.kd
    .uniform_work_group_size: 1
    .uses_dynamic_stack: false
    .vgpr_count:     16
    .vgpr_spill_count: 0
    .wavefront_size: 64
  - .args:
      - .address_space:  global
        .offset:         0
        .size:           8
        .value_kind:     global_buffer
      - .address_space:  global
        .offset:         8
        .size:           8
        .value_kind:     global_buffer
      - .offset:         16
        .size:           1
        .value_kind:     by_value
      - .offset:         24
        .size:           4
        .value_kind:     hidden_block_count_x
      - .offset:         28
        .size:           4
        .value_kind:     hidden_block_count_y
      - .offset:         32
        .size:           4
        .value_kind:     hidden_block_count_z
      - .offset:         36
        .size:           2
        .value_kind:     hidden_group_size_x
      - .offset:         38
        .size:           2
        .value_kind:     hidden_group_size_y
      - .offset:         40
        .size:           2
        .value_kind:     hidden_group_size_z
      - .offset:         42
        .size:           2
        .value_kind:     hidden_remainder_x
      - .offset:         44
        .size:           2
        .value_kind:     hidden_remainder_y
      - .offset:         46
        .size:           2
        .value_kind:     hidden_remainder_z
      - .offset:         64
        .size:           8
        .value_kind:     hidden_global_offset_x
      - .offset:         72
        .size:           8
        .value_kind:     hidden_global_offset_y
      - .offset:         80
        .size:           8
        .value_kind:     hidden_global_offset_z
      - .offset:         88
        .size:           2
        .value_kind:     hidden_grid_dims
    .group_segment_fixed_size: 264
    .kernarg_segment_align: 8
    .kernarg_segment_size: 280
    .language:       OpenCL C
    .language_version:
      - 2
      - 0
    .max_flat_workgroup_size: 256
    .name:           _Z6kernelI14exclusive_scanILN6hipcub18BlockScanAlgorithmE1EEhLj256ELj3ELj100EEvPKT0_PS4_S4_
    .private_segment_fixed_size: 0
    .sgpr_count:     17
    .sgpr_spill_count: 0
    .symbol:         _Z6kernelI14exclusive_scanILN6hipcub18BlockScanAlgorithmE1EEhLj256ELj3ELj100EEvPKT0_PS4_S4_.kd
    .uniform_work_group_size: 1
    .uses_dynamic_stack: false
    .vgpr_count:     18
    .vgpr_spill_count: 0
    .wavefront_size: 64
  - .args:
      - .address_space:  global
        .offset:         0
        .size:           8
        .value_kind:     global_buffer
      - .address_space:  global
        .offset:         8
        .size:           8
        .value_kind:     global_buffer
      - .offset:         16
        .size:           1
        .value_kind:     by_value
      - .offset:         24
        .size:           4
        .value_kind:     hidden_block_count_x
      - .offset:         28
        .size:           4
        .value_kind:     hidden_block_count_y
      - .offset:         32
        .size:           4
        .value_kind:     hidden_block_count_z
      - .offset:         36
        .size:           2
        .value_kind:     hidden_group_size_x
      - .offset:         38
        .size:           2
        .value_kind:     hidden_group_size_y
      - .offset:         40
        .size:           2
        .value_kind:     hidden_group_size_z
      - .offset:         42
        .size:           2
        .value_kind:     hidden_remainder_x
      - .offset:         44
        .size:           2
        .value_kind:     hidden_remainder_y
      - .offset:         46
        .size:           2
        .value_kind:     hidden_remainder_z
      - .offset:         64
        .size:           8
        .value_kind:     hidden_global_offset_x
      - .offset:         72
        .size:           8
        .value_kind:     hidden_global_offset_y
      - .offset:         80
        .size:           8
        .value_kind:     hidden_global_offset_z
      - .offset:         88
        .size:           2
        .value_kind:     hidden_grid_dims
    .group_segment_fixed_size: 264
    .kernarg_segment_align: 8
    .kernarg_segment_size: 280
    .language:       OpenCL C
    .language_version:
      - 2
      - 0
    .max_flat_workgroup_size: 256
    .name:           _Z6kernelI14exclusive_scanILN6hipcub18BlockScanAlgorithmE1EEhLj256ELj4ELj100EEvPKT0_PS4_S4_
    .private_segment_fixed_size: 0
    .sgpr_count:     17
    .sgpr_spill_count: 0
    .symbol:         _Z6kernelI14exclusive_scanILN6hipcub18BlockScanAlgorithmE1EEhLj256ELj4ELj100EEvPKT0_PS4_S4_.kd
    .uniform_work_group_size: 1
    .uses_dynamic_stack: false
    .vgpr_count:     19
    .vgpr_spill_count: 0
    .wavefront_size: 64
  - .args:
      - .address_space:  global
        .offset:         0
        .size:           8
        .value_kind:     global_buffer
      - .address_space:  global
        .offset:         8
        .size:           8
        .value_kind:     global_buffer
      - .offset:         16
        .size:           1
        .value_kind:     by_value
      - .offset:         24
        .size:           4
        .value_kind:     hidden_block_count_x
      - .offset:         28
        .size:           4
        .value_kind:     hidden_block_count_y
      - .offset:         32
        .size:           4
        .value_kind:     hidden_block_count_z
      - .offset:         36
        .size:           2
        .value_kind:     hidden_group_size_x
      - .offset:         38
        .size:           2
        .value_kind:     hidden_group_size_y
      - .offset:         40
        .size:           2
        .value_kind:     hidden_group_size_z
      - .offset:         42
        .size:           2
        .value_kind:     hidden_remainder_x
      - .offset:         44
        .size:           2
        .value_kind:     hidden_remainder_y
      - .offset:         46
        .size:           2
        .value_kind:     hidden_remainder_z
      - .offset:         64
        .size:           8
        .value_kind:     hidden_global_offset_x
      - .offset:         72
        .size:           8
        .value_kind:     hidden_global_offset_y
      - .offset:         80
        .size:           8
        .value_kind:     hidden_global_offset_z
      - .offset:         88
        .size:           2
        .value_kind:     hidden_grid_dims
    .group_segment_fixed_size: 264
    .kernarg_segment_align: 8
    .kernarg_segment_size: 280
    .language:       OpenCL C
    .language_version:
      - 2
      - 0
    .max_flat_workgroup_size: 256
    .name:           _Z6kernelI14exclusive_scanILN6hipcub18BlockScanAlgorithmE1EEhLj256ELj8ELj100EEvPKT0_PS4_S4_
    .private_segment_fixed_size: 0
    .sgpr_count:     17
    .sgpr_spill_count: 0
    .symbol:         _Z6kernelI14exclusive_scanILN6hipcub18BlockScanAlgorithmE1EEhLj256ELj8ELj100EEvPKT0_PS4_S4_.kd
    .uniform_work_group_size: 1
    .uses_dynamic_stack: false
    .vgpr_count:     18
    .vgpr_spill_count: 0
    .wavefront_size: 64
  - .args:
      - .address_space:  global
        .offset:         0
        .size:           8
        .value_kind:     global_buffer
      - .address_space:  global
        .offset:         8
        .size:           8
        .value_kind:     global_buffer
      - .offset:         16
        .size:           1
        .value_kind:     by_value
      - .offset:         24
        .size:           4
        .value_kind:     hidden_block_count_x
      - .offset:         28
        .size:           4
        .value_kind:     hidden_block_count_y
      - .offset:         32
        .size:           4
        .value_kind:     hidden_block_count_z
      - .offset:         36
        .size:           2
        .value_kind:     hidden_group_size_x
      - .offset:         38
        .size:           2
        .value_kind:     hidden_group_size_y
      - .offset:         40
        .size:           2
        .value_kind:     hidden_group_size_z
      - .offset:         42
        .size:           2
        .value_kind:     hidden_remainder_x
      - .offset:         44
        .size:           2
        .value_kind:     hidden_remainder_y
      - .offset:         46
        .size:           2
        .value_kind:     hidden_remainder_z
      - .offset:         64
        .size:           8
        .value_kind:     hidden_global_offset_x
      - .offset:         72
        .size:           8
        .value_kind:     hidden_global_offset_y
      - .offset:         80
        .size:           8
        .value_kind:     hidden_global_offset_z
      - .offset:         88
        .size:           2
        .value_kind:     hidden_grid_dims
    .group_segment_fixed_size: 264
    .kernarg_segment_align: 8
    .kernarg_segment_size: 280
    .language:       OpenCL C
    .language_version:
      - 2
      - 0
    .max_flat_workgroup_size: 256
    .name:           _Z6kernelI14exclusive_scanILN6hipcub18BlockScanAlgorithmE1EEhLj256ELj11ELj100EEvPKT0_PS4_S4_
    .private_segment_fixed_size: 0
    .sgpr_count:     16
    .sgpr_spill_count: 0
    .symbol:         _Z6kernelI14exclusive_scanILN6hipcub18BlockScanAlgorithmE1EEhLj256ELj11ELj100EEvPKT0_PS4_S4_.kd
    .uniform_work_group_size: 1
    .uses_dynamic_stack: false
    .vgpr_count:     30
    .vgpr_spill_count: 0
    .wavefront_size: 64
  - .args:
      - .address_space:  global
        .offset:         0
        .size:           8
        .value_kind:     global_buffer
      - .address_space:  global
        .offset:         8
        .size:           8
        .value_kind:     global_buffer
      - .offset:         16
        .size:           1
        .value_kind:     by_value
      - .offset:         24
        .size:           4
        .value_kind:     hidden_block_count_x
      - .offset:         28
        .size:           4
        .value_kind:     hidden_block_count_y
      - .offset:         32
        .size:           4
        .value_kind:     hidden_block_count_z
      - .offset:         36
        .size:           2
        .value_kind:     hidden_group_size_x
      - .offset:         38
        .size:           2
        .value_kind:     hidden_group_size_y
      - .offset:         40
        .size:           2
        .value_kind:     hidden_group_size_z
      - .offset:         42
        .size:           2
        .value_kind:     hidden_remainder_x
      - .offset:         44
        .size:           2
        .value_kind:     hidden_remainder_y
      - .offset:         46
        .size:           2
        .value_kind:     hidden_remainder_z
      - .offset:         64
        .size:           8
        .value_kind:     hidden_global_offset_x
      - .offset:         72
        .size:           8
        .value_kind:     hidden_global_offset_y
      - .offset:         80
        .size:           8
        .value_kind:     hidden_global_offset_z
      - .offset:         88
        .size:           2
        .value_kind:     hidden_grid_dims
    .group_segment_fixed_size: 264
    .kernarg_segment_align: 8
    .kernarg_segment_size: 280
    .language:       OpenCL C
    .language_version:
      - 2
      - 0
    .max_flat_workgroup_size: 256
    .name:           _Z6kernelI14exclusive_scanILN6hipcub18BlockScanAlgorithmE1EEhLj256ELj16ELj100EEvPKT0_PS4_S4_
    .private_segment_fixed_size: 0
    .sgpr_count:     17
    .sgpr_spill_count: 0
    .symbol:         _Z6kernelI14exclusive_scanILN6hipcub18BlockScanAlgorithmE1EEhLj256ELj16ELj100EEvPKT0_PS4_S4_.kd
    .uniform_work_group_size: 1
    .uses_dynamic_stack: false
    .vgpr_count:     26
    .vgpr_spill_count: 0
    .wavefront_size: 64
  - .args:
      - .address_space:  global
        .offset:         0
        .size:           8
        .value_kind:     global_buffer
      - .address_space:  global
        .offset:         8
        .size:           8
        .value_kind:     global_buffer
      - .offset:         16
        .size:           8
        .value_kind:     by_value
      - .offset:         24
        .size:           4
        .value_kind:     hidden_block_count_x
      - .offset:         28
        .size:           4
        .value_kind:     hidden_block_count_y
      - .offset:         32
        .size:           4
        .value_kind:     hidden_block_count_z
      - .offset:         36
        .size:           2
        .value_kind:     hidden_group_size_x
      - .offset:         38
        .size:           2
        .value_kind:     hidden_group_size_y
      - .offset:         40
        .size:           2
        .value_kind:     hidden_group_size_z
      - .offset:         42
        .size:           2
        .value_kind:     hidden_remainder_x
      - .offset:         44
        .size:           2
        .value_kind:     hidden_remainder_y
      - .offset:         46
        .size:           2
        .value_kind:     hidden_remainder_z
      - .offset:         64
        .size:           8
        .value_kind:     hidden_global_offset_x
      - .offset:         72
        .size:           8
        .value_kind:     hidden_global_offset_y
      - .offset:         80
        .size:           8
        .value_kind:     hidden_global_offset_z
      - .offset:         88
        .size:           2
        .value_kind:     hidden_grid_dims
    .group_segment_fixed_size: 2112
    .kernarg_segment_align: 8
    .kernarg_segment_size: 280
    .language:       OpenCL C
    .language_version:
      - 2
      - 0
    .max_flat_workgroup_size: 256
    .name:           _Z6kernelI14exclusive_scanILN6hipcub18BlockScanAlgorithmE1EEN15benchmark_utils11custom_typeIffEELj256ELj1ELj100EEvPKT0_PS7_S7_
    .private_segment_fixed_size: 0
    .sgpr_count:     19
    .sgpr_spill_count: 0
    .symbol:         _Z6kernelI14exclusive_scanILN6hipcub18BlockScanAlgorithmE1EEN15benchmark_utils11custom_typeIffEELj256ELj1ELj100EEvPKT0_PS7_S7_.kd
    .uniform_work_group_size: 1
    .uses_dynamic_stack: false
    .vgpr_count:     22
    .vgpr_spill_count: 0
    .wavefront_size: 64
  - .args:
      - .address_space:  global
        .offset:         0
        .size:           8
        .value_kind:     global_buffer
      - .address_space:  global
        .offset:         8
        .size:           8
        .value_kind:     global_buffer
      - .offset:         16
        .size:           8
        .value_kind:     by_value
      - .offset:         24
        .size:           4
        .value_kind:     hidden_block_count_x
      - .offset:         28
        .size:           4
        .value_kind:     hidden_block_count_y
      - .offset:         32
        .size:           4
        .value_kind:     hidden_block_count_z
      - .offset:         36
        .size:           2
        .value_kind:     hidden_group_size_x
      - .offset:         38
        .size:           2
        .value_kind:     hidden_group_size_y
      - .offset:         40
        .size:           2
        .value_kind:     hidden_group_size_z
      - .offset:         42
        .size:           2
        .value_kind:     hidden_remainder_x
      - .offset:         44
        .size:           2
        .value_kind:     hidden_remainder_y
      - .offset:         46
        .size:           2
        .value_kind:     hidden_remainder_z
      - .offset:         64
        .size:           8
        .value_kind:     hidden_global_offset_x
      - .offset:         72
        .size:           8
        .value_kind:     hidden_global_offset_y
      - .offset:         80
        .size:           8
        .value_kind:     hidden_global_offset_z
      - .offset:         88
        .size:           2
        .value_kind:     hidden_grid_dims
    .group_segment_fixed_size: 2112
    .kernarg_segment_align: 8
    .kernarg_segment_size: 280
    .language:       OpenCL C
    .language_version:
      - 2
      - 0
    .max_flat_workgroup_size: 256
    .name:           _Z6kernelI14exclusive_scanILN6hipcub18BlockScanAlgorithmE1EEN15benchmark_utils11custom_typeIffEELj256ELj4ELj100EEvPKT0_PS7_S7_
    .private_segment_fixed_size: 0
    .sgpr_count:     19
    .sgpr_spill_count: 0
    .symbol:         _Z6kernelI14exclusive_scanILN6hipcub18BlockScanAlgorithmE1EEN15benchmark_utils11custom_typeIffEELj256ELj4ELj100EEvPKT0_PS7_S7_.kd
    .uniform_work_group_size: 1
    .uses_dynamic_stack: false
    .vgpr_count:     27
    .vgpr_spill_count: 0
    .wavefront_size: 64
  - .args:
      - .address_space:  global
        .offset:         0
        .size:           8
        .value_kind:     global_buffer
      - .address_space:  global
        .offset:         8
        .size:           8
        .value_kind:     global_buffer
      - .offset:         16
        .size:           8
        .value_kind:     by_value
      - .offset:         24
        .size:           4
        .value_kind:     hidden_block_count_x
      - .offset:         28
        .size:           4
        .value_kind:     hidden_block_count_y
      - .offset:         32
        .size:           4
        .value_kind:     hidden_block_count_z
      - .offset:         36
        .size:           2
        .value_kind:     hidden_group_size_x
      - .offset:         38
        .size:           2
        .value_kind:     hidden_group_size_y
      - .offset:         40
        .size:           2
        .value_kind:     hidden_group_size_z
      - .offset:         42
        .size:           2
        .value_kind:     hidden_remainder_x
      - .offset:         44
        .size:           2
        .value_kind:     hidden_remainder_y
      - .offset:         46
        .size:           2
        .value_kind:     hidden_remainder_z
      - .offset:         64
        .size:           8
        .value_kind:     hidden_global_offset_x
      - .offset:         72
        .size:           8
        .value_kind:     hidden_global_offset_y
      - .offset:         80
        .size:           8
        .value_kind:     hidden_global_offset_z
      - .offset:         88
        .size:           2
        .value_kind:     hidden_grid_dims
    .group_segment_fixed_size: 2112
    .kernarg_segment_align: 8
    .kernarg_segment_size: 280
    .language:       OpenCL C
    .language_version:
      - 2
      - 0
    .max_flat_workgroup_size: 256
    .name:           _Z6kernelI14exclusive_scanILN6hipcub18BlockScanAlgorithmE1EEN15benchmark_utils11custom_typeIffEELj256ELj8ELj100EEvPKT0_PS7_S7_
    .private_segment_fixed_size: 0
    .sgpr_count:     19
    .sgpr_spill_count: 0
    .symbol:         _Z6kernelI14exclusive_scanILN6hipcub18BlockScanAlgorithmE1EEN15benchmark_utils11custom_typeIffEELj256ELj8ELj100EEvPKT0_PS7_S7_.kd
    .uniform_work_group_size: 1
    .uses_dynamic_stack: false
    .vgpr_count:     35
    .vgpr_spill_count: 0
    .wavefront_size: 64
  - .args:
      - .address_space:  global
        .offset:         0
        .size:           8
        .value_kind:     global_buffer
      - .address_space:  global
        .offset:         8
        .size:           8
        .value_kind:     global_buffer
      - .offset:         16
        .size:           16
        .value_kind:     by_value
      - .offset:         32
        .size:           4
        .value_kind:     hidden_block_count_x
      - .offset:         36
        .size:           4
        .value_kind:     hidden_block_count_y
      - .offset:         40
        .size:           4
        .value_kind:     hidden_block_count_z
      - .offset:         44
        .size:           2
        .value_kind:     hidden_group_size_x
      - .offset:         46
        .size:           2
        .value_kind:     hidden_group_size_y
      - .offset:         48
        .size:           2
        .value_kind:     hidden_group_size_z
      - .offset:         50
        .size:           2
        .value_kind:     hidden_remainder_x
      - .offset:         52
        .size:           2
        .value_kind:     hidden_remainder_y
      - .offset:         54
        .size:           2
        .value_kind:     hidden_remainder_z
      - .offset:         72
        .size:           8
        .value_kind:     hidden_global_offset_x
      - .offset:         80
        .size:           8
        .value_kind:     hidden_global_offset_y
      - .offset:         88
        .size:           8
        .value_kind:     hidden_global_offset_z
      - .offset:         96
        .size:           2
        .value_kind:     hidden_grid_dims
    .group_segment_fixed_size: 4224
    .kernarg_segment_align: 8
    .kernarg_segment_size: 288
    .language:       OpenCL C
    .language_version:
      - 2
      - 0
    .max_flat_workgroup_size: 256
    .name:           _Z6kernelI14exclusive_scanILN6hipcub18BlockScanAlgorithmE1EEN15benchmark_utils11custom_typeIddEELj256ELj1ELj100EEvPKT0_PS7_S7_
    .private_segment_fixed_size: 0
    .sgpr_count:     21
    .sgpr_spill_count: 0
    .symbol:         _Z6kernelI14exclusive_scanILN6hipcub18BlockScanAlgorithmE1EEN15benchmark_utils11custom_typeIddEELj256ELj1ELj100EEvPKT0_PS7_S7_.kd
    .uniform_work_group_size: 1
    .uses_dynamic_stack: false
    .vgpr_count:     36
    .vgpr_spill_count: 0
    .wavefront_size: 64
  - .args:
      - .address_space:  global
        .offset:         0
        .size:           8
        .value_kind:     global_buffer
      - .address_space:  global
        .offset:         8
        .size:           8
        .value_kind:     global_buffer
      - .offset:         16
        .size:           16
        .value_kind:     by_value
      - .offset:         32
        .size:           4
        .value_kind:     hidden_block_count_x
      - .offset:         36
        .size:           4
        .value_kind:     hidden_block_count_y
      - .offset:         40
        .size:           4
        .value_kind:     hidden_block_count_z
      - .offset:         44
        .size:           2
        .value_kind:     hidden_group_size_x
      - .offset:         46
        .size:           2
        .value_kind:     hidden_group_size_y
      - .offset:         48
        .size:           2
        .value_kind:     hidden_group_size_z
      - .offset:         50
        .size:           2
        .value_kind:     hidden_remainder_x
      - .offset:         52
        .size:           2
        .value_kind:     hidden_remainder_y
      - .offset:         54
        .size:           2
        .value_kind:     hidden_remainder_z
      - .offset:         72
        .size:           8
        .value_kind:     hidden_global_offset_x
      - .offset:         80
        .size:           8
        .value_kind:     hidden_global_offset_y
      - .offset:         88
        .size:           8
        .value_kind:     hidden_global_offset_z
      - .offset:         96
        .size:           2
        .value_kind:     hidden_grid_dims
    .group_segment_fixed_size: 4224
    .kernarg_segment_align: 8
    .kernarg_segment_size: 288
    .language:       OpenCL C
    .language_version:
      - 2
      - 0
    .max_flat_workgroup_size: 256
    .name:           _Z6kernelI14exclusive_scanILN6hipcub18BlockScanAlgorithmE1EEN15benchmark_utils11custom_typeIddEELj256ELj4ELj100EEvPKT0_PS7_S7_
    .private_segment_fixed_size: 0
    .sgpr_count:     21
    .sgpr_spill_count: 0
    .symbol:         _Z6kernelI14exclusive_scanILN6hipcub18BlockScanAlgorithmE1EEN15benchmark_utils11custom_typeIddEELj256ELj4ELj100EEvPKT0_PS7_S7_.kd
    .uniform_work_group_size: 1
    .uses_dynamic_stack: false
    .vgpr_count:     48
    .vgpr_spill_count: 0
    .wavefront_size: 64
  - .args:
      - .address_space:  global
        .offset:         0
        .size:           8
        .value_kind:     global_buffer
      - .address_space:  global
        .offset:         8
        .size:           8
        .value_kind:     global_buffer
      - .offset:         16
        .size:           16
        .value_kind:     by_value
      - .offset:         32
        .size:           4
        .value_kind:     hidden_block_count_x
      - .offset:         36
        .size:           4
        .value_kind:     hidden_block_count_y
      - .offset:         40
        .size:           4
        .value_kind:     hidden_block_count_z
      - .offset:         44
        .size:           2
        .value_kind:     hidden_group_size_x
      - .offset:         46
        .size:           2
        .value_kind:     hidden_group_size_y
      - .offset:         48
        .size:           2
        .value_kind:     hidden_group_size_z
      - .offset:         50
        .size:           2
        .value_kind:     hidden_remainder_x
      - .offset:         52
        .size:           2
        .value_kind:     hidden_remainder_y
      - .offset:         54
        .size:           2
        .value_kind:     hidden_remainder_z
      - .offset:         72
        .size:           8
        .value_kind:     hidden_global_offset_x
      - .offset:         80
        .size:           8
        .value_kind:     hidden_global_offset_y
      - .offset:         88
        .size:           8
        .value_kind:     hidden_global_offset_z
      - .offset:         96
        .size:           2
        .value_kind:     hidden_grid_dims
    .group_segment_fixed_size: 4224
    .kernarg_segment_align: 8
    .kernarg_segment_size: 288
    .language:       OpenCL C
    .language_version:
      - 2
      - 0
    .max_flat_workgroup_size: 256
    .name:           _Z6kernelI14exclusive_scanILN6hipcub18BlockScanAlgorithmE1EEN15benchmark_utils11custom_typeIddEELj256ELj8ELj100EEvPKT0_PS7_S7_
    .private_segment_fixed_size: 0
    .sgpr_count:     21
    .sgpr_spill_count: 0
    .symbol:         _Z6kernelI14exclusive_scanILN6hipcub18BlockScanAlgorithmE1EEN15benchmark_utils11custom_typeIddEELj256ELj8ELj100EEvPKT0_PS7_S7_.kd
    .uniform_work_group_size: 1
    .uses_dynamic_stack: false
    .vgpr_count:     63
    .vgpr_spill_count: 0
    .wavefront_size: 64
  - .args:
      - .address_space:  global
        .offset:         0
        .size:           8
        .value_kind:     global_buffer
      - .address_space:  global
        .offset:         8
        .size:           8
        .value_kind:     global_buffer
      - .offset:         16
        .size:           4
        .value_kind:     by_value
      - .offset:         24
        .size:           4
        .value_kind:     hidden_block_count_x
      - .offset:         28
        .size:           4
        .value_kind:     hidden_block_count_y
      - .offset:         32
        .size:           4
        .value_kind:     hidden_block_count_z
      - .offset:         36
        .size:           2
        .value_kind:     hidden_group_size_x
      - .offset:         38
        .size:           2
        .value_kind:     hidden_group_size_y
      - .offset:         40
        .size:           2
        .value_kind:     hidden_group_size_z
      - .offset:         42
        .size:           2
        .value_kind:     hidden_remainder_x
      - .offset:         44
        .size:           2
        .value_kind:     hidden_remainder_y
      - .offset:         46
        .size:           2
        .value_kind:     hidden_remainder_z
      - .offset:         64
        .size:           8
        .value_kind:     hidden_global_offset_x
      - .offset:         72
        .size:           8
        .value_kind:     hidden_global_offset_y
      - .offset:         80
        .size:           8
        .value_kind:     hidden_global_offset_z
      - .offset:         88
        .size:           2
        .value_kind:     hidden_grid_dims
    .group_segment_fixed_size: 4
    .kernarg_segment_align: 8
    .kernarg_segment_size: 280
    .language:       OpenCL C
    .language_version:
      - 2
      - 0
    .max_flat_workgroup_size: 64
    .name:           _Z6kernelI14exclusive_scanILN6hipcub18BlockScanAlgorithmE0EEiLj64ELj1ELj100EEvPKT0_PS4_S4_
    .private_segment_fixed_size: 0
    .sgpr_count:     25
    .sgpr_spill_count: 0
    .symbol:         _Z6kernelI14exclusive_scanILN6hipcub18BlockScanAlgorithmE0EEiLj64ELj1ELj100EEvPKT0_PS4_S4_.kd
    .uniform_work_group_size: 1
    .uses_dynamic_stack: false
    .vgpr_count:     7
    .vgpr_spill_count: 0
    .wavefront_size: 64
  - .args:
      - .address_space:  global
        .offset:         0
        .size:           8
        .value_kind:     global_buffer
      - .address_space:  global
        .offset:         8
        .size:           8
        .value_kind:     global_buffer
      - .offset:         16
        .size:           4
        .value_kind:     by_value
      - .offset:         24
        .size:           4
        .value_kind:     hidden_block_count_x
      - .offset:         28
        .size:           4
        .value_kind:     hidden_block_count_y
      - .offset:         32
        .size:           4
        .value_kind:     hidden_block_count_z
      - .offset:         36
        .size:           2
        .value_kind:     hidden_group_size_x
      - .offset:         38
        .size:           2
        .value_kind:     hidden_group_size_y
      - .offset:         40
        .size:           2
        .value_kind:     hidden_group_size_z
      - .offset:         42
        .size:           2
        .value_kind:     hidden_remainder_x
      - .offset:         44
        .size:           2
        .value_kind:     hidden_remainder_y
      - .offset:         46
        .size:           2
        .value_kind:     hidden_remainder_z
      - .offset:         64
        .size:           8
        .value_kind:     hidden_global_offset_x
      - .offset:         72
        .size:           8
        .value_kind:     hidden_global_offset_y
      - .offset:         80
        .size:           8
        .value_kind:     hidden_global_offset_z
      - .offset:         88
        .size:           2
        .value_kind:     hidden_grid_dims
    .group_segment_fixed_size: 4
    .kernarg_segment_align: 8
    .kernarg_segment_size: 280
    .language:       OpenCL C
    .language_version:
      - 2
      - 0
    .max_flat_workgroup_size: 64
    .name:           _Z6kernelI14exclusive_scanILN6hipcub18BlockScanAlgorithmE0EEiLj64ELj3ELj100EEvPKT0_PS4_S4_
    .private_segment_fixed_size: 0
    .sgpr_count:     25
    .sgpr_spill_count: 0
    .symbol:         _Z6kernelI14exclusive_scanILN6hipcub18BlockScanAlgorithmE0EEiLj64ELj3ELj100EEvPKT0_PS4_S4_.kd
    .uniform_work_group_size: 1
    .uses_dynamic_stack: false
    .vgpr_count:     18
    .vgpr_spill_count: 0
    .wavefront_size: 64
  - .args:
      - .address_space:  global
        .offset:         0
        .size:           8
        .value_kind:     global_buffer
      - .address_space:  global
        .offset:         8
        .size:           8
        .value_kind:     global_buffer
      - .offset:         16
        .size:           4
        .value_kind:     by_value
      - .offset:         24
        .size:           4
        .value_kind:     hidden_block_count_x
      - .offset:         28
        .size:           4
        .value_kind:     hidden_block_count_y
      - .offset:         32
        .size:           4
        .value_kind:     hidden_block_count_z
      - .offset:         36
        .size:           2
        .value_kind:     hidden_group_size_x
      - .offset:         38
        .size:           2
        .value_kind:     hidden_group_size_y
      - .offset:         40
        .size:           2
        .value_kind:     hidden_group_size_z
      - .offset:         42
        .size:           2
        .value_kind:     hidden_remainder_x
      - .offset:         44
        .size:           2
        .value_kind:     hidden_remainder_y
      - .offset:         46
        .size:           2
        .value_kind:     hidden_remainder_z
      - .offset:         64
        .size:           8
        .value_kind:     hidden_global_offset_x
      - .offset:         72
        .size:           8
        .value_kind:     hidden_global_offset_y
      - .offset:         80
        .size:           8
        .value_kind:     hidden_global_offset_z
      - .offset:         88
        .size:           2
        .value_kind:     hidden_grid_dims
    .group_segment_fixed_size: 4
    .kernarg_segment_align: 8
    .kernarg_segment_size: 280
    .language:       OpenCL C
    .language_version:
      - 2
      - 0
    .max_flat_workgroup_size: 64
    .name:           _Z6kernelI14exclusive_scanILN6hipcub18BlockScanAlgorithmE0EEiLj64ELj4ELj100EEvPKT0_PS4_S4_
    .private_segment_fixed_size: 0
    .sgpr_count:     25
    .sgpr_spill_count: 0
    .symbol:         _Z6kernelI14exclusive_scanILN6hipcub18BlockScanAlgorithmE0EEiLj64ELj4ELj100EEvPKT0_PS4_S4_.kd
    .uniform_work_group_size: 1
    .uses_dynamic_stack: false
    .vgpr_count:     12
    .vgpr_spill_count: 0
    .wavefront_size: 64
  - .args:
      - .address_space:  global
        .offset:         0
        .size:           8
        .value_kind:     global_buffer
      - .address_space:  global
        .offset:         8
        .size:           8
        .value_kind:     global_buffer
      - .offset:         16
        .size:           4
        .value_kind:     by_value
      - .offset:         24
        .size:           4
        .value_kind:     hidden_block_count_x
      - .offset:         28
        .size:           4
        .value_kind:     hidden_block_count_y
      - .offset:         32
        .size:           4
        .value_kind:     hidden_block_count_z
      - .offset:         36
        .size:           2
        .value_kind:     hidden_group_size_x
      - .offset:         38
        .size:           2
        .value_kind:     hidden_group_size_y
      - .offset:         40
        .size:           2
        .value_kind:     hidden_group_size_z
      - .offset:         42
        .size:           2
        .value_kind:     hidden_remainder_x
      - .offset:         44
        .size:           2
        .value_kind:     hidden_remainder_y
      - .offset:         46
        .size:           2
        .value_kind:     hidden_remainder_z
      - .offset:         64
        .size:           8
        .value_kind:     hidden_global_offset_x
      - .offset:         72
        .size:           8
        .value_kind:     hidden_global_offset_y
      - .offset:         80
        .size:           8
        .value_kind:     hidden_global_offset_z
      - .offset:         88
        .size:           2
        .value_kind:     hidden_grid_dims
    .group_segment_fixed_size: 4
    .kernarg_segment_align: 8
    .kernarg_segment_size: 280
    .language:       OpenCL C
    .language_version:
      - 2
      - 0
    .max_flat_workgroup_size: 64
    .name:           _Z6kernelI14exclusive_scanILN6hipcub18BlockScanAlgorithmE0EEiLj64ELj8ELj100EEvPKT0_PS4_S4_
    .private_segment_fixed_size: 0
    .sgpr_count:     25
    .sgpr_spill_count: 0
    .symbol:         _Z6kernelI14exclusive_scanILN6hipcub18BlockScanAlgorithmE0EEiLj64ELj8ELj100EEvPKT0_PS4_S4_.kd
    .uniform_work_group_size: 1
    .uses_dynamic_stack: false
    .vgpr_count:     20
    .vgpr_spill_count: 0
    .wavefront_size: 64
  - .args:
      - .address_space:  global
        .offset:         0
        .size:           8
        .value_kind:     global_buffer
      - .address_space:  global
        .offset:         8
        .size:           8
        .value_kind:     global_buffer
      - .offset:         16
        .size:           4
        .value_kind:     by_value
      - .offset:         24
        .size:           4
        .value_kind:     hidden_block_count_x
      - .offset:         28
        .size:           4
        .value_kind:     hidden_block_count_y
      - .offset:         32
        .size:           4
        .value_kind:     hidden_block_count_z
      - .offset:         36
        .size:           2
        .value_kind:     hidden_group_size_x
      - .offset:         38
        .size:           2
        .value_kind:     hidden_group_size_y
      - .offset:         40
        .size:           2
        .value_kind:     hidden_group_size_z
      - .offset:         42
        .size:           2
        .value_kind:     hidden_remainder_x
      - .offset:         44
        .size:           2
        .value_kind:     hidden_remainder_y
      - .offset:         46
        .size:           2
        .value_kind:     hidden_remainder_z
      - .offset:         64
        .size:           8
        .value_kind:     hidden_global_offset_x
      - .offset:         72
        .size:           8
        .value_kind:     hidden_global_offset_y
      - .offset:         80
        .size:           8
        .value_kind:     hidden_global_offset_z
      - .offset:         88
        .size:           2
        .value_kind:     hidden_grid_dims
    .group_segment_fixed_size: 4
    .kernarg_segment_align: 8
    .kernarg_segment_size: 280
    .language:       OpenCL C
    .language_version:
      - 2
      - 0
    .max_flat_workgroup_size: 64
    .name:           _Z6kernelI14exclusive_scanILN6hipcub18BlockScanAlgorithmE0EEiLj64ELj11ELj100EEvPKT0_PS4_S4_
    .private_segment_fixed_size: 0
    .sgpr_count:     25
    .sgpr_spill_count: 0
    .symbol:         _Z6kernelI14exclusive_scanILN6hipcub18BlockScanAlgorithmE0EEiLj64ELj11ELj100EEvPKT0_PS4_S4_.kd
    .uniform_work_group_size: 1
    .uses_dynamic_stack: false
    .vgpr_count:     43
    .vgpr_spill_count: 0
    .wavefront_size: 64
  - .args:
      - .address_space:  global
        .offset:         0
        .size:           8
        .value_kind:     global_buffer
      - .address_space:  global
        .offset:         8
        .size:           8
        .value_kind:     global_buffer
      - .offset:         16
        .size:           4
        .value_kind:     by_value
      - .offset:         24
        .size:           4
        .value_kind:     hidden_block_count_x
      - .offset:         28
        .size:           4
        .value_kind:     hidden_block_count_y
      - .offset:         32
        .size:           4
        .value_kind:     hidden_block_count_z
      - .offset:         36
        .size:           2
        .value_kind:     hidden_group_size_x
      - .offset:         38
        .size:           2
        .value_kind:     hidden_group_size_y
      - .offset:         40
        .size:           2
        .value_kind:     hidden_group_size_z
      - .offset:         42
        .size:           2
        .value_kind:     hidden_remainder_x
      - .offset:         44
        .size:           2
        .value_kind:     hidden_remainder_y
      - .offset:         46
        .size:           2
        .value_kind:     hidden_remainder_z
      - .offset:         64
        .size:           8
        .value_kind:     hidden_global_offset_x
      - .offset:         72
        .size:           8
        .value_kind:     hidden_global_offset_y
      - .offset:         80
        .size:           8
        .value_kind:     hidden_global_offset_z
      - .offset:         88
        .size:           2
        .value_kind:     hidden_grid_dims
    .group_segment_fixed_size: 4
    .kernarg_segment_align: 8
    .kernarg_segment_size: 280
    .language:       OpenCL C
    .language_version:
      - 2
      - 0
    .max_flat_workgroup_size: 64
    .name:           _Z6kernelI14exclusive_scanILN6hipcub18BlockScanAlgorithmE0EEiLj64ELj16ELj100EEvPKT0_PS4_S4_
    .private_segment_fixed_size: 0
    .sgpr_count:     25
    .sgpr_spill_count: 0
    .symbol:         _Z6kernelI14exclusive_scanILN6hipcub18BlockScanAlgorithmE0EEiLj64ELj16ELj100EEvPKT0_PS4_S4_.kd
    .uniform_work_group_size: 1
    .uses_dynamic_stack: false
    .vgpr_count:     24
    .vgpr_spill_count: 0
    .wavefront_size: 64
  - .args:
      - .address_space:  global
        .offset:         0
        .size:           8
        .value_kind:     global_buffer
      - .address_space:  global
        .offset:         8
        .size:           8
        .value_kind:     global_buffer
      - .offset:         16
        .size:           4
        .value_kind:     by_value
      - .offset:         24
        .size:           4
        .value_kind:     hidden_block_count_x
      - .offset:         28
        .size:           4
        .value_kind:     hidden_block_count_y
      - .offset:         32
        .size:           4
        .value_kind:     hidden_block_count_z
      - .offset:         36
        .size:           2
        .value_kind:     hidden_group_size_x
      - .offset:         38
        .size:           2
        .value_kind:     hidden_group_size_y
      - .offset:         40
        .size:           2
        .value_kind:     hidden_group_size_z
      - .offset:         42
        .size:           2
        .value_kind:     hidden_remainder_x
      - .offset:         44
        .size:           2
        .value_kind:     hidden_remainder_y
      - .offset:         46
        .size:           2
        .value_kind:     hidden_remainder_z
      - .offset:         64
        .size:           8
        .value_kind:     hidden_global_offset_x
      - .offset:         72
        .size:           8
        .value_kind:     hidden_global_offset_y
      - .offset:         80
        .size:           8
        .value_kind:     hidden_global_offset_z
      - .offset:         88
        .size:           2
        .value_kind:     hidden_grid_dims
    .group_segment_fixed_size: 4
    .kernarg_segment_align: 8
    .kernarg_segment_size: 280
    .language:       OpenCL C
    .language_version:
      - 2
      - 0
    .max_flat_workgroup_size: 64
    .name:           _Z6kernelI14exclusive_scanILN6hipcub18BlockScanAlgorithmE0EEfLj64ELj1ELj100EEvPKT0_PS4_S4_
    .private_segment_fixed_size: 0
    .sgpr_count:     25
    .sgpr_spill_count: 0
    .symbol:         _Z6kernelI14exclusive_scanILN6hipcub18BlockScanAlgorithmE0EEfLj64ELj1ELj100EEvPKT0_PS4_S4_.kd
    .uniform_work_group_size: 1
    .uses_dynamic_stack: false
    .vgpr_count:     7
    .vgpr_spill_count: 0
    .wavefront_size: 64
  - .args:
      - .address_space:  global
        .offset:         0
        .size:           8
        .value_kind:     global_buffer
      - .address_space:  global
        .offset:         8
        .size:           8
        .value_kind:     global_buffer
      - .offset:         16
        .size:           4
        .value_kind:     by_value
      - .offset:         24
        .size:           4
        .value_kind:     hidden_block_count_x
      - .offset:         28
        .size:           4
        .value_kind:     hidden_block_count_y
      - .offset:         32
        .size:           4
        .value_kind:     hidden_block_count_z
      - .offset:         36
        .size:           2
        .value_kind:     hidden_group_size_x
      - .offset:         38
        .size:           2
        .value_kind:     hidden_group_size_y
      - .offset:         40
        .size:           2
        .value_kind:     hidden_group_size_z
      - .offset:         42
        .size:           2
        .value_kind:     hidden_remainder_x
      - .offset:         44
        .size:           2
        .value_kind:     hidden_remainder_y
      - .offset:         46
        .size:           2
        .value_kind:     hidden_remainder_z
      - .offset:         64
        .size:           8
        .value_kind:     hidden_global_offset_x
      - .offset:         72
        .size:           8
        .value_kind:     hidden_global_offset_y
      - .offset:         80
        .size:           8
        .value_kind:     hidden_global_offset_z
      - .offset:         88
        .size:           2
        .value_kind:     hidden_grid_dims
    .group_segment_fixed_size: 4
    .kernarg_segment_align: 8
    .kernarg_segment_size: 280
    .language:       OpenCL C
    .language_version:
      - 2
      - 0
    .max_flat_workgroup_size: 64
    .name:           _Z6kernelI14exclusive_scanILN6hipcub18BlockScanAlgorithmE0EEfLj64ELj3ELj100EEvPKT0_PS4_S4_
    .private_segment_fixed_size: 0
    .sgpr_count:     25
    .sgpr_spill_count: 0
    .symbol:         _Z6kernelI14exclusive_scanILN6hipcub18BlockScanAlgorithmE0EEfLj64ELj3ELj100EEvPKT0_PS4_S4_.kd
    .uniform_work_group_size: 1
    .uses_dynamic_stack: false
    .vgpr_count:     18
    .vgpr_spill_count: 0
    .wavefront_size: 64
  - .args:
      - .address_space:  global
        .offset:         0
        .size:           8
        .value_kind:     global_buffer
      - .address_space:  global
        .offset:         8
        .size:           8
        .value_kind:     global_buffer
      - .offset:         16
        .size:           4
        .value_kind:     by_value
      - .offset:         24
        .size:           4
        .value_kind:     hidden_block_count_x
      - .offset:         28
        .size:           4
        .value_kind:     hidden_block_count_y
      - .offset:         32
        .size:           4
        .value_kind:     hidden_block_count_z
      - .offset:         36
        .size:           2
        .value_kind:     hidden_group_size_x
      - .offset:         38
        .size:           2
        .value_kind:     hidden_group_size_y
      - .offset:         40
        .size:           2
        .value_kind:     hidden_group_size_z
      - .offset:         42
        .size:           2
        .value_kind:     hidden_remainder_x
      - .offset:         44
        .size:           2
        .value_kind:     hidden_remainder_y
      - .offset:         46
        .size:           2
        .value_kind:     hidden_remainder_z
      - .offset:         64
        .size:           8
        .value_kind:     hidden_global_offset_x
      - .offset:         72
        .size:           8
        .value_kind:     hidden_global_offset_y
      - .offset:         80
        .size:           8
        .value_kind:     hidden_global_offset_z
      - .offset:         88
        .size:           2
        .value_kind:     hidden_grid_dims
    .group_segment_fixed_size: 4
    .kernarg_segment_align: 8
    .kernarg_segment_size: 280
    .language:       OpenCL C
    .language_version:
      - 2
      - 0
    .max_flat_workgroup_size: 64
    .name:           _Z6kernelI14exclusive_scanILN6hipcub18BlockScanAlgorithmE0EEfLj64ELj4ELj100EEvPKT0_PS4_S4_
    .private_segment_fixed_size: 0
    .sgpr_count:     25
    .sgpr_spill_count: 0
    .symbol:         _Z6kernelI14exclusive_scanILN6hipcub18BlockScanAlgorithmE0EEfLj64ELj4ELj100EEvPKT0_PS4_S4_.kd
    .uniform_work_group_size: 1
    .uses_dynamic_stack: false
    .vgpr_count:     12
    .vgpr_spill_count: 0
    .wavefront_size: 64
  - .args:
      - .address_space:  global
        .offset:         0
        .size:           8
        .value_kind:     global_buffer
      - .address_space:  global
        .offset:         8
        .size:           8
        .value_kind:     global_buffer
      - .offset:         16
        .size:           4
        .value_kind:     by_value
      - .offset:         24
        .size:           4
        .value_kind:     hidden_block_count_x
      - .offset:         28
        .size:           4
        .value_kind:     hidden_block_count_y
      - .offset:         32
        .size:           4
        .value_kind:     hidden_block_count_z
      - .offset:         36
        .size:           2
        .value_kind:     hidden_group_size_x
      - .offset:         38
        .size:           2
        .value_kind:     hidden_group_size_y
      - .offset:         40
        .size:           2
        .value_kind:     hidden_group_size_z
      - .offset:         42
        .size:           2
        .value_kind:     hidden_remainder_x
      - .offset:         44
        .size:           2
        .value_kind:     hidden_remainder_y
      - .offset:         46
        .size:           2
        .value_kind:     hidden_remainder_z
      - .offset:         64
        .size:           8
        .value_kind:     hidden_global_offset_x
      - .offset:         72
        .size:           8
        .value_kind:     hidden_global_offset_y
      - .offset:         80
        .size:           8
        .value_kind:     hidden_global_offset_z
      - .offset:         88
        .size:           2
        .value_kind:     hidden_grid_dims
    .group_segment_fixed_size: 4
    .kernarg_segment_align: 8
    .kernarg_segment_size: 280
    .language:       OpenCL C
    .language_version:
      - 2
      - 0
    .max_flat_workgroup_size: 64
    .name:           _Z6kernelI14exclusive_scanILN6hipcub18BlockScanAlgorithmE0EEfLj64ELj8ELj100EEvPKT0_PS4_S4_
    .private_segment_fixed_size: 0
    .sgpr_count:     25
    .sgpr_spill_count: 0
    .symbol:         _Z6kernelI14exclusive_scanILN6hipcub18BlockScanAlgorithmE0EEfLj64ELj8ELj100EEvPKT0_PS4_S4_.kd
    .uniform_work_group_size: 1
    .uses_dynamic_stack: false
    .vgpr_count:     20
    .vgpr_spill_count: 0
    .wavefront_size: 64
  - .args:
      - .address_space:  global
        .offset:         0
        .size:           8
        .value_kind:     global_buffer
      - .address_space:  global
        .offset:         8
        .size:           8
        .value_kind:     global_buffer
      - .offset:         16
        .size:           4
        .value_kind:     by_value
      - .offset:         24
        .size:           4
        .value_kind:     hidden_block_count_x
      - .offset:         28
        .size:           4
        .value_kind:     hidden_block_count_y
      - .offset:         32
        .size:           4
        .value_kind:     hidden_block_count_z
      - .offset:         36
        .size:           2
        .value_kind:     hidden_group_size_x
      - .offset:         38
        .size:           2
        .value_kind:     hidden_group_size_y
      - .offset:         40
        .size:           2
        .value_kind:     hidden_group_size_z
      - .offset:         42
        .size:           2
        .value_kind:     hidden_remainder_x
      - .offset:         44
        .size:           2
        .value_kind:     hidden_remainder_y
      - .offset:         46
        .size:           2
        .value_kind:     hidden_remainder_z
      - .offset:         64
        .size:           8
        .value_kind:     hidden_global_offset_x
      - .offset:         72
        .size:           8
        .value_kind:     hidden_global_offset_y
      - .offset:         80
        .size:           8
        .value_kind:     hidden_global_offset_z
      - .offset:         88
        .size:           2
        .value_kind:     hidden_grid_dims
    .group_segment_fixed_size: 4
    .kernarg_segment_align: 8
    .kernarg_segment_size: 280
    .language:       OpenCL C
    .language_version:
      - 2
      - 0
    .max_flat_workgroup_size: 64
    .name:           _Z6kernelI14exclusive_scanILN6hipcub18BlockScanAlgorithmE0EEfLj64ELj11ELj100EEvPKT0_PS4_S4_
    .private_segment_fixed_size: 0
    .sgpr_count:     25
    .sgpr_spill_count: 0
    .symbol:         _Z6kernelI14exclusive_scanILN6hipcub18BlockScanAlgorithmE0EEfLj64ELj11ELj100EEvPKT0_PS4_S4_.kd
    .uniform_work_group_size: 1
    .uses_dynamic_stack: false
    .vgpr_count:     43
    .vgpr_spill_count: 0
    .wavefront_size: 64
  - .args:
      - .address_space:  global
        .offset:         0
        .size:           8
        .value_kind:     global_buffer
      - .address_space:  global
        .offset:         8
        .size:           8
        .value_kind:     global_buffer
      - .offset:         16
        .size:           4
        .value_kind:     by_value
      - .offset:         24
        .size:           4
        .value_kind:     hidden_block_count_x
      - .offset:         28
        .size:           4
        .value_kind:     hidden_block_count_y
      - .offset:         32
        .size:           4
        .value_kind:     hidden_block_count_z
      - .offset:         36
        .size:           2
        .value_kind:     hidden_group_size_x
      - .offset:         38
        .size:           2
        .value_kind:     hidden_group_size_y
      - .offset:         40
        .size:           2
        .value_kind:     hidden_group_size_z
      - .offset:         42
        .size:           2
        .value_kind:     hidden_remainder_x
      - .offset:         44
        .size:           2
        .value_kind:     hidden_remainder_y
      - .offset:         46
        .size:           2
        .value_kind:     hidden_remainder_z
      - .offset:         64
        .size:           8
        .value_kind:     hidden_global_offset_x
      - .offset:         72
        .size:           8
        .value_kind:     hidden_global_offset_y
      - .offset:         80
        .size:           8
        .value_kind:     hidden_global_offset_z
      - .offset:         88
        .size:           2
        .value_kind:     hidden_grid_dims
    .group_segment_fixed_size: 4
    .kernarg_segment_align: 8
    .kernarg_segment_size: 280
    .language:       OpenCL C
    .language_version:
      - 2
      - 0
    .max_flat_workgroup_size: 64
    .name:           _Z6kernelI14exclusive_scanILN6hipcub18BlockScanAlgorithmE0EEfLj64ELj16ELj100EEvPKT0_PS4_S4_
    .private_segment_fixed_size: 0
    .sgpr_count:     25
    .sgpr_spill_count: 0
    .symbol:         _Z6kernelI14exclusive_scanILN6hipcub18BlockScanAlgorithmE0EEfLj64ELj16ELj100EEvPKT0_PS4_S4_.kd
    .uniform_work_group_size: 1
    .uses_dynamic_stack: false
    .vgpr_count:     24
    .vgpr_spill_count: 0
    .wavefront_size: 64
  - .args:
      - .address_space:  global
        .offset:         0
        .size:           8
        .value_kind:     global_buffer
      - .address_space:  global
        .offset:         8
        .size:           8
        .value_kind:     global_buffer
      - .offset:         16
        .size:           8
        .value_kind:     by_value
      - .offset:         24
        .size:           4
        .value_kind:     hidden_block_count_x
      - .offset:         28
        .size:           4
        .value_kind:     hidden_block_count_y
      - .offset:         32
        .size:           4
        .value_kind:     hidden_block_count_z
      - .offset:         36
        .size:           2
        .value_kind:     hidden_group_size_x
      - .offset:         38
        .size:           2
        .value_kind:     hidden_group_size_y
      - .offset:         40
        .size:           2
        .value_kind:     hidden_group_size_z
      - .offset:         42
        .size:           2
        .value_kind:     hidden_remainder_x
      - .offset:         44
        .size:           2
        .value_kind:     hidden_remainder_y
      - .offset:         46
        .size:           2
        .value_kind:     hidden_remainder_z
      - .offset:         64
        .size:           8
        .value_kind:     hidden_global_offset_x
      - .offset:         72
        .size:           8
        .value_kind:     hidden_global_offset_y
      - .offset:         80
        .size:           8
        .value_kind:     hidden_global_offset_z
      - .offset:         88
        .size:           2
        .value_kind:     hidden_grid_dims
    .group_segment_fixed_size: 8
    .kernarg_segment_align: 8
    .kernarg_segment_size: 280
    .language:       OpenCL C
    .language_version:
      - 2
      - 0
    .max_flat_workgroup_size: 64
    .name:           _Z6kernelI14exclusive_scanILN6hipcub18BlockScanAlgorithmE0EEdLj64ELj1ELj100EEvPKT0_PS4_S4_
    .private_segment_fixed_size: 0
    .sgpr_count:     26
    .sgpr_spill_count: 0
    .symbol:         _Z6kernelI14exclusive_scanILN6hipcub18BlockScanAlgorithmE0EEdLj64ELj1ELj100EEvPKT0_PS4_S4_.kd
    .uniform_work_group_size: 1
    .uses_dynamic_stack: false
    .vgpr_count:     8
    .vgpr_spill_count: 0
    .wavefront_size: 64
  - .args:
      - .address_space:  global
        .offset:         0
        .size:           8
        .value_kind:     global_buffer
      - .address_space:  global
        .offset:         8
        .size:           8
        .value_kind:     global_buffer
      - .offset:         16
        .size:           8
        .value_kind:     by_value
      - .offset:         24
        .size:           4
        .value_kind:     hidden_block_count_x
      - .offset:         28
        .size:           4
        .value_kind:     hidden_block_count_y
      - .offset:         32
        .size:           4
        .value_kind:     hidden_block_count_z
      - .offset:         36
        .size:           2
        .value_kind:     hidden_group_size_x
      - .offset:         38
        .size:           2
        .value_kind:     hidden_group_size_y
      - .offset:         40
        .size:           2
        .value_kind:     hidden_group_size_z
      - .offset:         42
        .size:           2
        .value_kind:     hidden_remainder_x
      - .offset:         44
        .size:           2
        .value_kind:     hidden_remainder_y
      - .offset:         46
        .size:           2
        .value_kind:     hidden_remainder_z
      - .offset:         64
        .size:           8
        .value_kind:     hidden_global_offset_x
      - .offset:         72
        .size:           8
        .value_kind:     hidden_global_offset_y
      - .offset:         80
        .size:           8
        .value_kind:     hidden_global_offset_z
      - .offset:         88
        .size:           2
        .value_kind:     hidden_grid_dims
    .group_segment_fixed_size: 8
    .kernarg_segment_align: 8
    .kernarg_segment_size: 280
    .language:       OpenCL C
    .language_version:
      - 2
      - 0
    .max_flat_workgroup_size: 64
    .name:           _Z6kernelI14exclusive_scanILN6hipcub18BlockScanAlgorithmE0EEdLj64ELj3ELj100EEvPKT0_PS4_S4_
    .private_segment_fixed_size: 0
    .sgpr_count:     26
    .sgpr_spill_count: 0
    .symbol:         _Z6kernelI14exclusive_scanILN6hipcub18BlockScanAlgorithmE0EEdLj64ELj3ELj100EEvPKT0_PS4_S4_.kd
    .uniform_work_group_size: 1
    .uses_dynamic_stack: false
    .vgpr_count:     21
    .vgpr_spill_count: 0
    .wavefront_size: 64
  - .args:
      - .address_space:  global
        .offset:         0
        .size:           8
        .value_kind:     global_buffer
      - .address_space:  global
        .offset:         8
        .size:           8
        .value_kind:     global_buffer
      - .offset:         16
        .size:           8
        .value_kind:     by_value
      - .offset:         24
        .size:           4
        .value_kind:     hidden_block_count_x
      - .offset:         28
        .size:           4
        .value_kind:     hidden_block_count_y
      - .offset:         32
        .size:           4
        .value_kind:     hidden_block_count_z
      - .offset:         36
        .size:           2
        .value_kind:     hidden_group_size_x
      - .offset:         38
        .size:           2
        .value_kind:     hidden_group_size_y
      - .offset:         40
        .size:           2
        .value_kind:     hidden_group_size_z
      - .offset:         42
        .size:           2
        .value_kind:     hidden_remainder_x
      - .offset:         44
        .size:           2
        .value_kind:     hidden_remainder_y
      - .offset:         46
        .size:           2
        .value_kind:     hidden_remainder_z
      - .offset:         64
        .size:           8
        .value_kind:     hidden_global_offset_x
      - .offset:         72
        .size:           8
        .value_kind:     hidden_global_offset_y
      - .offset:         80
        .size:           8
        .value_kind:     hidden_global_offset_z
      - .offset:         88
        .size:           2
        .value_kind:     hidden_grid_dims
    .group_segment_fixed_size: 8
    .kernarg_segment_align: 8
    .kernarg_segment_size: 280
    .language:       OpenCL C
    .language_version:
      - 2
      - 0
    .max_flat_workgroup_size: 64
    .name:           _Z6kernelI14exclusive_scanILN6hipcub18BlockScanAlgorithmE0EEdLj64ELj4ELj100EEvPKT0_PS4_S4_
    .private_segment_fixed_size: 0
    .sgpr_count:     26
    .sgpr_spill_count: 0
    .symbol:         _Z6kernelI14exclusive_scanILN6hipcub18BlockScanAlgorithmE0EEdLj64ELj4ELj100EEvPKT0_PS4_S4_.kd
    .uniform_work_group_size: 1
    .uses_dynamic_stack: false
    .vgpr_count:     19
    .vgpr_spill_count: 0
    .wavefront_size: 64
  - .args:
      - .address_space:  global
        .offset:         0
        .size:           8
        .value_kind:     global_buffer
      - .address_space:  global
        .offset:         8
        .size:           8
        .value_kind:     global_buffer
      - .offset:         16
        .size:           8
        .value_kind:     by_value
      - .offset:         24
        .size:           4
        .value_kind:     hidden_block_count_x
      - .offset:         28
        .size:           4
        .value_kind:     hidden_block_count_y
      - .offset:         32
        .size:           4
        .value_kind:     hidden_block_count_z
      - .offset:         36
        .size:           2
        .value_kind:     hidden_group_size_x
      - .offset:         38
        .size:           2
        .value_kind:     hidden_group_size_y
      - .offset:         40
        .size:           2
        .value_kind:     hidden_group_size_z
      - .offset:         42
        .size:           2
        .value_kind:     hidden_remainder_x
      - .offset:         44
        .size:           2
        .value_kind:     hidden_remainder_y
      - .offset:         46
        .size:           2
        .value_kind:     hidden_remainder_z
      - .offset:         64
        .size:           8
        .value_kind:     hidden_global_offset_x
      - .offset:         72
        .size:           8
        .value_kind:     hidden_global_offset_y
      - .offset:         80
        .size:           8
        .value_kind:     hidden_global_offset_z
      - .offset:         88
        .size:           2
        .value_kind:     hidden_grid_dims
    .group_segment_fixed_size: 8
    .kernarg_segment_align: 8
    .kernarg_segment_size: 280
    .language:       OpenCL C
    .language_version:
      - 2
      - 0
    .max_flat_workgroup_size: 64
    .name:           _Z6kernelI14exclusive_scanILN6hipcub18BlockScanAlgorithmE0EEdLj64ELj8ELj100EEvPKT0_PS4_S4_
    .private_segment_fixed_size: 0
    .sgpr_count:     26
    .sgpr_spill_count: 0
    .symbol:         _Z6kernelI14exclusive_scanILN6hipcub18BlockScanAlgorithmE0EEdLj64ELj8ELj100EEvPKT0_PS4_S4_.kd
    .uniform_work_group_size: 1
    .uses_dynamic_stack: false
    .vgpr_count:     25
    .vgpr_spill_count: 0
    .wavefront_size: 64
  - .args:
      - .address_space:  global
        .offset:         0
        .size:           8
        .value_kind:     global_buffer
      - .address_space:  global
        .offset:         8
        .size:           8
        .value_kind:     global_buffer
      - .offset:         16
        .size:           8
        .value_kind:     by_value
      - .offset:         24
        .size:           4
        .value_kind:     hidden_block_count_x
      - .offset:         28
        .size:           4
        .value_kind:     hidden_block_count_y
      - .offset:         32
        .size:           4
        .value_kind:     hidden_block_count_z
      - .offset:         36
        .size:           2
        .value_kind:     hidden_group_size_x
      - .offset:         38
        .size:           2
        .value_kind:     hidden_group_size_y
      - .offset:         40
        .size:           2
        .value_kind:     hidden_group_size_z
      - .offset:         42
        .size:           2
        .value_kind:     hidden_remainder_x
      - .offset:         44
        .size:           2
        .value_kind:     hidden_remainder_y
      - .offset:         46
        .size:           2
        .value_kind:     hidden_remainder_z
      - .offset:         64
        .size:           8
        .value_kind:     hidden_global_offset_x
      - .offset:         72
        .size:           8
        .value_kind:     hidden_global_offset_y
      - .offset:         80
        .size:           8
        .value_kind:     hidden_global_offset_z
      - .offset:         88
        .size:           2
        .value_kind:     hidden_grid_dims
    .group_segment_fixed_size: 8
    .kernarg_segment_align: 8
    .kernarg_segment_size: 280
    .language:       OpenCL C
    .language_version:
      - 2
      - 0
    .max_flat_workgroup_size: 64
    .name:           _Z6kernelI14exclusive_scanILN6hipcub18BlockScanAlgorithmE0EEdLj64ELj11ELj100EEvPKT0_PS4_S4_
    .private_segment_fixed_size: 0
    .sgpr_count:     26
    .sgpr_spill_count: 0
    .symbol:         _Z6kernelI14exclusive_scanILN6hipcub18BlockScanAlgorithmE0EEdLj64ELj11ELj100EEvPKT0_PS4_S4_.kd
    .uniform_work_group_size: 1
    .uses_dynamic_stack: false
    .vgpr_count:     65
    .vgpr_spill_count: 0
    .wavefront_size: 64
  - .args:
      - .address_space:  global
        .offset:         0
        .size:           8
        .value_kind:     global_buffer
      - .address_space:  global
        .offset:         8
        .size:           8
        .value_kind:     global_buffer
      - .offset:         16
        .size:           8
        .value_kind:     by_value
      - .offset:         24
        .size:           4
        .value_kind:     hidden_block_count_x
      - .offset:         28
        .size:           4
        .value_kind:     hidden_block_count_y
      - .offset:         32
        .size:           4
        .value_kind:     hidden_block_count_z
      - .offset:         36
        .size:           2
        .value_kind:     hidden_group_size_x
      - .offset:         38
        .size:           2
        .value_kind:     hidden_group_size_y
      - .offset:         40
        .size:           2
        .value_kind:     hidden_group_size_z
      - .offset:         42
        .size:           2
        .value_kind:     hidden_remainder_x
      - .offset:         44
        .size:           2
        .value_kind:     hidden_remainder_y
      - .offset:         46
        .size:           2
        .value_kind:     hidden_remainder_z
      - .offset:         64
        .size:           8
        .value_kind:     hidden_global_offset_x
      - .offset:         72
        .size:           8
        .value_kind:     hidden_global_offset_y
      - .offset:         80
        .size:           8
        .value_kind:     hidden_global_offset_z
      - .offset:         88
        .size:           2
        .value_kind:     hidden_grid_dims
    .group_segment_fixed_size: 8
    .kernarg_segment_align: 8
    .kernarg_segment_size: 280
    .language:       OpenCL C
    .language_version:
      - 2
      - 0
    .max_flat_workgroup_size: 64
    .name:           _Z6kernelI14exclusive_scanILN6hipcub18BlockScanAlgorithmE0EEdLj64ELj16ELj100EEvPKT0_PS4_S4_
    .private_segment_fixed_size: 0
    .sgpr_count:     26
    .sgpr_spill_count: 0
    .symbol:         _Z6kernelI14exclusive_scanILN6hipcub18BlockScanAlgorithmE0EEdLj64ELj16ELj100EEvPKT0_PS4_S4_.kd
    .uniform_work_group_size: 1
    .uses_dynamic_stack: false
    .vgpr_count:     49
    .vgpr_spill_count: 0
    .wavefront_size: 64
  - .args:
      - .address_space:  global
        .offset:         0
        .size:           8
        .value_kind:     global_buffer
      - .address_space:  global
        .offset:         8
        .size:           8
        .value_kind:     global_buffer
      - .offset:         16
        .size:           1
        .value_kind:     by_value
      - .offset:         24
        .size:           4
        .value_kind:     hidden_block_count_x
      - .offset:         28
        .size:           4
        .value_kind:     hidden_block_count_y
      - .offset:         32
        .size:           4
        .value_kind:     hidden_block_count_z
      - .offset:         36
        .size:           2
        .value_kind:     hidden_group_size_x
      - .offset:         38
        .size:           2
        .value_kind:     hidden_group_size_y
      - .offset:         40
        .size:           2
        .value_kind:     hidden_group_size_z
      - .offset:         42
        .size:           2
        .value_kind:     hidden_remainder_x
      - .offset:         44
        .size:           2
        .value_kind:     hidden_remainder_y
      - .offset:         46
        .size:           2
        .value_kind:     hidden_remainder_z
      - .offset:         64
        .size:           8
        .value_kind:     hidden_global_offset_x
      - .offset:         72
        .size:           8
        .value_kind:     hidden_global_offset_y
      - .offset:         80
        .size:           8
        .value_kind:     hidden_global_offset_z
      - .offset:         88
        .size:           2
        .value_kind:     hidden_grid_dims
    .group_segment_fixed_size: 1
    .kernarg_segment_align: 8
    .kernarg_segment_size: 280
    .language:       OpenCL C
    .language_version:
      - 2
      - 0
    .max_flat_workgroup_size: 64
    .name:           _Z6kernelI14exclusive_scanILN6hipcub18BlockScanAlgorithmE0EEhLj64ELj1ELj100EEvPKT0_PS4_S4_
    .private_segment_fixed_size: 0
    .sgpr_count:     25
    .sgpr_spill_count: 0
    .symbol:         _Z6kernelI14exclusive_scanILN6hipcub18BlockScanAlgorithmE0EEhLj64ELj1ELj100EEvPKT0_PS4_S4_.kd
    .uniform_work_group_size: 1
    .uses_dynamic_stack: false
    .vgpr_count:     6
    .vgpr_spill_count: 0
    .wavefront_size: 64
  - .args:
      - .address_space:  global
        .offset:         0
        .size:           8
        .value_kind:     global_buffer
      - .address_space:  global
        .offset:         8
        .size:           8
        .value_kind:     global_buffer
      - .offset:         16
        .size:           1
        .value_kind:     by_value
      - .offset:         24
        .size:           4
        .value_kind:     hidden_block_count_x
      - .offset:         28
        .size:           4
        .value_kind:     hidden_block_count_y
      - .offset:         32
        .size:           4
        .value_kind:     hidden_block_count_z
      - .offset:         36
        .size:           2
        .value_kind:     hidden_group_size_x
      - .offset:         38
        .size:           2
        .value_kind:     hidden_group_size_y
      - .offset:         40
        .size:           2
        .value_kind:     hidden_group_size_z
      - .offset:         42
        .size:           2
        .value_kind:     hidden_remainder_x
      - .offset:         44
        .size:           2
        .value_kind:     hidden_remainder_y
      - .offset:         46
        .size:           2
        .value_kind:     hidden_remainder_z
      - .offset:         64
        .size:           8
        .value_kind:     hidden_global_offset_x
      - .offset:         72
        .size:           8
        .value_kind:     hidden_global_offset_y
      - .offset:         80
        .size:           8
        .value_kind:     hidden_global_offset_z
      - .offset:         88
        .size:           2
        .value_kind:     hidden_grid_dims
    .group_segment_fixed_size: 1
    .kernarg_segment_align: 8
    .kernarg_segment_size: 280
    .language:       OpenCL C
    .language_version:
      - 2
      - 0
    .max_flat_workgroup_size: 64
    .name:           _Z6kernelI14exclusive_scanILN6hipcub18BlockScanAlgorithmE0EEhLj64ELj3ELj100EEvPKT0_PS4_S4_
    .private_segment_fixed_size: 0
    .sgpr_count:     25
    .sgpr_spill_count: 0
    .symbol:         _Z6kernelI14exclusive_scanILN6hipcub18BlockScanAlgorithmE0EEhLj64ELj3ELj100EEvPKT0_PS4_S4_.kd
    .uniform_work_group_size: 1
    .uses_dynamic_stack: false
    .vgpr_count:     11
    .vgpr_spill_count: 0
    .wavefront_size: 64
  - .args:
      - .address_space:  global
        .offset:         0
        .size:           8
        .value_kind:     global_buffer
      - .address_space:  global
        .offset:         8
        .size:           8
        .value_kind:     global_buffer
      - .offset:         16
        .size:           1
        .value_kind:     by_value
      - .offset:         24
        .size:           4
        .value_kind:     hidden_block_count_x
      - .offset:         28
        .size:           4
        .value_kind:     hidden_block_count_y
      - .offset:         32
        .size:           4
        .value_kind:     hidden_block_count_z
      - .offset:         36
        .size:           2
        .value_kind:     hidden_group_size_x
      - .offset:         38
        .size:           2
        .value_kind:     hidden_group_size_y
      - .offset:         40
        .size:           2
        .value_kind:     hidden_group_size_z
      - .offset:         42
        .size:           2
        .value_kind:     hidden_remainder_x
      - .offset:         44
        .size:           2
        .value_kind:     hidden_remainder_y
      - .offset:         46
        .size:           2
        .value_kind:     hidden_remainder_z
      - .offset:         64
        .size:           8
        .value_kind:     hidden_global_offset_x
      - .offset:         72
        .size:           8
        .value_kind:     hidden_global_offset_y
      - .offset:         80
        .size:           8
        .value_kind:     hidden_global_offset_z
      - .offset:         88
        .size:           2
        .value_kind:     hidden_grid_dims
    .group_segment_fixed_size: 1
    .kernarg_segment_align: 8
    .kernarg_segment_size: 280
    .language:       OpenCL C
    .language_version:
      - 2
      - 0
    .max_flat_workgroup_size: 64
    .name:           _Z6kernelI14exclusive_scanILN6hipcub18BlockScanAlgorithmE0EEhLj64ELj4ELj100EEvPKT0_PS4_S4_
    .private_segment_fixed_size: 0
    .sgpr_count:     25
    .sgpr_spill_count: 0
    .symbol:         _Z6kernelI14exclusive_scanILN6hipcub18BlockScanAlgorithmE0EEhLj64ELj4ELj100EEvPKT0_PS4_S4_.kd
    .uniform_work_group_size: 1
    .uses_dynamic_stack: false
    .vgpr_count:     10
    .vgpr_spill_count: 0
    .wavefront_size: 64
  - .args:
      - .address_space:  global
        .offset:         0
        .size:           8
        .value_kind:     global_buffer
      - .address_space:  global
        .offset:         8
        .size:           8
        .value_kind:     global_buffer
      - .offset:         16
        .size:           1
        .value_kind:     by_value
      - .offset:         24
        .size:           4
        .value_kind:     hidden_block_count_x
      - .offset:         28
        .size:           4
        .value_kind:     hidden_block_count_y
      - .offset:         32
        .size:           4
        .value_kind:     hidden_block_count_z
      - .offset:         36
        .size:           2
        .value_kind:     hidden_group_size_x
      - .offset:         38
        .size:           2
        .value_kind:     hidden_group_size_y
      - .offset:         40
        .size:           2
        .value_kind:     hidden_group_size_z
      - .offset:         42
        .size:           2
        .value_kind:     hidden_remainder_x
      - .offset:         44
        .size:           2
        .value_kind:     hidden_remainder_y
      - .offset:         46
        .size:           2
        .value_kind:     hidden_remainder_z
      - .offset:         64
        .size:           8
        .value_kind:     hidden_global_offset_x
      - .offset:         72
        .size:           8
        .value_kind:     hidden_global_offset_y
      - .offset:         80
        .size:           8
        .value_kind:     hidden_global_offset_z
      - .offset:         88
        .size:           2
        .value_kind:     hidden_grid_dims
    .group_segment_fixed_size: 1
    .kernarg_segment_align: 8
    .kernarg_segment_size: 280
    .language:       OpenCL C
    .language_version:
      - 2
      - 0
    .max_flat_workgroup_size: 64
    .name:           _Z6kernelI14exclusive_scanILN6hipcub18BlockScanAlgorithmE0EEhLj64ELj8ELj100EEvPKT0_PS4_S4_
    .private_segment_fixed_size: 0
    .sgpr_count:     25
    .sgpr_spill_count: 0
    .symbol:         _Z6kernelI14exclusive_scanILN6hipcub18BlockScanAlgorithmE0EEhLj64ELj8ELj100EEvPKT0_PS4_S4_.kd
    .uniform_work_group_size: 1
    .uses_dynamic_stack: false
    .vgpr_count:     14
    .vgpr_spill_count: 0
    .wavefront_size: 64
  - .args:
      - .address_space:  global
        .offset:         0
        .size:           8
        .value_kind:     global_buffer
      - .address_space:  global
        .offset:         8
        .size:           8
        .value_kind:     global_buffer
      - .offset:         16
        .size:           1
        .value_kind:     by_value
      - .offset:         24
        .size:           4
        .value_kind:     hidden_block_count_x
      - .offset:         28
        .size:           4
        .value_kind:     hidden_block_count_y
      - .offset:         32
        .size:           4
        .value_kind:     hidden_block_count_z
      - .offset:         36
        .size:           2
        .value_kind:     hidden_group_size_x
      - .offset:         38
        .size:           2
        .value_kind:     hidden_group_size_y
      - .offset:         40
        .size:           2
        .value_kind:     hidden_group_size_z
      - .offset:         42
        .size:           2
        .value_kind:     hidden_remainder_x
      - .offset:         44
        .size:           2
        .value_kind:     hidden_remainder_y
      - .offset:         46
        .size:           2
        .value_kind:     hidden_remainder_z
      - .offset:         64
        .size:           8
        .value_kind:     hidden_global_offset_x
      - .offset:         72
        .size:           8
        .value_kind:     hidden_global_offset_y
      - .offset:         80
        .size:           8
        .value_kind:     hidden_global_offset_z
      - .offset:         88
        .size:           2
        .value_kind:     hidden_grid_dims
    .group_segment_fixed_size: 1
    .kernarg_segment_align: 8
    .kernarg_segment_size: 280
    .language:       OpenCL C
    .language_version:
      - 2
      - 0
    .max_flat_workgroup_size: 64
    .name:           _Z6kernelI14exclusive_scanILN6hipcub18BlockScanAlgorithmE0EEhLj64ELj11ELj100EEvPKT0_PS4_S4_
    .private_segment_fixed_size: 0
    .sgpr_count:     28
    .sgpr_spill_count: 0
    .symbol:         _Z6kernelI14exclusive_scanILN6hipcub18BlockScanAlgorithmE0EEhLj64ELj11ELj100EEvPKT0_PS4_S4_.kd
    .uniform_work_group_size: 1
    .uses_dynamic_stack: false
    .vgpr_count:     28
    .vgpr_spill_count: 0
    .wavefront_size: 64
  - .args:
      - .address_space:  global
        .offset:         0
        .size:           8
        .value_kind:     global_buffer
      - .address_space:  global
        .offset:         8
        .size:           8
        .value_kind:     global_buffer
      - .offset:         16
        .size:           1
        .value_kind:     by_value
      - .offset:         24
        .size:           4
        .value_kind:     hidden_block_count_x
      - .offset:         28
        .size:           4
        .value_kind:     hidden_block_count_y
      - .offset:         32
        .size:           4
        .value_kind:     hidden_block_count_z
      - .offset:         36
        .size:           2
        .value_kind:     hidden_group_size_x
      - .offset:         38
        .size:           2
        .value_kind:     hidden_group_size_y
      - .offset:         40
        .size:           2
        .value_kind:     hidden_group_size_z
      - .offset:         42
        .size:           2
        .value_kind:     hidden_remainder_x
      - .offset:         44
        .size:           2
        .value_kind:     hidden_remainder_y
      - .offset:         46
        .size:           2
        .value_kind:     hidden_remainder_z
      - .offset:         64
        .size:           8
        .value_kind:     hidden_global_offset_x
      - .offset:         72
        .size:           8
        .value_kind:     hidden_global_offset_y
      - .offset:         80
        .size:           8
        .value_kind:     hidden_global_offset_z
      - .offset:         88
        .size:           2
        .value_kind:     hidden_grid_dims
    .group_segment_fixed_size: 1
    .kernarg_segment_align: 8
    .kernarg_segment_size: 280
    .language:       OpenCL C
    .language_version:
      - 2
      - 0
    .max_flat_workgroup_size: 64
    .name:           _Z6kernelI14exclusive_scanILN6hipcub18BlockScanAlgorithmE0EEhLj64ELj16ELj100EEvPKT0_PS4_S4_
    .private_segment_fixed_size: 0
    .sgpr_count:     25
    .sgpr_spill_count: 0
    .symbol:         _Z6kernelI14exclusive_scanILN6hipcub18BlockScanAlgorithmE0EEhLj64ELj16ELj100EEvPKT0_PS4_S4_.kd
    .uniform_work_group_size: 1
    .uses_dynamic_stack: false
    .vgpr_count:     23
    .vgpr_spill_count: 0
    .wavefront_size: 64
  - .args:
      - .address_space:  global
        .offset:         0
        .size:           8
        .value_kind:     global_buffer
      - .address_space:  global
        .offset:         8
        .size:           8
        .value_kind:     global_buffer
      - .offset:         16
        .size:           4
        .value_kind:     by_value
      - .offset:         24
        .size:           4
        .value_kind:     hidden_block_count_x
      - .offset:         28
        .size:           4
        .value_kind:     hidden_block_count_y
      - .offset:         32
        .size:           4
        .value_kind:     hidden_block_count_z
      - .offset:         36
        .size:           2
        .value_kind:     hidden_group_size_x
      - .offset:         38
        .size:           2
        .value_kind:     hidden_group_size_y
      - .offset:         40
        .size:           2
        .value_kind:     hidden_group_size_z
      - .offset:         42
        .size:           2
        .value_kind:     hidden_remainder_x
      - .offset:         44
        .size:           2
        .value_kind:     hidden_remainder_y
      - .offset:         46
        .size:           2
        .value_kind:     hidden_remainder_z
      - .offset:         64
        .size:           8
        .value_kind:     hidden_global_offset_x
      - .offset:         72
        .size:           8
        .value_kind:     hidden_global_offset_y
      - .offset:         80
        .size:           8
        .value_kind:     hidden_global_offset_z
      - .offset:         88
        .size:           2
        .value_kind:     hidden_grid_dims
    .group_segment_fixed_size: 16
    .kernarg_segment_align: 8
    .kernarg_segment_size: 280
    .language:       OpenCL C
    .language_version:
      - 2
      - 0
    .max_flat_workgroup_size: 256
    .name:           _Z6kernelI14exclusive_scanILN6hipcub18BlockScanAlgorithmE0EEiLj256ELj1ELj100EEvPKT0_PS4_S4_
    .private_segment_fixed_size: 0
    .sgpr_count:     32
    .sgpr_spill_count: 0
    .symbol:         _Z6kernelI14exclusive_scanILN6hipcub18BlockScanAlgorithmE0EEiLj256ELj1ELj100EEvPKT0_PS4_S4_.kd
    .uniform_work_group_size: 1
    .uses_dynamic_stack: false
    .vgpr_count:     9
    .vgpr_spill_count: 0
    .wavefront_size: 64
  - .args:
      - .address_space:  global
        .offset:         0
        .size:           8
        .value_kind:     global_buffer
      - .address_space:  global
        .offset:         8
        .size:           8
        .value_kind:     global_buffer
      - .offset:         16
        .size:           4
        .value_kind:     by_value
      - .offset:         24
        .size:           4
        .value_kind:     hidden_block_count_x
      - .offset:         28
        .size:           4
        .value_kind:     hidden_block_count_y
      - .offset:         32
        .size:           4
        .value_kind:     hidden_block_count_z
      - .offset:         36
        .size:           2
        .value_kind:     hidden_group_size_x
      - .offset:         38
        .size:           2
        .value_kind:     hidden_group_size_y
      - .offset:         40
        .size:           2
        .value_kind:     hidden_group_size_z
      - .offset:         42
        .size:           2
        .value_kind:     hidden_remainder_x
      - .offset:         44
        .size:           2
        .value_kind:     hidden_remainder_y
      - .offset:         46
        .size:           2
        .value_kind:     hidden_remainder_z
      - .offset:         64
        .size:           8
        .value_kind:     hidden_global_offset_x
      - .offset:         72
        .size:           8
        .value_kind:     hidden_global_offset_y
      - .offset:         80
        .size:           8
        .value_kind:     hidden_global_offset_z
      - .offset:         88
        .size:           2
        .value_kind:     hidden_grid_dims
    .group_segment_fixed_size: 16
    .kernarg_segment_align: 8
    .kernarg_segment_size: 280
    .language:       OpenCL C
    .language_version:
      - 2
      - 0
    .max_flat_workgroup_size: 256
    .name:           _Z6kernelI14exclusive_scanILN6hipcub18BlockScanAlgorithmE0EEiLj256ELj3ELj100EEvPKT0_PS4_S4_
    .private_segment_fixed_size: 0
    .sgpr_count:     34
    .sgpr_spill_count: 0
    .symbol:         _Z6kernelI14exclusive_scanILN6hipcub18BlockScanAlgorithmE0EEiLj256ELj3ELj100EEvPKT0_PS4_S4_.kd
    .uniform_work_group_size: 1
    .uses_dynamic_stack: false
    .vgpr_count:     17
    .vgpr_spill_count: 0
    .wavefront_size: 64
  - .args:
      - .address_space:  global
        .offset:         0
        .size:           8
        .value_kind:     global_buffer
      - .address_space:  global
        .offset:         8
        .size:           8
        .value_kind:     global_buffer
      - .offset:         16
        .size:           4
        .value_kind:     by_value
      - .offset:         24
        .size:           4
        .value_kind:     hidden_block_count_x
      - .offset:         28
        .size:           4
        .value_kind:     hidden_block_count_y
      - .offset:         32
        .size:           4
        .value_kind:     hidden_block_count_z
      - .offset:         36
        .size:           2
        .value_kind:     hidden_group_size_x
      - .offset:         38
        .size:           2
        .value_kind:     hidden_group_size_y
      - .offset:         40
        .size:           2
        .value_kind:     hidden_group_size_z
      - .offset:         42
        .size:           2
        .value_kind:     hidden_remainder_x
      - .offset:         44
        .size:           2
        .value_kind:     hidden_remainder_y
      - .offset:         46
        .size:           2
        .value_kind:     hidden_remainder_z
      - .offset:         64
        .size:           8
        .value_kind:     hidden_global_offset_x
      - .offset:         72
        .size:           8
        .value_kind:     hidden_global_offset_y
      - .offset:         80
        .size:           8
        .value_kind:     hidden_global_offset_z
      - .offset:         88
        .size:           2
        .value_kind:     hidden_grid_dims
    .group_segment_fixed_size: 16
    .kernarg_segment_align: 8
    .kernarg_segment_size: 280
    .language:       OpenCL C
    .language_version:
      - 2
      - 0
    .max_flat_workgroup_size: 256
    .name:           _Z6kernelI14exclusive_scanILN6hipcub18BlockScanAlgorithmE0EEiLj256ELj4ELj100EEvPKT0_PS4_S4_
    .private_segment_fixed_size: 0
    .sgpr_count:     34
    .sgpr_spill_count: 0
    .symbol:         _Z6kernelI14exclusive_scanILN6hipcub18BlockScanAlgorithmE0EEiLj256ELj4ELj100EEvPKT0_PS4_S4_.kd
    .uniform_work_group_size: 1
    .uses_dynamic_stack: false
    .vgpr_count:     13
    .vgpr_spill_count: 0
    .wavefront_size: 64
  - .args:
      - .address_space:  global
        .offset:         0
        .size:           8
        .value_kind:     global_buffer
      - .address_space:  global
        .offset:         8
        .size:           8
        .value_kind:     global_buffer
      - .offset:         16
        .size:           4
        .value_kind:     by_value
      - .offset:         24
        .size:           4
        .value_kind:     hidden_block_count_x
      - .offset:         28
        .size:           4
        .value_kind:     hidden_block_count_y
      - .offset:         32
        .size:           4
        .value_kind:     hidden_block_count_z
      - .offset:         36
        .size:           2
        .value_kind:     hidden_group_size_x
      - .offset:         38
        .size:           2
        .value_kind:     hidden_group_size_y
      - .offset:         40
        .size:           2
        .value_kind:     hidden_group_size_z
      - .offset:         42
        .size:           2
        .value_kind:     hidden_remainder_x
      - .offset:         44
        .size:           2
        .value_kind:     hidden_remainder_y
      - .offset:         46
        .size:           2
        .value_kind:     hidden_remainder_z
      - .offset:         64
        .size:           8
        .value_kind:     hidden_global_offset_x
      - .offset:         72
        .size:           8
        .value_kind:     hidden_global_offset_y
      - .offset:         80
        .size:           8
        .value_kind:     hidden_global_offset_z
      - .offset:         88
        .size:           2
        .value_kind:     hidden_grid_dims
    .group_segment_fixed_size: 16
    .kernarg_segment_align: 8
    .kernarg_segment_size: 280
    .language:       OpenCL C
    .language_version:
      - 2
      - 0
    .max_flat_workgroup_size: 256
    .name:           _Z6kernelI14exclusive_scanILN6hipcub18BlockScanAlgorithmE0EEiLj256ELj8ELj100EEvPKT0_PS4_S4_
    .private_segment_fixed_size: 0
    .sgpr_count:     34
    .sgpr_spill_count: 0
    .symbol:         _Z6kernelI14exclusive_scanILN6hipcub18BlockScanAlgorithmE0EEiLj256ELj8ELj100EEvPKT0_PS4_S4_.kd
    .uniform_work_group_size: 1
    .uses_dynamic_stack: false
    .vgpr_count:     21
    .vgpr_spill_count: 0
    .wavefront_size: 64
  - .args:
      - .address_space:  global
        .offset:         0
        .size:           8
        .value_kind:     global_buffer
      - .address_space:  global
        .offset:         8
        .size:           8
        .value_kind:     global_buffer
      - .offset:         16
        .size:           4
        .value_kind:     by_value
      - .offset:         24
        .size:           4
        .value_kind:     hidden_block_count_x
      - .offset:         28
        .size:           4
        .value_kind:     hidden_block_count_y
      - .offset:         32
        .size:           4
        .value_kind:     hidden_block_count_z
      - .offset:         36
        .size:           2
        .value_kind:     hidden_group_size_x
      - .offset:         38
        .size:           2
        .value_kind:     hidden_group_size_y
      - .offset:         40
        .size:           2
        .value_kind:     hidden_group_size_z
      - .offset:         42
        .size:           2
        .value_kind:     hidden_remainder_x
      - .offset:         44
        .size:           2
        .value_kind:     hidden_remainder_y
      - .offset:         46
        .size:           2
        .value_kind:     hidden_remainder_z
      - .offset:         64
        .size:           8
        .value_kind:     hidden_global_offset_x
      - .offset:         72
        .size:           8
        .value_kind:     hidden_global_offset_y
      - .offset:         80
        .size:           8
        .value_kind:     hidden_global_offset_z
      - .offset:         88
        .size:           2
        .value_kind:     hidden_grid_dims
    .group_segment_fixed_size: 16
    .kernarg_segment_align: 8
    .kernarg_segment_size: 280
    .language:       OpenCL C
    .language_version:
      - 2
      - 0
    .max_flat_workgroup_size: 256
    .name:           _Z6kernelI14exclusive_scanILN6hipcub18BlockScanAlgorithmE0EEiLj256ELj11ELj100EEvPKT0_PS4_S4_
    .private_segment_fixed_size: 0
    .sgpr_count:     34
    .sgpr_spill_count: 0
    .symbol:         _Z6kernelI14exclusive_scanILN6hipcub18BlockScanAlgorithmE0EEiLj256ELj11ELj100EEvPKT0_PS4_S4_.kd
    .uniform_work_group_size: 1
    .uses_dynamic_stack: false
    .vgpr_count:     43
    .vgpr_spill_count: 0
    .wavefront_size: 64
  - .args:
      - .address_space:  global
        .offset:         0
        .size:           8
        .value_kind:     global_buffer
      - .address_space:  global
        .offset:         8
        .size:           8
        .value_kind:     global_buffer
      - .offset:         16
        .size:           4
        .value_kind:     by_value
      - .offset:         24
        .size:           4
        .value_kind:     hidden_block_count_x
      - .offset:         28
        .size:           4
        .value_kind:     hidden_block_count_y
      - .offset:         32
        .size:           4
        .value_kind:     hidden_block_count_z
      - .offset:         36
        .size:           2
        .value_kind:     hidden_group_size_x
      - .offset:         38
        .size:           2
        .value_kind:     hidden_group_size_y
      - .offset:         40
        .size:           2
        .value_kind:     hidden_group_size_z
      - .offset:         42
        .size:           2
        .value_kind:     hidden_remainder_x
      - .offset:         44
        .size:           2
        .value_kind:     hidden_remainder_y
      - .offset:         46
        .size:           2
        .value_kind:     hidden_remainder_z
      - .offset:         64
        .size:           8
        .value_kind:     hidden_global_offset_x
      - .offset:         72
        .size:           8
        .value_kind:     hidden_global_offset_y
      - .offset:         80
        .size:           8
        .value_kind:     hidden_global_offset_z
      - .offset:         88
        .size:           2
        .value_kind:     hidden_grid_dims
    .group_segment_fixed_size: 16
    .kernarg_segment_align: 8
    .kernarg_segment_size: 280
    .language:       OpenCL C
    .language_version:
      - 2
      - 0
    .max_flat_workgroup_size: 256
    .name:           _Z6kernelI14exclusive_scanILN6hipcub18BlockScanAlgorithmE0EEiLj256ELj16ELj100EEvPKT0_PS4_S4_
    .private_segment_fixed_size: 0
    .sgpr_count:     34
    .sgpr_spill_count: 0
    .symbol:         _Z6kernelI14exclusive_scanILN6hipcub18BlockScanAlgorithmE0EEiLj256ELj16ELj100EEvPKT0_PS4_S4_.kd
    .uniform_work_group_size: 1
    .uses_dynamic_stack: false
    .vgpr_count:     26
    .vgpr_spill_count: 0
    .wavefront_size: 64
  - .args:
      - .address_space:  global
        .offset:         0
        .size:           8
        .value_kind:     global_buffer
      - .address_space:  global
        .offset:         8
        .size:           8
        .value_kind:     global_buffer
      - .offset:         16
        .size:           4
        .value_kind:     by_value
      - .offset:         24
        .size:           4
        .value_kind:     hidden_block_count_x
      - .offset:         28
        .size:           4
        .value_kind:     hidden_block_count_y
      - .offset:         32
        .size:           4
        .value_kind:     hidden_block_count_z
      - .offset:         36
        .size:           2
        .value_kind:     hidden_group_size_x
      - .offset:         38
        .size:           2
        .value_kind:     hidden_group_size_y
      - .offset:         40
        .size:           2
        .value_kind:     hidden_group_size_z
      - .offset:         42
        .size:           2
        .value_kind:     hidden_remainder_x
      - .offset:         44
        .size:           2
        .value_kind:     hidden_remainder_y
      - .offset:         46
        .size:           2
        .value_kind:     hidden_remainder_z
      - .offset:         64
        .size:           8
        .value_kind:     hidden_global_offset_x
      - .offset:         72
        .size:           8
        .value_kind:     hidden_global_offset_y
      - .offset:         80
        .size:           8
        .value_kind:     hidden_global_offset_z
      - .offset:         88
        .size:           2
        .value_kind:     hidden_grid_dims
    .group_segment_fixed_size: 16
    .kernarg_segment_align: 8
    .kernarg_segment_size: 280
    .language:       OpenCL C
    .language_version:
      - 2
      - 0
    .max_flat_workgroup_size: 256
    .name:           _Z6kernelI14exclusive_scanILN6hipcub18BlockScanAlgorithmE0EEfLj256ELj1ELj100EEvPKT0_PS4_S4_
    .private_segment_fixed_size: 0
    .sgpr_count:     32
    .sgpr_spill_count: 0
    .symbol:         _Z6kernelI14exclusive_scanILN6hipcub18BlockScanAlgorithmE0EEfLj256ELj1ELj100EEvPKT0_PS4_S4_.kd
    .uniform_work_group_size: 1
    .uses_dynamic_stack: false
    .vgpr_count:     9
    .vgpr_spill_count: 0
    .wavefront_size: 64
  - .args:
      - .address_space:  global
        .offset:         0
        .size:           8
        .value_kind:     global_buffer
      - .address_space:  global
        .offset:         8
        .size:           8
        .value_kind:     global_buffer
      - .offset:         16
        .size:           4
        .value_kind:     by_value
      - .offset:         24
        .size:           4
        .value_kind:     hidden_block_count_x
      - .offset:         28
        .size:           4
        .value_kind:     hidden_block_count_y
      - .offset:         32
        .size:           4
        .value_kind:     hidden_block_count_z
      - .offset:         36
        .size:           2
        .value_kind:     hidden_group_size_x
      - .offset:         38
        .size:           2
        .value_kind:     hidden_group_size_y
      - .offset:         40
        .size:           2
        .value_kind:     hidden_group_size_z
      - .offset:         42
        .size:           2
        .value_kind:     hidden_remainder_x
      - .offset:         44
        .size:           2
        .value_kind:     hidden_remainder_y
      - .offset:         46
        .size:           2
        .value_kind:     hidden_remainder_z
      - .offset:         64
        .size:           8
        .value_kind:     hidden_global_offset_x
      - .offset:         72
        .size:           8
        .value_kind:     hidden_global_offset_y
      - .offset:         80
        .size:           8
        .value_kind:     hidden_global_offset_z
      - .offset:         88
        .size:           2
        .value_kind:     hidden_grid_dims
    .group_segment_fixed_size: 16
    .kernarg_segment_align: 8
    .kernarg_segment_size: 280
    .language:       OpenCL C
    .language_version:
      - 2
      - 0
    .max_flat_workgroup_size: 256
    .name:           _Z6kernelI14exclusive_scanILN6hipcub18BlockScanAlgorithmE0EEfLj256ELj3ELj100EEvPKT0_PS4_S4_
    .private_segment_fixed_size: 0
    .sgpr_count:     34
    .sgpr_spill_count: 0
    .symbol:         _Z6kernelI14exclusive_scanILN6hipcub18BlockScanAlgorithmE0EEfLj256ELj3ELj100EEvPKT0_PS4_S4_.kd
    .uniform_work_group_size: 1
    .uses_dynamic_stack: false
    .vgpr_count:     17
    .vgpr_spill_count: 0
    .wavefront_size: 64
  - .args:
      - .address_space:  global
        .offset:         0
        .size:           8
        .value_kind:     global_buffer
      - .address_space:  global
        .offset:         8
        .size:           8
        .value_kind:     global_buffer
      - .offset:         16
        .size:           4
        .value_kind:     by_value
      - .offset:         24
        .size:           4
        .value_kind:     hidden_block_count_x
      - .offset:         28
        .size:           4
        .value_kind:     hidden_block_count_y
      - .offset:         32
        .size:           4
        .value_kind:     hidden_block_count_z
      - .offset:         36
        .size:           2
        .value_kind:     hidden_group_size_x
      - .offset:         38
        .size:           2
        .value_kind:     hidden_group_size_y
      - .offset:         40
        .size:           2
        .value_kind:     hidden_group_size_z
      - .offset:         42
        .size:           2
        .value_kind:     hidden_remainder_x
      - .offset:         44
        .size:           2
        .value_kind:     hidden_remainder_y
      - .offset:         46
        .size:           2
        .value_kind:     hidden_remainder_z
      - .offset:         64
        .size:           8
        .value_kind:     hidden_global_offset_x
      - .offset:         72
        .size:           8
        .value_kind:     hidden_global_offset_y
      - .offset:         80
        .size:           8
        .value_kind:     hidden_global_offset_z
      - .offset:         88
        .size:           2
        .value_kind:     hidden_grid_dims
    .group_segment_fixed_size: 16
    .kernarg_segment_align: 8
    .kernarg_segment_size: 280
    .language:       OpenCL C
    .language_version:
      - 2
      - 0
    .max_flat_workgroup_size: 256
    .name:           _Z6kernelI14exclusive_scanILN6hipcub18BlockScanAlgorithmE0EEfLj256ELj4ELj100EEvPKT0_PS4_S4_
    .private_segment_fixed_size: 0
    .sgpr_count:     34
    .sgpr_spill_count: 0
    .symbol:         _Z6kernelI14exclusive_scanILN6hipcub18BlockScanAlgorithmE0EEfLj256ELj4ELj100EEvPKT0_PS4_S4_.kd
    .uniform_work_group_size: 1
    .uses_dynamic_stack: false
    .vgpr_count:     13
    .vgpr_spill_count: 0
    .wavefront_size: 64
  - .args:
      - .address_space:  global
        .offset:         0
        .size:           8
        .value_kind:     global_buffer
      - .address_space:  global
        .offset:         8
        .size:           8
        .value_kind:     global_buffer
      - .offset:         16
        .size:           4
        .value_kind:     by_value
      - .offset:         24
        .size:           4
        .value_kind:     hidden_block_count_x
      - .offset:         28
        .size:           4
        .value_kind:     hidden_block_count_y
      - .offset:         32
        .size:           4
        .value_kind:     hidden_block_count_z
      - .offset:         36
        .size:           2
        .value_kind:     hidden_group_size_x
      - .offset:         38
        .size:           2
        .value_kind:     hidden_group_size_y
      - .offset:         40
        .size:           2
        .value_kind:     hidden_group_size_z
      - .offset:         42
        .size:           2
        .value_kind:     hidden_remainder_x
      - .offset:         44
        .size:           2
        .value_kind:     hidden_remainder_y
      - .offset:         46
        .size:           2
        .value_kind:     hidden_remainder_z
      - .offset:         64
        .size:           8
        .value_kind:     hidden_global_offset_x
      - .offset:         72
        .size:           8
        .value_kind:     hidden_global_offset_y
      - .offset:         80
        .size:           8
        .value_kind:     hidden_global_offset_z
      - .offset:         88
        .size:           2
        .value_kind:     hidden_grid_dims
    .group_segment_fixed_size: 16
    .kernarg_segment_align: 8
    .kernarg_segment_size: 280
    .language:       OpenCL C
    .language_version:
      - 2
      - 0
    .max_flat_workgroup_size: 256
    .name:           _Z6kernelI14exclusive_scanILN6hipcub18BlockScanAlgorithmE0EEfLj256ELj8ELj100EEvPKT0_PS4_S4_
    .private_segment_fixed_size: 0
    .sgpr_count:     34
    .sgpr_spill_count: 0
    .symbol:         _Z6kernelI14exclusive_scanILN6hipcub18BlockScanAlgorithmE0EEfLj256ELj8ELj100EEvPKT0_PS4_S4_.kd
    .uniform_work_group_size: 1
    .uses_dynamic_stack: false
    .vgpr_count:     21
    .vgpr_spill_count: 0
    .wavefront_size: 64
  - .args:
      - .address_space:  global
        .offset:         0
        .size:           8
        .value_kind:     global_buffer
      - .address_space:  global
        .offset:         8
        .size:           8
        .value_kind:     global_buffer
      - .offset:         16
        .size:           4
        .value_kind:     by_value
      - .offset:         24
        .size:           4
        .value_kind:     hidden_block_count_x
      - .offset:         28
        .size:           4
        .value_kind:     hidden_block_count_y
      - .offset:         32
        .size:           4
        .value_kind:     hidden_block_count_z
      - .offset:         36
        .size:           2
        .value_kind:     hidden_group_size_x
      - .offset:         38
        .size:           2
        .value_kind:     hidden_group_size_y
      - .offset:         40
        .size:           2
        .value_kind:     hidden_group_size_z
      - .offset:         42
        .size:           2
        .value_kind:     hidden_remainder_x
      - .offset:         44
        .size:           2
        .value_kind:     hidden_remainder_y
      - .offset:         46
        .size:           2
        .value_kind:     hidden_remainder_z
      - .offset:         64
        .size:           8
        .value_kind:     hidden_global_offset_x
      - .offset:         72
        .size:           8
        .value_kind:     hidden_global_offset_y
      - .offset:         80
        .size:           8
        .value_kind:     hidden_global_offset_z
      - .offset:         88
        .size:           2
        .value_kind:     hidden_grid_dims
    .group_segment_fixed_size: 16
    .kernarg_segment_align: 8
    .kernarg_segment_size: 280
    .language:       OpenCL C
    .language_version:
      - 2
      - 0
    .max_flat_workgroup_size: 256
    .name:           _Z6kernelI14exclusive_scanILN6hipcub18BlockScanAlgorithmE0EEfLj256ELj11ELj100EEvPKT0_PS4_S4_
    .private_segment_fixed_size: 0
    .sgpr_count:     34
    .sgpr_spill_count: 0
    .symbol:         _Z6kernelI14exclusive_scanILN6hipcub18BlockScanAlgorithmE0EEfLj256ELj11ELj100EEvPKT0_PS4_S4_.kd
    .uniform_work_group_size: 1
    .uses_dynamic_stack: false
    .vgpr_count:     43
    .vgpr_spill_count: 0
    .wavefront_size: 64
  - .args:
      - .address_space:  global
        .offset:         0
        .size:           8
        .value_kind:     global_buffer
      - .address_space:  global
        .offset:         8
        .size:           8
        .value_kind:     global_buffer
      - .offset:         16
        .size:           4
        .value_kind:     by_value
      - .offset:         24
        .size:           4
        .value_kind:     hidden_block_count_x
      - .offset:         28
        .size:           4
        .value_kind:     hidden_block_count_y
      - .offset:         32
        .size:           4
        .value_kind:     hidden_block_count_z
      - .offset:         36
        .size:           2
        .value_kind:     hidden_group_size_x
      - .offset:         38
        .size:           2
        .value_kind:     hidden_group_size_y
      - .offset:         40
        .size:           2
        .value_kind:     hidden_group_size_z
      - .offset:         42
        .size:           2
        .value_kind:     hidden_remainder_x
      - .offset:         44
        .size:           2
        .value_kind:     hidden_remainder_y
      - .offset:         46
        .size:           2
        .value_kind:     hidden_remainder_z
      - .offset:         64
        .size:           8
        .value_kind:     hidden_global_offset_x
      - .offset:         72
        .size:           8
        .value_kind:     hidden_global_offset_y
      - .offset:         80
        .size:           8
        .value_kind:     hidden_global_offset_z
      - .offset:         88
        .size:           2
        .value_kind:     hidden_grid_dims
    .group_segment_fixed_size: 16
    .kernarg_segment_align: 8
    .kernarg_segment_size: 280
    .language:       OpenCL C
    .language_version:
      - 2
      - 0
    .max_flat_workgroup_size: 256
    .name:           _Z6kernelI14exclusive_scanILN6hipcub18BlockScanAlgorithmE0EEfLj256ELj16ELj100EEvPKT0_PS4_S4_
    .private_segment_fixed_size: 0
    .sgpr_count:     34
    .sgpr_spill_count: 0
    .symbol:         _Z6kernelI14exclusive_scanILN6hipcub18BlockScanAlgorithmE0EEfLj256ELj16ELj100EEvPKT0_PS4_S4_.kd
    .uniform_work_group_size: 1
    .uses_dynamic_stack: false
    .vgpr_count:     26
    .vgpr_spill_count: 0
    .wavefront_size: 64
  - .args:
      - .address_space:  global
        .offset:         0
        .size:           8
        .value_kind:     global_buffer
      - .address_space:  global
        .offset:         8
        .size:           8
        .value_kind:     global_buffer
      - .offset:         16
        .size:           8
        .value_kind:     by_value
      - .offset:         24
        .size:           4
        .value_kind:     hidden_block_count_x
      - .offset:         28
        .size:           4
        .value_kind:     hidden_block_count_y
      - .offset:         32
        .size:           4
        .value_kind:     hidden_block_count_z
      - .offset:         36
        .size:           2
        .value_kind:     hidden_group_size_x
      - .offset:         38
        .size:           2
        .value_kind:     hidden_group_size_y
      - .offset:         40
        .size:           2
        .value_kind:     hidden_group_size_z
      - .offset:         42
        .size:           2
        .value_kind:     hidden_remainder_x
      - .offset:         44
        .size:           2
        .value_kind:     hidden_remainder_y
      - .offset:         46
        .size:           2
        .value_kind:     hidden_remainder_z
      - .offset:         64
        .size:           8
        .value_kind:     hidden_global_offset_x
      - .offset:         72
        .size:           8
        .value_kind:     hidden_global_offset_y
      - .offset:         80
        .size:           8
        .value_kind:     hidden_global_offset_z
      - .offset:         88
        .size:           2
        .value_kind:     hidden_grid_dims
    .group_segment_fixed_size: 32
    .kernarg_segment_align: 8
    .kernarg_segment_size: 280
    .language:       OpenCL C
    .language_version:
      - 2
      - 0
    .max_flat_workgroup_size: 256
    .name:           _Z6kernelI14exclusive_scanILN6hipcub18BlockScanAlgorithmE0EEdLj256ELj1ELj100EEvPKT0_PS4_S4_
    .private_segment_fixed_size: 0
    .sgpr_count:     35
    .sgpr_spill_count: 0
    .symbol:         _Z6kernelI14exclusive_scanILN6hipcub18BlockScanAlgorithmE0EEdLj256ELj1ELj100EEvPKT0_PS4_S4_.kd
    .uniform_work_group_size: 1
    .uses_dynamic_stack: false
    .vgpr_count:     12
    .vgpr_spill_count: 0
    .wavefront_size: 64
  - .args:
      - .address_space:  global
        .offset:         0
        .size:           8
        .value_kind:     global_buffer
      - .address_space:  global
        .offset:         8
        .size:           8
        .value_kind:     global_buffer
      - .offset:         16
        .size:           8
        .value_kind:     by_value
      - .offset:         24
        .size:           4
        .value_kind:     hidden_block_count_x
      - .offset:         28
        .size:           4
        .value_kind:     hidden_block_count_y
      - .offset:         32
        .size:           4
        .value_kind:     hidden_block_count_z
      - .offset:         36
        .size:           2
        .value_kind:     hidden_group_size_x
      - .offset:         38
        .size:           2
        .value_kind:     hidden_group_size_y
      - .offset:         40
        .size:           2
        .value_kind:     hidden_group_size_z
      - .offset:         42
        .size:           2
        .value_kind:     hidden_remainder_x
      - .offset:         44
        .size:           2
        .value_kind:     hidden_remainder_y
      - .offset:         46
        .size:           2
        .value_kind:     hidden_remainder_z
      - .offset:         64
        .size:           8
        .value_kind:     hidden_global_offset_x
      - .offset:         72
        .size:           8
        .value_kind:     hidden_global_offset_y
      - .offset:         80
        .size:           8
        .value_kind:     hidden_global_offset_z
      - .offset:         88
        .size:           2
        .value_kind:     hidden_grid_dims
    .group_segment_fixed_size: 32
    .kernarg_segment_align: 8
    .kernarg_segment_size: 280
    .language:       OpenCL C
    .language_version:
      - 2
      - 0
    .max_flat_workgroup_size: 256
    .name:           _Z6kernelI14exclusive_scanILN6hipcub18BlockScanAlgorithmE0EEdLj256ELj3ELj100EEvPKT0_PS4_S4_
    .private_segment_fixed_size: 0
    .sgpr_count:     38
    .sgpr_spill_count: 0
    .symbol:         _Z6kernelI14exclusive_scanILN6hipcub18BlockScanAlgorithmE0EEdLj256ELj3ELj100EEvPKT0_PS4_S4_.kd
    .uniform_work_group_size: 1
    .uses_dynamic_stack: false
    .vgpr_count:     21
    .vgpr_spill_count: 0
    .wavefront_size: 64
  - .args:
      - .address_space:  global
        .offset:         0
        .size:           8
        .value_kind:     global_buffer
      - .address_space:  global
        .offset:         8
        .size:           8
        .value_kind:     global_buffer
      - .offset:         16
        .size:           8
        .value_kind:     by_value
      - .offset:         24
        .size:           4
        .value_kind:     hidden_block_count_x
      - .offset:         28
        .size:           4
        .value_kind:     hidden_block_count_y
      - .offset:         32
        .size:           4
        .value_kind:     hidden_block_count_z
      - .offset:         36
        .size:           2
        .value_kind:     hidden_group_size_x
      - .offset:         38
        .size:           2
        .value_kind:     hidden_group_size_y
      - .offset:         40
        .size:           2
        .value_kind:     hidden_group_size_z
      - .offset:         42
        .size:           2
        .value_kind:     hidden_remainder_x
      - .offset:         44
        .size:           2
        .value_kind:     hidden_remainder_y
      - .offset:         46
        .size:           2
        .value_kind:     hidden_remainder_z
      - .offset:         64
        .size:           8
        .value_kind:     hidden_global_offset_x
      - .offset:         72
        .size:           8
        .value_kind:     hidden_global_offset_y
      - .offset:         80
        .size:           8
        .value_kind:     hidden_global_offset_z
      - .offset:         88
        .size:           2
        .value_kind:     hidden_grid_dims
    .group_segment_fixed_size: 32
    .kernarg_segment_align: 8
    .kernarg_segment_size: 280
    .language:       OpenCL C
    .language_version:
      - 2
      - 0
    .max_flat_workgroup_size: 256
    .name:           _Z6kernelI14exclusive_scanILN6hipcub18BlockScanAlgorithmE0EEdLj256ELj4ELj100EEvPKT0_PS4_S4_
    .private_segment_fixed_size: 0
    .sgpr_count:     38
    .sgpr_spill_count: 0
    .symbol:         _Z6kernelI14exclusive_scanILN6hipcub18BlockScanAlgorithmE0EEdLj256ELj4ELj100EEvPKT0_PS4_S4_.kd
    .uniform_work_group_size: 1
    .uses_dynamic_stack: false
    .vgpr_count:     20
    .vgpr_spill_count: 0
    .wavefront_size: 64
  - .args:
      - .address_space:  global
        .offset:         0
        .size:           8
        .value_kind:     global_buffer
      - .address_space:  global
        .offset:         8
        .size:           8
        .value_kind:     global_buffer
      - .offset:         16
        .size:           8
        .value_kind:     by_value
      - .offset:         24
        .size:           4
        .value_kind:     hidden_block_count_x
      - .offset:         28
        .size:           4
        .value_kind:     hidden_block_count_y
      - .offset:         32
        .size:           4
        .value_kind:     hidden_block_count_z
      - .offset:         36
        .size:           2
        .value_kind:     hidden_group_size_x
      - .offset:         38
        .size:           2
        .value_kind:     hidden_group_size_y
      - .offset:         40
        .size:           2
        .value_kind:     hidden_group_size_z
      - .offset:         42
        .size:           2
        .value_kind:     hidden_remainder_x
      - .offset:         44
        .size:           2
        .value_kind:     hidden_remainder_y
      - .offset:         46
        .size:           2
        .value_kind:     hidden_remainder_z
      - .offset:         64
        .size:           8
        .value_kind:     hidden_global_offset_x
      - .offset:         72
        .size:           8
        .value_kind:     hidden_global_offset_y
      - .offset:         80
        .size:           8
        .value_kind:     hidden_global_offset_z
      - .offset:         88
        .size:           2
        .value_kind:     hidden_grid_dims
    .group_segment_fixed_size: 32
    .kernarg_segment_align: 8
    .kernarg_segment_size: 280
    .language:       OpenCL C
    .language_version:
      - 2
      - 0
    .max_flat_workgroup_size: 256
    .name:           _Z6kernelI14exclusive_scanILN6hipcub18BlockScanAlgorithmE0EEdLj256ELj8ELj100EEvPKT0_PS4_S4_
    .private_segment_fixed_size: 0
    .sgpr_count:     38
    .sgpr_spill_count: 0
    .symbol:         _Z6kernelI14exclusive_scanILN6hipcub18BlockScanAlgorithmE0EEdLj256ELj8ELj100EEvPKT0_PS4_S4_.kd
    .uniform_work_group_size: 1
    .uses_dynamic_stack: false
    .vgpr_count:     26
    .vgpr_spill_count: 0
    .wavefront_size: 64
  - .args:
      - .address_space:  global
        .offset:         0
        .size:           8
        .value_kind:     global_buffer
      - .address_space:  global
        .offset:         8
        .size:           8
        .value_kind:     global_buffer
      - .offset:         16
        .size:           8
        .value_kind:     by_value
      - .offset:         24
        .size:           4
        .value_kind:     hidden_block_count_x
      - .offset:         28
        .size:           4
        .value_kind:     hidden_block_count_y
      - .offset:         32
        .size:           4
        .value_kind:     hidden_block_count_z
      - .offset:         36
        .size:           2
        .value_kind:     hidden_group_size_x
      - .offset:         38
        .size:           2
        .value_kind:     hidden_group_size_y
      - .offset:         40
        .size:           2
        .value_kind:     hidden_group_size_z
      - .offset:         42
        .size:           2
        .value_kind:     hidden_remainder_x
      - .offset:         44
        .size:           2
        .value_kind:     hidden_remainder_y
      - .offset:         46
        .size:           2
        .value_kind:     hidden_remainder_z
      - .offset:         64
        .size:           8
        .value_kind:     hidden_global_offset_x
      - .offset:         72
        .size:           8
        .value_kind:     hidden_global_offset_y
      - .offset:         80
        .size:           8
        .value_kind:     hidden_global_offset_z
      - .offset:         88
        .size:           2
        .value_kind:     hidden_grid_dims
    .group_segment_fixed_size: 32
    .kernarg_segment_align: 8
    .kernarg_segment_size: 280
    .language:       OpenCL C
    .language_version:
      - 2
      - 0
    .max_flat_workgroup_size: 256
    .name:           _Z6kernelI14exclusive_scanILN6hipcub18BlockScanAlgorithmE0EEdLj256ELj11ELj100EEvPKT0_PS4_S4_
    .private_segment_fixed_size: 0
    .sgpr_count:     38
    .sgpr_spill_count: 0
    .symbol:         _Z6kernelI14exclusive_scanILN6hipcub18BlockScanAlgorithmE0EEdLj256ELj11ELj100EEvPKT0_PS4_S4_.kd
    .uniform_work_group_size: 1
    .uses_dynamic_stack: false
    .vgpr_count:     63
    .vgpr_spill_count: 0
    .wavefront_size: 64
  - .args:
      - .address_space:  global
        .offset:         0
        .size:           8
        .value_kind:     global_buffer
      - .address_space:  global
        .offset:         8
        .size:           8
        .value_kind:     global_buffer
      - .offset:         16
        .size:           8
        .value_kind:     by_value
      - .offset:         24
        .size:           4
        .value_kind:     hidden_block_count_x
      - .offset:         28
        .size:           4
        .value_kind:     hidden_block_count_y
      - .offset:         32
        .size:           4
        .value_kind:     hidden_block_count_z
      - .offset:         36
        .size:           2
        .value_kind:     hidden_group_size_x
      - .offset:         38
        .size:           2
        .value_kind:     hidden_group_size_y
      - .offset:         40
        .size:           2
        .value_kind:     hidden_group_size_z
      - .offset:         42
        .size:           2
        .value_kind:     hidden_remainder_x
      - .offset:         44
        .size:           2
        .value_kind:     hidden_remainder_y
      - .offset:         46
        .size:           2
        .value_kind:     hidden_remainder_z
      - .offset:         64
        .size:           8
        .value_kind:     hidden_global_offset_x
      - .offset:         72
        .size:           8
        .value_kind:     hidden_global_offset_y
      - .offset:         80
        .size:           8
        .value_kind:     hidden_global_offset_z
      - .offset:         88
        .size:           2
        .value_kind:     hidden_grid_dims
    .group_segment_fixed_size: 32
    .kernarg_segment_align: 8
    .kernarg_segment_size: 280
    .language:       OpenCL C
    .language_version:
      - 2
      - 0
    .max_flat_workgroup_size: 256
    .name:           _Z6kernelI14exclusive_scanILN6hipcub18BlockScanAlgorithmE0EEdLj256ELj16ELj100EEvPKT0_PS4_S4_
    .private_segment_fixed_size: 0
    .sgpr_count:     38
    .sgpr_spill_count: 0
    .symbol:         _Z6kernelI14exclusive_scanILN6hipcub18BlockScanAlgorithmE0EEdLj256ELj16ELj100EEvPKT0_PS4_S4_.kd
    .uniform_work_group_size: 1
    .uses_dynamic_stack: false
    .vgpr_count:     51
    .vgpr_spill_count: 0
    .wavefront_size: 64
  - .args:
      - .address_space:  global
        .offset:         0
        .size:           8
        .value_kind:     global_buffer
      - .address_space:  global
        .offset:         8
        .size:           8
        .value_kind:     global_buffer
      - .offset:         16
        .size:           1
        .value_kind:     by_value
      - .offset:         24
        .size:           4
        .value_kind:     hidden_block_count_x
      - .offset:         28
        .size:           4
        .value_kind:     hidden_block_count_y
      - .offset:         32
        .size:           4
        .value_kind:     hidden_block_count_z
      - .offset:         36
        .size:           2
        .value_kind:     hidden_group_size_x
      - .offset:         38
        .size:           2
        .value_kind:     hidden_group_size_y
      - .offset:         40
        .size:           2
        .value_kind:     hidden_group_size_z
      - .offset:         42
        .size:           2
        .value_kind:     hidden_remainder_x
      - .offset:         44
        .size:           2
        .value_kind:     hidden_remainder_y
      - .offset:         46
        .size:           2
        .value_kind:     hidden_remainder_z
      - .offset:         64
        .size:           8
        .value_kind:     hidden_global_offset_x
      - .offset:         72
        .size:           8
        .value_kind:     hidden_global_offset_y
      - .offset:         80
        .size:           8
        .value_kind:     hidden_global_offset_z
      - .offset:         88
        .size:           2
        .value_kind:     hidden_grid_dims
    .group_segment_fixed_size: 4
    .kernarg_segment_align: 8
    .kernarg_segment_size: 280
    .language:       OpenCL C
    .language_version:
      - 2
      - 0
    .max_flat_workgroup_size: 256
    .name:           _Z6kernelI14exclusive_scanILN6hipcub18BlockScanAlgorithmE0EEhLj256ELj1ELj100EEvPKT0_PS4_S4_
    .private_segment_fixed_size: 0
    .sgpr_count:     32
    .sgpr_spill_count: 0
    .symbol:         _Z6kernelI14exclusive_scanILN6hipcub18BlockScanAlgorithmE0EEhLj256ELj1ELj100EEvPKT0_PS4_S4_.kd
    .uniform_work_group_size: 1
    .uses_dynamic_stack: false
    .vgpr_count:     8
    .vgpr_spill_count: 0
    .wavefront_size: 64
  - .args:
      - .address_space:  global
        .offset:         0
        .size:           8
        .value_kind:     global_buffer
      - .address_space:  global
        .offset:         8
        .size:           8
        .value_kind:     global_buffer
      - .offset:         16
        .size:           1
        .value_kind:     by_value
      - .offset:         24
        .size:           4
        .value_kind:     hidden_block_count_x
      - .offset:         28
        .size:           4
        .value_kind:     hidden_block_count_y
      - .offset:         32
        .size:           4
        .value_kind:     hidden_block_count_z
      - .offset:         36
        .size:           2
        .value_kind:     hidden_group_size_x
      - .offset:         38
        .size:           2
        .value_kind:     hidden_group_size_y
      - .offset:         40
        .size:           2
        .value_kind:     hidden_group_size_z
      - .offset:         42
        .size:           2
        .value_kind:     hidden_remainder_x
      - .offset:         44
        .size:           2
        .value_kind:     hidden_remainder_y
      - .offset:         46
        .size:           2
        .value_kind:     hidden_remainder_z
      - .offset:         64
        .size:           8
        .value_kind:     hidden_global_offset_x
      - .offset:         72
        .size:           8
        .value_kind:     hidden_global_offset_y
      - .offset:         80
        .size:           8
        .value_kind:     hidden_global_offset_z
      - .offset:         88
        .size:           2
        .value_kind:     hidden_grid_dims
    .group_segment_fixed_size: 4
    .kernarg_segment_align: 8
    .kernarg_segment_size: 280
    .language:       OpenCL C
    .language_version:
      - 2
      - 0
    .max_flat_workgroup_size: 256
    .name:           _Z6kernelI14exclusive_scanILN6hipcub18BlockScanAlgorithmE0EEhLj256ELj3ELj100EEvPKT0_PS4_S4_
    .private_segment_fixed_size: 0
    .sgpr_count:     34
    .sgpr_spill_count: 0
    .symbol:         _Z6kernelI14exclusive_scanILN6hipcub18BlockScanAlgorithmE0EEhLj256ELj3ELj100EEvPKT0_PS4_S4_.kd
    .uniform_work_group_size: 1
    .uses_dynamic_stack: false
    .vgpr_count:     12
    .vgpr_spill_count: 0
    .wavefront_size: 64
  - .args:
      - .address_space:  global
        .offset:         0
        .size:           8
        .value_kind:     global_buffer
      - .address_space:  global
        .offset:         8
        .size:           8
        .value_kind:     global_buffer
      - .offset:         16
        .size:           1
        .value_kind:     by_value
      - .offset:         24
        .size:           4
        .value_kind:     hidden_block_count_x
      - .offset:         28
        .size:           4
        .value_kind:     hidden_block_count_y
      - .offset:         32
        .size:           4
        .value_kind:     hidden_block_count_z
      - .offset:         36
        .size:           2
        .value_kind:     hidden_group_size_x
      - .offset:         38
        .size:           2
        .value_kind:     hidden_group_size_y
      - .offset:         40
        .size:           2
        .value_kind:     hidden_group_size_z
      - .offset:         42
        .size:           2
        .value_kind:     hidden_remainder_x
      - .offset:         44
        .size:           2
        .value_kind:     hidden_remainder_y
      - .offset:         46
        .size:           2
        .value_kind:     hidden_remainder_z
      - .offset:         64
        .size:           8
        .value_kind:     hidden_global_offset_x
      - .offset:         72
        .size:           8
        .value_kind:     hidden_global_offset_y
      - .offset:         80
        .size:           8
        .value_kind:     hidden_global_offset_z
      - .offset:         88
        .size:           2
        .value_kind:     hidden_grid_dims
    .group_segment_fixed_size: 4
    .kernarg_segment_align: 8
    .kernarg_segment_size: 280
    .language:       OpenCL C
    .language_version:
      - 2
      - 0
    .max_flat_workgroup_size: 256
    .name:           _Z6kernelI14exclusive_scanILN6hipcub18BlockScanAlgorithmE0EEhLj256ELj4ELj100EEvPKT0_PS4_S4_
    .private_segment_fixed_size: 0
    .sgpr_count:     34
    .sgpr_spill_count: 0
    .symbol:         _Z6kernelI14exclusive_scanILN6hipcub18BlockScanAlgorithmE0EEhLj256ELj4ELj100EEvPKT0_PS4_S4_.kd
    .uniform_work_group_size: 1
    .uses_dynamic_stack: false
    .vgpr_count:     12
    .vgpr_spill_count: 0
    .wavefront_size: 64
  - .args:
      - .address_space:  global
        .offset:         0
        .size:           8
        .value_kind:     global_buffer
      - .address_space:  global
        .offset:         8
        .size:           8
        .value_kind:     global_buffer
      - .offset:         16
        .size:           1
        .value_kind:     by_value
      - .offset:         24
        .size:           4
        .value_kind:     hidden_block_count_x
      - .offset:         28
        .size:           4
        .value_kind:     hidden_block_count_y
      - .offset:         32
        .size:           4
        .value_kind:     hidden_block_count_z
      - .offset:         36
        .size:           2
        .value_kind:     hidden_group_size_x
      - .offset:         38
        .size:           2
        .value_kind:     hidden_group_size_y
      - .offset:         40
        .size:           2
        .value_kind:     hidden_group_size_z
      - .offset:         42
        .size:           2
        .value_kind:     hidden_remainder_x
      - .offset:         44
        .size:           2
        .value_kind:     hidden_remainder_y
      - .offset:         46
        .size:           2
        .value_kind:     hidden_remainder_z
      - .offset:         64
        .size:           8
        .value_kind:     hidden_global_offset_x
      - .offset:         72
        .size:           8
        .value_kind:     hidden_global_offset_y
      - .offset:         80
        .size:           8
        .value_kind:     hidden_global_offset_z
      - .offset:         88
        .size:           2
        .value_kind:     hidden_grid_dims
    .group_segment_fixed_size: 4
    .kernarg_segment_align: 8
    .kernarg_segment_size: 280
    .language:       OpenCL C
    .language_version:
      - 2
      - 0
    .max_flat_workgroup_size: 256
    .name:           _Z6kernelI14exclusive_scanILN6hipcub18BlockScanAlgorithmE0EEhLj256ELj8ELj100EEvPKT0_PS4_S4_
    .private_segment_fixed_size: 0
    .sgpr_count:     34
    .sgpr_spill_count: 0
    .symbol:         _Z6kernelI14exclusive_scanILN6hipcub18BlockScanAlgorithmE0EEhLj256ELj8ELj100EEvPKT0_PS4_S4_.kd
    .uniform_work_group_size: 1
    .uses_dynamic_stack: false
    .vgpr_count:     16
    .vgpr_spill_count: 0
    .wavefront_size: 64
  - .args:
      - .address_space:  global
        .offset:         0
        .size:           8
        .value_kind:     global_buffer
      - .address_space:  global
        .offset:         8
        .size:           8
        .value_kind:     global_buffer
      - .offset:         16
        .size:           1
        .value_kind:     by_value
      - .offset:         24
        .size:           4
        .value_kind:     hidden_block_count_x
      - .offset:         28
        .size:           4
        .value_kind:     hidden_block_count_y
      - .offset:         32
        .size:           4
        .value_kind:     hidden_block_count_z
      - .offset:         36
        .size:           2
        .value_kind:     hidden_group_size_x
      - .offset:         38
        .size:           2
        .value_kind:     hidden_group_size_y
      - .offset:         40
        .size:           2
        .value_kind:     hidden_group_size_z
      - .offset:         42
        .size:           2
        .value_kind:     hidden_remainder_x
      - .offset:         44
        .size:           2
        .value_kind:     hidden_remainder_y
      - .offset:         46
        .size:           2
        .value_kind:     hidden_remainder_z
      - .offset:         64
        .size:           8
        .value_kind:     hidden_global_offset_x
      - .offset:         72
        .size:           8
        .value_kind:     hidden_global_offset_y
      - .offset:         80
        .size:           8
        .value_kind:     hidden_global_offset_z
      - .offset:         88
        .size:           2
        .value_kind:     hidden_grid_dims
    .group_segment_fixed_size: 4
    .kernarg_segment_align: 8
    .kernarg_segment_size: 280
    .language:       OpenCL C
    .language_version:
      - 2
      - 0
    .max_flat_workgroup_size: 256
    .name:           _Z6kernelI14exclusive_scanILN6hipcub18BlockScanAlgorithmE0EEhLj256ELj11ELj100EEvPKT0_PS4_S4_
    .private_segment_fixed_size: 0
    .sgpr_count:     34
    .sgpr_spill_count: 0
    .symbol:         _Z6kernelI14exclusive_scanILN6hipcub18BlockScanAlgorithmE0EEhLj256ELj11ELj100EEvPKT0_PS4_S4_.kd
    .uniform_work_group_size: 1
    .uses_dynamic_stack: false
    .vgpr_count:     31
    .vgpr_spill_count: 0
    .wavefront_size: 64
  - .args:
      - .address_space:  global
        .offset:         0
        .size:           8
        .value_kind:     global_buffer
      - .address_space:  global
        .offset:         8
        .size:           8
        .value_kind:     global_buffer
      - .offset:         16
        .size:           1
        .value_kind:     by_value
      - .offset:         24
        .size:           4
        .value_kind:     hidden_block_count_x
      - .offset:         28
        .size:           4
        .value_kind:     hidden_block_count_y
      - .offset:         32
        .size:           4
        .value_kind:     hidden_block_count_z
      - .offset:         36
        .size:           2
        .value_kind:     hidden_group_size_x
      - .offset:         38
        .size:           2
        .value_kind:     hidden_group_size_y
      - .offset:         40
        .size:           2
        .value_kind:     hidden_group_size_z
      - .offset:         42
        .size:           2
        .value_kind:     hidden_remainder_x
      - .offset:         44
        .size:           2
        .value_kind:     hidden_remainder_y
      - .offset:         46
        .size:           2
        .value_kind:     hidden_remainder_z
      - .offset:         64
        .size:           8
        .value_kind:     hidden_global_offset_x
      - .offset:         72
        .size:           8
        .value_kind:     hidden_global_offset_y
      - .offset:         80
        .size:           8
        .value_kind:     hidden_global_offset_z
      - .offset:         88
        .size:           2
        .value_kind:     hidden_grid_dims
    .group_segment_fixed_size: 4
    .kernarg_segment_align: 8
    .kernarg_segment_size: 280
    .language:       OpenCL C
    .language_version:
      - 2
      - 0
    .max_flat_workgroup_size: 256
    .name:           _Z6kernelI14exclusive_scanILN6hipcub18BlockScanAlgorithmE0EEhLj256ELj16ELj100EEvPKT0_PS4_S4_
    .private_segment_fixed_size: 0
    .sgpr_count:     34
    .sgpr_spill_count: 0
    .symbol:         _Z6kernelI14exclusive_scanILN6hipcub18BlockScanAlgorithmE0EEhLj256ELj16ELj100EEvPKT0_PS4_S4_.kd
    .uniform_work_group_size: 1
    .uses_dynamic_stack: false
    .vgpr_count:     26
    .vgpr_spill_count: 0
    .wavefront_size: 64
  - .args:
      - .address_space:  global
        .offset:         0
        .size:           8
        .value_kind:     global_buffer
      - .address_space:  global
        .offset:         8
        .size:           8
        .value_kind:     global_buffer
      - .offset:         16
        .size:           8
        .value_kind:     by_value
      - .offset:         24
        .size:           4
        .value_kind:     hidden_block_count_x
      - .offset:         28
        .size:           4
        .value_kind:     hidden_block_count_y
      - .offset:         32
        .size:           4
        .value_kind:     hidden_block_count_z
      - .offset:         36
        .size:           2
        .value_kind:     hidden_group_size_x
      - .offset:         38
        .size:           2
        .value_kind:     hidden_group_size_y
      - .offset:         40
        .size:           2
        .value_kind:     hidden_group_size_z
      - .offset:         42
        .size:           2
        .value_kind:     hidden_remainder_x
      - .offset:         44
        .size:           2
        .value_kind:     hidden_remainder_y
      - .offset:         46
        .size:           2
        .value_kind:     hidden_remainder_z
      - .offset:         64
        .size:           8
        .value_kind:     hidden_global_offset_x
      - .offset:         72
        .size:           8
        .value_kind:     hidden_global_offset_y
      - .offset:         80
        .size:           8
        .value_kind:     hidden_global_offset_z
      - .offset:         88
        .size:           2
        .value_kind:     hidden_grid_dims
    .group_segment_fixed_size: 32
    .kernarg_segment_align: 8
    .kernarg_segment_size: 280
    .language:       OpenCL C
    .language_version:
      - 2
      - 0
    .max_flat_workgroup_size: 256
    .name:           _Z6kernelI14exclusive_scanILN6hipcub18BlockScanAlgorithmE0EEN15benchmark_utils11custom_typeIffEELj256ELj1ELj100EEvPKT0_PS7_S7_
    .private_segment_fixed_size: 0
    .sgpr_count:     35
    .sgpr_spill_count: 0
    .symbol:         _Z6kernelI14exclusive_scanILN6hipcub18BlockScanAlgorithmE0EEN15benchmark_utils11custom_typeIffEELj256ELj1ELj100EEvPKT0_PS7_S7_.kd
    .uniform_work_group_size: 1
    .uses_dynamic_stack: false
    .vgpr_count:     12
    .vgpr_spill_count: 0
    .wavefront_size: 64
  - .args:
      - .address_space:  global
        .offset:         0
        .size:           8
        .value_kind:     global_buffer
      - .address_space:  global
        .offset:         8
        .size:           8
        .value_kind:     global_buffer
      - .offset:         16
        .size:           8
        .value_kind:     by_value
      - .offset:         24
        .size:           4
        .value_kind:     hidden_block_count_x
      - .offset:         28
        .size:           4
        .value_kind:     hidden_block_count_y
      - .offset:         32
        .size:           4
        .value_kind:     hidden_block_count_z
      - .offset:         36
        .size:           2
        .value_kind:     hidden_group_size_x
      - .offset:         38
        .size:           2
        .value_kind:     hidden_group_size_y
      - .offset:         40
        .size:           2
        .value_kind:     hidden_group_size_z
      - .offset:         42
        .size:           2
        .value_kind:     hidden_remainder_x
      - .offset:         44
        .size:           2
        .value_kind:     hidden_remainder_y
      - .offset:         46
        .size:           2
        .value_kind:     hidden_remainder_z
      - .offset:         64
        .size:           8
        .value_kind:     hidden_global_offset_x
      - .offset:         72
        .size:           8
        .value_kind:     hidden_global_offset_y
      - .offset:         80
        .size:           8
        .value_kind:     hidden_global_offset_z
      - .offset:         88
        .size:           2
        .value_kind:     hidden_grid_dims
    .group_segment_fixed_size: 32
    .kernarg_segment_align: 8
    .kernarg_segment_size: 280
    .language:       OpenCL C
    .language_version:
      - 2
      - 0
    .max_flat_workgroup_size: 256
    .name:           _Z6kernelI14exclusive_scanILN6hipcub18BlockScanAlgorithmE0EEN15benchmark_utils11custom_typeIffEELj256ELj4ELj100EEvPKT0_PS7_S7_
    .private_segment_fixed_size: 0
    .sgpr_count:     38
    .sgpr_spill_count: 0
    .symbol:         _Z6kernelI14exclusive_scanILN6hipcub18BlockScanAlgorithmE0EEN15benchmark_utils11custom_typeIffEELj256ELj4ELj100EEvPKT0_PS7_S7_.kd
    .uniform_work_group_size: 1
    .uses_dynamic_stack: false
    .vgpr_count:     18
    .vgpr_spill_count: 0
    .wavefront_size: 64
  - .args:
      - .address_space:  global
        .offset:         0
        .size:           8
        .value_kind:     global_buffer
      - .address_space:  global
        .offset:         8
        .size:           8
        .value_kind:     global_buffer
      - .offset:         16
        .size:           8
        .value_kind:     by_value
      - .offset:         24
        .size:           4
        .value_kind:     hidden_block_count_x
      - .offset:         28
        .size:           4
        .value_kind:     hidden_block_count_y
      - .offset:         32
        .size:           4
        .value_kind:     hidden_block_count_z
      - .offset:         36
        .size:           2
        .value_kind:     hidden_group_size_x
      - .offset:         38
        .size:           2
        .value_kind:     hidden_group_size_y
      - .offset:         40
        .size:           2
        .value_kind:     hidden_group_size_z
      - .offset:         42
        .size:           2
        .value_kind:     hidden_remainder_x
      - .offset:         44
        .size:           2
        .value_kind:     hidden_remainder_y
      - .offset:         46
        .size:           2
        .value_kind:     hidden_remainder_z
      - .offset:         64
        .size:           8
        .value_kind:     hidden_global_offset_x
      - .offset:         72
        .size:           8
        .value_kind:     hidden_global_offset_y
      - .offset:         80
        .size:           8
        .value_kind:     hidden_global_offset_z
      - .offset:         88
        .size:           2
        .value_kind:     hidden_grid_dims
    .group_segment_fixed_size: 32
    .kernarg_segment_align: 8
    .kernarg_segment_size: 280
    .language:       OpenCL C
    .language_version:
      - 2
      - 0
    .max_flat_workgroup_size: 256
    .name:           _Z6kernelI14exclusive_scanILN6hipcub18BlockScanAlgorithmE0EEN15benchmark_utils11custom_typeIffEELj256ELj8ELj100EEvPKT0_PS7_S7_
    .private_segment_fixed_size: 0
    .sgpr_count:     38
    .sgpr_spill_count: 0
    .symbol:         _Z6kernelI14exclusive_scanILN6hipcub18BlockScanAlgorithmE0EEN15benchmark_utils11custom_typeIffEELj256ELj8ELj100EEvPKT0_PS7_S7_.kd
    .uniform_work_group_size: 1
    .uses_dynamic_stack: false
    .vgpr_count:     26
    .vgpr_spill_count: 0
    .wavefront_size: 64
  - .args:
      - .address_space:  global
        .offset:         0
        .size:           8
        .value_kind:     global_buffer
      - .address_space:  global
        .offset:         8
        .size:           8
        .value_kind:     global_buffer
      - .offset:         16
        .size:           16
        .value_kind:     by_value
      - .offset:         32
        .size:           4
        .value_kind:     hidden_block_count_x
      - .offset:         36
        .size:           4
        .value_kind:     hidden_block_count_y
      - .offset:         40
        .size:           4
        .value_kind:     hidden_block_count_z
      - .offset:         44
        .size:           2
        .value_kind:     hidden_group_size_x
      - .offset:         46
        .size:           2
        .value_kind:     hidden_group_size_y
      - .offset:         48
        .size:           2
        .value_kind:     hidden_group_size_z
      - .offset:         50
        .size:           2
        .value_kind:     hidden_remainder_x
      - .offset:         52
        .size:           2
        .value_kind:     hidden_remainder_y
      - .offset:         54
        .size:           2
        .value_kind:     hidden_remainder_z
      - .offset:         72
        .size:           8
        .value_kind:     hidden_global_offset_x
      - .offset:         80
        .size:           8
        .value_kind:     hidden_global_offset_y
      - .offset:         88
        .size:           8
        .value_kind:     hidden_global_offset_z
      - .offset:         96
        .size:           2
        .value_kind:     hidden_grid_dims
    .group_segment_fixed_size: 64
    .kernarg_segment_align: 8
    .kernarg_segment_size: 288
    .language:       OpenCL C
    .language_version:
      - 2
      - 0
    .max_flat_workgroup_size: 256
    .name:           _Z6kernelI14exclusive_scanILN6hipcub18BlockScanAlgorithmE0EEN15benchmark_utils11custom_typeIddEELj256ELj1ELj100EEvPKT0_PS7_S7_
    .private_segment_fixed_size: 0
    .sgpr_count:     38
    .sgpr_spill_count: 0
    .symbol:         _Z6kernelI14exclusive_scanILN6hipcub18BlockScanAlgorithmE0EEN15benchmark_utils11custom_typeIddEELj256ELj1ELj100EEvPKT0_PS7_S7_.kd
    .uniform_work_group_size: 1
    .uses_dynamic_stack: false
    .vgpr_count:     18
    .vgpr_spill_count: 0
    .wavefront_size: 64
  - .args:
      - .address_space:  global
        .offset:         0
        .size:           8
        .value_kind:     global_buffer
      - .address_space:  global
        .offset:         8
        .size:           8
        .value_kind:     global_buffer
      - .offset:         16
        .size:           16
        .value_kind:     by_value
      - .offset:         32
        .size:           4
        .value_kind:     hidden_block_count_x
      - .offset:         36
        .size:           4
        .value_kind:     hidden_block_count_y
      - .offset:         40
        .size:           4
        .value_kind:     hidden_block_count_z
      - .offset:         44
        .size:           2
        .value_kind:     hidden_group_size_x
      - .offset:         46
        .size:           2
        .value_kind:     hidden_group_size_y
      - .offset:         48
        .size:           2
        .value_kind:     hidden_group_size_z
      - .offset:         50
        .size:           2
        .value_kind:     hidden_remainder_x
      - .offset:         52
        .size:           2
        .value_kind:     hidden_remainder_y
      - .offset:         54
        .size:           2
        .value_kind:     hidden_remainder_z
      - .offset:         72
        .size:           8
        .value_kind:     hidden_global_offset_x
      - .offset:         80
        .size:           8
        .value_kind:     hidden_global_offset_y
      - .offset:         88
        .size:           8
        .value_kind:     hidden_global_offset_z
      - .offset:         96
        .size:           2
        .value_kind:     hidden_grid_dims
    .group_segment_fixed_size: 64
    .kernarg_segment_align: 8
    .kernarg_segment_size: 288
    .language:       OpenCL C
    .language_version:
      - 2
      - 0
    .max_flat_workgroup_size: 256
    .name:           _Z6kernelI14exclusive_scanILN6hipcub18BlockScanAlgorithmE0EEN15benchmark_utils11custom_typeIddEELj256ELj4ELj100EEvPKT0_PS7_S7_
    .private_segment_fixed_size: 0
    .sgpr_count:     40
    .sgpr_spill_count: 0
    .symbol:         _Z6kernelI14exclusive_scanILN6hipcub18BlockScanAlgorithmE0EEN15benchmark_utils11custom_typeIddEELj256ELj4ELj100EEvPKT0_PS7_S7_.kd
    .uniform_work_group_size: 1
    .uses_dynamic_stack: false
    .vgpr_count:     30
    .vgpr_spill_count: 0
    .wavefront_size: 64
  - .args:
      - .address_space:  global
        .offset:         0
        .size:           8
        .value_kind:     global_buffer
      - .address_space:  global
        .offset:         8
        .size:           8
        .value_kind:     global_buffer
      - .offset:         16
        .size:           16
        .value_kind:     by_value
      - .offset:         32
        .size:           4
        .value_kind:     hidden_block_count_x
      - .offset:         36
        .size:           4
        .value_kind:     hidden_block_count_y
      - .offset:         40
        .size:           4
        .value_kind:     hidden_block_count_z
      - .offset:         44
        .size:           2
        .value_kind:     hidden_group_size_x
      - .offset:         46
        .size:           2
        .value_kind:     hidden_group_size_y
      - .offset:         48
        .size:           2
        .value_kind:     hidden_group_size_z
      - .offset:         50
        .size:           2
        .value_kind:     hidden_remainder_x
      - .offset:         52
        .size:           2
        .value_kind:     hidden_remainder_y
      - .offset:         54
        .size:           2
        .value_kind:     hidden_remainder_z
      - .offset:         72
        .size:           8
        .value_kind:     hidden_global_offset_x
      - .offset:         80
        .size:           8
        .value_kind:     hidden_global_offset_y
      - .offset:         88
        .size:           8
        .value_kind:     hidden_global_offset_z
      - .offset:         96
        .size:           2
        .value_kind:     hidden_grid_dims
    .group_segment_fixed_size: 64
    .kernarg_segment_align: 8
    .kernarg_segment_size: 288
    .language:       OpenCL C
    .language_version:
      - 2
      - 0
    .max_flat_workgroup_size: 256
    .name:           _Z6kernelI14exclusive_scanILN6hipcub18BlockScanAlgorithmE0EEN15benchmark_utils11custom_typeIddEELj256ELj8ELj100EEvPKT0_PS7_S7_
    .private_segment_fixed_size: 0
    .sgpr_count:     40
    .sgpr_spill_count: 0
    .symbol:         _Z6kernelI14exclusive_scanILN6hipcub18BlockScanAlgorithmE0EEN15benchmark_utils11custom_typeIddEELj256ELj8ELj100EEvPKT0_PS7_S7_.kd
    .uniform_work_group_size: 1
    .uses_dynamic_stack: false
    .vgpr_count:     51
    .vgpr_spill_count: 0
    .wavefront_size: 64
amdhsa.target:   amdgcn-amd-amdhsa--gfx906
amdhsa.version:
  - 1
  - 2
...

	.end_amdgpu_metadata
